;; amdgpu-corpus repo=ROCm/rocBLAS kind=compiled arch=gfx1030 opt=O3
	.amdgcn_target "amdgcn-amd-amdhsa--gfx1030"
	.amdhsa_code_object_version 6
	.section	.text._ZN12_GLOBAL__N_125rocblas_gemm_scale_kernelILi32ELi32EDF16_PDF16_EEviiT1_T2_llli,"axG",@progbits,_ZN12_GLOBAL__N_125rocblas_gemm_scale_kernelILi32ELi32EDF16_PDF16_EEviiT1_T2_llli,comdat
	.globl	_ZN12_GLOBAL__N_125rocblas_gemm_scale_kernelILi32ELi32EDF16_PDF16_EEviiT1_T2_llli ; -- Begin function _ZN12_GLOBAL__N_125rocblas_gemm_scale_kernelILi32ELi32EDF16_PDF16_EEviiT1_T2_llli
	.p2align	8
	.type	_ZN12_GLOBAL__N_125rocblas_gemm_scale_kernelILi32ELi32EDF16_PDF16_EEviiT1_T2_llli,@function
_ZN12_GLOBAL__N_125rocblas_gemm_scale_kernelILi32ELi32EDF16_PDF16_EEviiT1_T2_llli: ; @_ZN12_GLOBAL__N_125rocblas_gemm_scale_kernelILi32ELi32EDF16_PDF16_EEviiT1_T2_llli
; %bb.0:
	s_load_dwordx4 s[0:3], s[4:5], 0x0
	v_lshl_add_u32 v0, s6, 5, v0
	v_lshl_add_u32 v1, s7, 5, v1
	s_waitcnt lgkmcnt(0)
	v_cmp_gt_u32_e32 vcc_lo, s0, v0
	v_cmp_gt_u32_e64 s0, s1, v1
	s_and_b32 s0, vcc_lo, s0
	s_and_saveexec_b32 s1, s0
	s_cbranch_execz .LBB0_4
; %bb.1:
	s_load_dwordx8 s[12:19], s[4:5], 0x10
	v_cmp_eq_f16_e64 s5, s2, 0
	s_waitcnt lgkmcnt(0)
	v_mad_u64_u32 v[2:3], null, s16, v1, 0
	s_mul_i32 s1, s19, s8
	s_mul_hi_u32 s3, s18, s8
	s_mul_i32 s0, s18, s8
	s_add_i32 s1, s3, s1
	s_lshl_b64 s[0:1], s[0:1], 1
	v_mad_u64_u32 v[3:4], null, s17, v1, v[3:4]
	v_mov_b32_e32 v1, 0
	s_add_u32 s3, s12, s0
	s_addc_u32 s4, s13, s1
	s_lshl_b64 s[0:1], s[14:15], 1
	s_add_u32 s0, s3, s0
	v_lshlrev_b64 v[4:5], 1, v[2:3]
	v_lshlrev_b64 v[2:3], 1, v[0:1]
	s_addc_u32 s1, s4, s1
	s_and_b32 vcc_lo, exec_lo, s5
	s_cbranch_vccnz .LBB0_3
; %bb.2:
	v_add_co_u32 v0, vcc_lo, s0, v4
	v_add_co_ci_u32_e64 v1, null, s1, v5, vcc_lo
	v_add_co_u32 v0, vcc_lo, v0, v2
	v_add_co_ci_u32_e64 v1, null, v1, v3, vcc_lo
	global_load_ushort v0, v[0:1], off
	s_waitcnt vmcnt(0)
	v_mul_f16_e32 v1, s2, v0
.LBB0_3:
	v_add_co_u32 v0, vcc_lo, s0, v4
	v_add_co_ci_u32_e64 v4, null, s1, v5, vcc_lo
	v_add_co_u32 v2, vcc_lo, v0, v2
	v_add_co_ci_u32_e64 v3, null, v4, v3, vcc_lo
	global_store_short v[2:3], v1, off
.LBB0_4:
	s_endpgm
	.section	.rodata,"a",@progbits
	.p2align	6, 0x0
	.amdhsa_kernel _ZN12_GLOBAL__N_125rocblas_gemm_scale_kernelILi32ELi32EDF16_PDF16_EEviiT1_T2_llli
		.amdhsa_group_segment_fixed_size 0
		.amdhsa_private_segment_fixed_size 0
		.amdhsa_kernarg_size 52
		.amdhsa_user_sgpr_count 6
		.amdhsa_user_sgpr_private_segment_buffer 1
		.amdhsa_user_sgpr_dispatch_ptr 0
		.amdhsa_user_sgpr_queue_ptr 0
		.amdhsa_user_sgpr_kernarg_segment_ptr 1
		.amdhsa_user_sgpr_dispatch_id 0
		.amdhsa_user_sgpr_flat_scratch_init 0
		.amdhsa_user_sgpr_private_segment_size 0
		.amdhsa_wavefront_size32 1
		.amdhsa_uses_dynamic_stack 0
		.amdhsa_system_sgpr_private_segment_wavefront_offset 0
		.amdhsa_system_sgpr_workgroup_id_x 1
		.amdhsa_system_sgpr_workgroup_id_y 1
		.amdhsa_system_sgpr_workgroup_id_z 1
		.amdhsa_system_sgpr_workgroup_info 0
		.amdhsa_system_vgpr_workitem_id 1
		.amdhsa_next_free_vgpr 6
		.amdhsa_next_free_sgpr 20
		.amdhsa_reserve_vcc 1
		.amdhsa_reserve_flat_scratch 0
		.amdhsa_float_round_mode_32 0
		.amdhsa_float_round_mode_16_64 0
		.amdhsa_float_denorm_mode_32 3
		.amdhsa_float_denorm_mode_16_64 3
		.amdhsa_dx10_clamp 1
		.amdhsa_ieee_mode 1
		.amdhsa_fp16_overflow 0
		.amdhsa_workgroup_processor_mode 1
		.amdhsa_memory_ordered 1
		.amdhsa_forward_progress 1
		.amdhsa_shared_vgpr_count 0
		.amdhsa_exception_fp_ieee_invalid_op 0
		.amdhsa_exception_fp_denorm_src 0
		.amdhsa_exception_fp_ieee_div_zero 0
		.amdhsa_exception_fp_ieee_overflow 0
		.amdhsa_exception_fp_ieee_underflow 0
		.amdhsa_exception_fp_ieee_inexact 0
		.amdhsa_exception_int_div_zero 0
	.end_amdhsa_kernel
	.section	.text._ZN12_GLOBAL__N_125rocblas_gemm_scale_kernelILi32ELi32EDF16_PDF16_EEviiT1_T2_llli,"axG",@progbits,_ZN12_GLOBAL__N_125rocblas_gemm_scale_kernelILi32ELi32EDF16_PDF16_EEviiT1_T2_llli,comdat
.Lfunc_end0:
	.size	_ZN12_GLOBAL__N_125rocblas_gemm_scale_kernelILi32ELi32EDF16_PDF16_EEviiT1_T2_llli, .Lfunc_end0-_ZN12_GLOBAL__N_125rocblas_gemm_scale_kernelILi32ELi32EDF16_PDF16_EEviiT1_T2_llli
                                        ; -- End function
	.set _ZN12_GLOBAL__N_125rocblas_gemm_scale_kernelILi32ELi32EDF16_PDF16_EEviiT1_T2_llli.num_vgpr, 6
	.set _ZN12_GLOBAL__N_125rocblas_gemm_scale_kernelILi32ELi32EDF16_PDF16_EEviiT1_T2_llli.num_agpr, 0
	.set _ZN12_GLOBAL__N_125rocblas_gemm_scale_kernelILi32ELi32EDF16_PDF16_EEviiT1_T2_llli.numbered_sgpr, 20
	.set _ZN12_GLOBAL__N_125rocblas_gemm_scale_kernelILi32ELi32EDF16_PDF16_EEviiT1_T2_llli.num_named_barrier, 0
	.set _ZN12_GLOBAL__N_125rocblas_gemm_scale_kernelILi32ELi32EDF16_PDF16_EEviiT1_T2_llli.private_seg_size, 0
	.set _ZN12_GLOBAL__N_125rocblas_gemm_scale_kernelILi32ELi32EDF16_PDF16_EEviiT1_T2_llli.uses_vcc, 1
	.set _ZN12_GLOBAL__N_125rocblas_gemm_scale_kernelILi32ELi32EDF16_PDF16_EEviiT1_T2_llli.uses_flat_scratch, 0
	.set _ZN12_GLOBAL__N_125rocblas_gemm_scale_kernelILi32ELi32EDF16_PDF16_EEviiT1_T2_llli.has_dyn_sized_stack, 0
	.set _ZN12_GLOBAL__N_125rocblas_gemm_scale_kernelILi32ELi32EDF16_PDF16_EEviiT1_T2_llli.has_recursion, 0
	.set _ZN12_GLOBAL__N_125rocblas_gemm_scale_kernelILi32ELi32EDF16_PDF16_EEviiT1_T2_llli.has_indirect_call, 0
	.section	.AMDGPU.csdata,"",@progbits
; Kernel info:
; codeLenInByte = 248
; TotalNumSgprs: 22
; NumVgprs: 6
; ScratchSize: 0
; MemoryBound: 0
; FloatMode: 240
; IeeeMode: 1
; LDSByteSize: 0 bytes/workgroup (compile time only)
; SGPRBlocks: 0
; VGPRBlocks: 0
; NumSGPRsForWavesPerEU: 22
; NumVGPRsForWavesPerEU: 6
; Occupancy: 16
; WaveLimiterHint : 0
; COMPUTE_PGM_RSRC2:SCRATCH_EN: 0
; COMPUTE_PGM_RSRC2:USER_SGPR: 6
; COMPUTE_PGM_RSRC2:TRAP_HANDLER: 0
; COMPUTE_PGM_RSRC2:TGID_X_EN: 1
; COMPUTE_PGM_RSRC2:TGID_Y_EN: 1
; COMPUTE_PGM_RSRC2:TGID_Z_EN: 1
; COMPUTE_PGM_RSRC2:TIDIG_COMP_CNT: 1
	.section	.text._ZN12_GLOBAL__N_120gemm_ex_scale_kernelILi32ELi32EDF16_PKDF16_PDF16_EEviiT1_T2_lllT3_llli,"axG",@progbits,_ZN12_GLOBAL__N_120gemm_ex_scale_kernelILi32ELi32EDF16_PKDF16_PDF16_EEviiT1_T2_lllT3_llli,comdat
	.globl	_ZN12_GLOBAL__N_120gemm_ex_scale_kernelILi32ELi32EDF16_PKDF16_PDF16_EEviiT1_T2_lllT3_llli ; -- Begin function _ZN12_GLOBAL__N_120gemm_ex_scale_kernelILi32ELi32EDF16_PKDF16_PDF16_EEviiT1_T2_lllT3_llli
	.p2align	8
	.type	_ZN12_GLOBAL__N_120gemm_ex_scale_kernelILi32ELi32EDF16_PKDF16_PDF16_EEviiT1_T2_lllT3_llli,@function
_ZN12_GLOBAL__N_120gemm_ex_scale_kernelILi32ELi32EDF16_PKDF16_PDF16_EEviiT1_T2_lllT3_llli: ; @_ZN12_GLOBAL__N_120gemm_ex_scale_kernelILi32ELi32EDF16_PKDF16_PDF16_EEviiT1_T2_lllT3_llli
; %bb.0:
	s_load_dwordx4 s[0:3], s[4:5], 0x0
	v_lshl_add_u32 v0, s6, 5, v0
	v_lshl_add_u32 v4, s7, 5, v1
	s_waitcnt lgkmcnt(0)
	v_cmp_gt_u32_e32 vcc_lo, s0, v0
	v_cmp_gt_u32_e64 s0, s1, v4
	s_and_b32 s0, vcc_lo, s0
	s_and_saveexec_b32 s1, s0
	s_cbranch_execz .LBB1_5
; %bb.1:
	v_cmp_neq_f16_e64 s0, s2, 0
	v_mov_b32_e32 v1, 0
	s_and_b32 vcc_lo, exec_lo, s0
	s_mov_b32 s0, 0
	s_cbranch_vccnz .LBB1_6
; %bb.2:
	v_mov_b32_e32 v3, 0
	v_mov_b32_e32 v2, v0
	s_load_dwordx16 s[12:27], s[4:5], 0x10
	s_andn2_b32 vcc_lo, exec_lo, s0
	s_cbranch_vccnz .LBB1_4
.LBB1_3:
	s_waitcnt lgkmcnt(0)
	v_mad_u64_u32 v[5:6], null, s16, v4, 0
	s_mul_i32 s1, s19, s8
	s_mul_hi_u32 s3, s18, s8
	s_mul_i32 s0, s18, s8
	s_add_i32 s1, s3, s1
	v_lshlrev_b64 v[0:1], 1, v[0:1]
	s_lshl_b64 s[0:1], s[0:1], 1
	v_mad_u64_u32 v[6:7], null, s17, v4, v[6:7]
	s_add_u32 s3, s12, s0
	s_addc_u32 s4, s13, s1
	s_lshl_b64 s[0:1], s[14:15], 1
	s_add_u32 s0, s3, s0
	s_addc_u32 s1, s4, s1
	v_lshlrev_b64 v[5:6], 1, v[5:6]
	v_add_co_u32 v5, vcc_lo, s0, v5
	v_add_co_ci_u32_e64 v6, null, s1, v6, vcc_lo
	v_add_co_u32 v0, vcc_lo, v5, v0
	v_add_co_ci_u32_e64 v1, null, v6, v1, vcc_lo
	global_load_ushort v0, v[0:1], off
	s_waitcnt vmcnt(0)
	v_mul_f16_e32 v1, s2, v0
.LBB1_4:
	s_waitcnt lgkmcnt(0)
	v_mad_u64_u32 v[5:6], null, s24, v4, 0
	s_mul_i32 s1, s27, s8
	s_mul_hi_u32 s2, s26, s8
	s_mul_i32 s0, s26, s8
	s_add_i32 s1, s2, s1
	v_lshlrev_b64 v[2:3], 1, v[2:3]
	s_lshl_b64 s[0:1], s[0:1], 1
	v_mov_b32_e32 v0, v6
	s_add_u32 s2, s20, s0
	s_addc_u32 s3, s21, s1
	s_lshl_b64 s[0:1], s[22:23], 1
	s_add_u32 s0, s2, s0
	v_mad_u64_u32 v[6:7], null, s25, v4, v[0:1]
	s_addc_u32 s1, s3, s1
	v_lshlrev_b64 v[4:5], 1, v[5:6]
	v_add_co_u32 v0, vcc_lo, s0, v4
	v_add_co_ci_u32_e64 v4, null, s1, v5, vcc_lo
	v_add_co_u32 v2, vcc_lo, v0, v2
	v_add_co_ci_u32_e64 v3, null, v4, v3, vcc_lo
	global_store_short v[2:3], v1, off
.LBB1_5:
	s_endpgm
.LBB1_6:
	v_mov_b32_e32 v3, v1
	v_mov_b32_e32 v2, v0
	s_load_dwordx16 s[12:27], s[4:5], 0x10
	s_branch .LBB1_3
	.section	.rodata,"a",@progbits
	.p2align	6, 0x0
	.amdhsa_kernel _ZN12_GLOBAL__N_120gemm_ex_scale_kernelILi32ELi32EDF16_PKDF16_PDF16_EEviiT1_T2_lllT3_llli
		.amdhsa_group_segment_fixed_size 0
		.amdhsa_private_segment_fixed_size 0
		.amdhsa_kernarg_size 84
		.amdhsa_user_sgpr_count 6
		.amdhsa_user_sgpr_private_segment_buffer 1
		.amdhsa_user_sgpr_dispatch_ptr 0
		.amdhsa_user_sgpr_queue_ptr 0
		.amdhsa_user_sgpr_kernarg_segment_ptr 1
		.amdhsa_user_sgpr_dispatch_id 0
		.amdhsa_user_sgpr_flat_scratch_init 0
		.amdhsa_user_sgpr_private_segment_size 0
		.amdhsa_wavefront_size32 1
		.amdhsa_uses_dynamic_stack 0
		.amdhsa_system_sgpr_private_segment_wavefront_offset 0
		.amdhsa_system_sgpr_workgroup_id_x 1
		.amdhsa_system_sgpr_workgroup_id_y 1
		.amdhsa_system_sgpr_workgroup_id_z 1
		.amdhsa_system_sgpr_workgroup_info 0
		.amdhsa_system_vgpr_workitem_id 1
		.amdhsa_next_free_vgpr 8
		.amdhsa_next_free_sgpr 28
		.amdhsa_reserve_vcc 1
		.amdhsa_reserve_flat_scratch 0
		.amdhsa_float_round_mode_32 0
		.amdhsa_float_round_mode_16_64 0
		.amdhsa_float_denorm_mode_32 3
		.amdhsa_float_denorm_mode_16_64 3
		.amdhsa_dx10_clamp 1
		.amdhsa_ieee_mode 1
		.amdhsa_fp16_overflow 0
		.amdhsa_workgroup_processor_mode 1
		.amdhsa_memory_ordered 1
		.amdhsa_forward_progress 1
		.amdhsa_shared_vgpr_count 0
		.amdhsa_exception_fp_ieee_invalid_op 0
		.amdhsa_exception_fp_denorm_src 0
		.amdhsa_exception_fp_ieee_div_zero 0
		.amdhsa_exception_fp_ieee_overflow 0
		.amdhsa_exception_fp_ieee_underflow 0
		.amdhsa_exception_fp_ieee_inexact 0
		.amdhsa_exception_int_div_zero 0
	.end_amdhsa_kernel
	.section	.text._ZN12_GLOBAL__N_120gemm_ex_scale_kernelILi32ELi32EDF16_PKDF16_PDF16_EEviiT1_T2_lllT3_llli,"axG",@progbits,_ZN12_GLOBAL__N_120gemm_ex_scale_kernelILi32ELi32EDF16_PKDF16_PDF16_EEviiT1_T2_lllT3_llli,comdat
.Lfunc_end1:
	.size	_ZN12_GLOBAL__N_120gemm_ex_scale_kernelILi32ELi32EDF16_PKDF16_PDF16_EEviiT1_T2_lllT3_llli, .Lfunc_end1-_ZN12_GLOBAL__N_120gemm_ex_scale_kernelILi32ELi32EDF16_PKDF16_PDF16_EEviiT1_T2_lllT3_llli
                                        ; -- End function
	.set _ZN12_GLOBAL__N_120gemm_ex_scale_kernelILi32ELi32EDF16_PKDF16_PDF16_EEviiT1_T2_lllT3_llli.num_vgpr, 8
	.set _ZN12_GLOBAL__N_120gemm_ex_scale_kernelILi32ELi32EDF16_PKDF16_PDF16_EEviiT1_T2_lllT3_llli.num_agpr, 0
	.set _ZN12_GLOBAL__N_120gemm_ex_scale_kernelILi32ELi32EDF16_PKDF16_PDF16_EEviiT1_T2_lllT3_llli.numbered_sgpr, 28
	.set _ZN12_GLOBAL__N_120gemm_ex_scale_kernelILi32ELi32EDF16_PKDF16_PDF16_EEviiT1_T2_lllT3_llli.num_named_barrier, 0
	.set _ZN12_GLOBAL__N_120gemm_ex_scale_kernelILi32ELi32EDF16_PKDF16_PDF16_EEviiT1_T2_lllT3_llli.private_seg_size, 0
	.set _ZN12_GLOBAL__N_120gemm_ex_scale_kernelILi32ELi32EDF16_PKDF16_PDF16_EEviiT1_T2_lllT3_llli.uses_vcc, 1
	.set _ZN12_GLOBAL__N_120gemm_ex_scale_kernelILi32ELi32EDF16_PKDF16_PDF16_EEviiT1_T2_lllT3_llli.uses_flat_scratch, 0
	.set _ZN12_GLOBAL__N_120gemm_ex_scale_kernelILi32ELi32EDF16_PKDF16_PDF16_EEviiT1_T2_lllT3_llli.has_dyn_sized_stack, 0
	.set _ZN12_GLOBAL__N_120gemm_ex_scale_kernelILi32ELi32EDF16_PKDF16_PDF16_EEviiT1_T2_lllT3_llli.has_recursion, 0
	.set _ZN12_GLOBAL__N_120gemm_ex_scale_kernelILi32ELi32EDF16_PKDF16_PDF16_EEviiT1_T2_lllT3_llli.has_indirect_call, 0
	.section	.AMDGPU.csdata,"",@progbits
; Kernel info:
; codeLenInByte = 368
; TotalNumSgprs: 30
; NumVgprs: 8
; ScratchSize: 0
; MemoryBound: 0
; FloatMode: 240
; IeeeMode: 1
; LDSByteSize: 0 bytes/workgroup (compile time only)
; SGPRBlocks: 0
; VGPRBlocks: 0
; NumSGPRsForWavesPerEU: 30
; NumVGPRsForWavesPerEU: 8
; Occupancy: 16
; WaveLimiterHint : 0
; COMPUTE_PGM_RSRC2:SCRATCH_EN: 0
; COMPUTE_PGM_RSRC2:USER_SGPR: 6
; COMPUTE_PGM_RSRC2:TRAP_HANDLER: 0
; COMPUTE_PGM_RSRC2:TGID_X_EN: 1
; COMPUTE_PGM_RSRC2:TGID_Y_EN: 1
; COMPUTE_PGM_RSRC2:TGID_Z_EN: 1
; COMPUTE_PGM_RSRC2:TIDIG_COMP_CNT: 1
	.section	.text._ZN12_GLOBAL__N_127rocblas_gemm_batched_kernelIDF16_Li16ELi16ELi64ELi64ELi4ELi64ELi4ELi4ELi64ELc78ELc78EKDF16_S1_DF16_EEvlllT_PT11_llS4_llS2_PT12_llPT13_lli,"axG",@progbits,_ZN12_GLOBAL__N_127rocblas_gemm_batched_kernelIDF16_Li16ELi16ELi64ELi64ELi4ELi64ELi4ELi4ELi64ELc78ELc78EKDF16_S1_DF16_EEvlllT_PT11_llS4_llS2_PT12_llPT13_lli,comdat
	.globl	_ZN12_GLOBAL__N_127rocblas_gemm_batched_kernelIDF16_Li16ELi16ELi64ELi64ELi4ELi64ELi4ELi4ELi64ELc78ELc78EKDF16_S1_DF16_EEvlllT_PT11_llS4_llS2_PT12_llPT13_lli ; -- Begin function _ZN12_GLOBAL__N_127rocblas_gemm_batched_kernelIDF16_Li16ELi16ELi64ELi64ELi4ELi64ELi4ELi4ELi64ELc78ELc78EKDF16_S1_DF16_EEvlllT_PT11_llS4_llS2_PT12_llPT13_lli
	.p2align	8
	.type	_ZN12_GLOBAL__N_127rocblas_gemm_batched_kernelIDF16_Li16ELi16ELi64ELi64ELi4ELi64ELi4ELi4ELi64ELc78ELc78EKDF16_S1_DF16_EEvlllT_PT11_llS4_llS2_PT12_llPT13_lli,@function
_ZN12_GLOBAL__N_127rocblas_gemm_batched_kernelIDF16_Li16ELi16ELi64ELi64ELi4ELi64ELi4ELi4ELi64ELc78ELc78EKDF16_S1_DF16_EEvlllT_PT11_llS4_llS2_PT12_llPT13_lli: ; @_ZN12_GLOBAL__N_127rocblas_gemm_batched_kernelIDF16_Li16ELi16ELi64ELi64ELi4ELi64ELi4ELi4ELi64ELc78ELc78EKDF16_S1_DF16_EEvlllT_PT11_llS4_llS2_PT12_llPT13_lli
; %bb.0:
	s_load_dwordx2 s[22:23], s[4:5], 0x10
	s_mov_b32 s0, s7
	s_ashr_i32 s7, s6, 31
	s_ashr_i32 s1, s0, 31
	s_lshl_b64 s[10:11], s[6:7], 6
	s_lshl_b64 s[20:21], s[0:1], 6
	s_waitcnt lgkmcnt(0)
	v_cmp_lt_i64_e64 s2, s[22:23], 1
	s_and_b32 vcc_lo, exec_lo, s2
	s_cbranch_vccnz .LBB2_3
; %bb.1:
	s_load_dwordx4 s[0:3], s[4:5], 0x40
	v_lshl_add_u32 v2, v1, 4, v0
	s_load_dwordx8 s[12:19], s[4:5], 0x20
	v_and_b32_e32 v3, 3, v0
	v_lshlrev_b32_e32 v14, 1, v0
	v_lshl_add_u32 v15, v1, 3, 0x200
	v_lshrrev_b32_e32 v4, 2, v2
	v_and_b32_e32 v7, 63, v2
	v_lshlrev_b32_e32 v8, 1, v3
	v_lshrrev_b32_e32 v6, 6, v2
	v_mov_b32_e32 v13, 0
	v_add_co_u32 v3, s6, v4, s20
	v_add_co_ci_u32_e64 v5, null, 0, s21, s6
	v_lshl_or_b32 v10, v4, 3, v8
	v_lshlrev_b32_e32 v9, 1, v7
	v_add_nc_u32_e32 v17, 0x200, v10
	s_waitcnt lgkmcnt(0)
	v_mul_lo_u32 v11, s1, v3
	v_mul_lo_u32 v12, s0, v5
	v_mad_u64_u32 v[2:3], null, s0, v3, 0
	v_mad_u64_u32 v[4:5], null, s14, v6, s[10:11]
	s_mul_i32 s1, s3, s8
	s_mul_hi_u32 s3, s2, s8
	v_lshl_or_b32 v16, v6, 7, v9
	s_mul_i32 s0, s2, s8
	v_add3_u32 v3, v3, v12, v11
	s_add_i32 s1, s3, s1
	v_mad_u64_u32 v[5:6], null, s15, v6, v[5:6]
	s_lshl_b64 s[0:1], s[0:1], 1
	v_lshlrev_b64 v[2:3], 1, v[2:3]
	s_mul_i32 s2, s17, s8
	s_mul_hi_u32 s3, s16, s8
	v_mov_b32_e32 v10, 0
	v_mov_b32_e32 v11, 0
	;; [unrolled: 1-line block ×3, first 2 shown]
	v_add_co_u32 v6, vcc_lo, v2, s0
	v_add_co_ci_u32_e64 v9, null, s1, v3, vcc_lo
	v_add_co_u32 v2, vcc_lo, v4, v7
	v_add_co_ci_u32_e64 v3, null, 0, v5, vcc_lo
	v_add_co_u32 v6, vcc_lo, v6, v8
	s_add_i32 s1, s3, s2
	s_mul_i32 s0, s16, s8
	v_lshlrev_b64 v[4:5], 1, v[2:3]
	v_add_co_ci_u32_e64 v7, null, 0, v9, vcc_lo
	s_lshl_b64 s[0:1], s[0:1], 1
	v_add_co_u32 v2, vcc_lo, s18, v6
	s_add_u32 s0, s12, s0
	v_add_co_ci_u32_e64 v3, null, s19, v7, vcc_lo
	s_addc_u32 s1, s13, s1
	v_add_co_u32 v4, vcc_lo, s0, v4
	v_add_co_ci_u32_e64 v5, null, s1, v5, vcc_lo
	v_mov_b32_e32 v6, 0
	v_mov_b32_e32 v7, 0
	v_mov_b32_e32 v8, 0
	v_mov_b32_e32 v9, 0
	s_lshl_b64 s[0:1], s[14:15], 3
	s_mov_b64 s[2:3], 0
.LBB2_2:                                ; =>This Inner Loop Header: Depth=1
	global_load_ushort v18, v[4:5], off
	global_load_ushort v19, v[2:3], off
	s_add_u32 s2, s2, 4
	s_addc_u32 s3, s3, 0
	v_add_co_u32 v2, vcc_lo, v2, 8
	v_cmp_lt_i64_e64 s6, s[2:3], s[22:23]
	v_add_co_ci_u32_e64 v3, null, 0, v3, vcc_lo
	v_add_co_u32 v4, vcc_lo, v4, s0
	v_add_co_ci_u32_e64 v5, null, s1, v5, vcc_lo
	s_and_b32 vcc_lo, exec_lo, s6
	s_waitcnt vmcnt(1)
	ds_write_b16 v16, v18
	s_waitcnt vmcnt(0)
	ds_write_b16 v17, v19
	s_waitcnt lgkmcnt(0)
	s_barrier
	buffer_gl0_inv
	ds_read_u16 v26, v14 offset:32
	ds_read_u16 v27, v14 offset:96
	;; [unrolled: 1-line block ×8, first 2 shown]
	ds_read2_b64 v[18:21], v15 offset1:16
	ds_read2_b64 v[22:25], v15 offset0:32 offset1:48
	s_waitcnt lgkmcnt(9)
	ds_read_u16_d16_hi v26, v14
	s_waitcnt lgkmcnt(9)
	ds_read_u16_d16_hi v27, v14 offset:64
	s_waitcnt lgkmcnt(9)
	ds_read_u16_d16_hi v28, v14 offset:128
	;; [unrolled: 2-line block ×7, first 2 shown]
	s_waitcnt lgkmcnt(0)
	s_barrier
	buffer_gl0_inv
	v_pk_fma_f16 v13, v26, v18, v13 op_sel_hi:[1,0,1]
	v_pk_fma_f16 v12, v27, v18, v12 op_sel_hi:[1,0,1]
	;; [unrolled: 1-line block ×8, first 2 shown]
	v_pk_fma_f16 v13, v28, v18, v13 op_sel:[0,1,0]
	v_pk_fma_f16 v12, v29, v18, v12 op_sel:[0,1,0]
	v_pk_fma_f16 v11, v28, v20, v11 op_sel:[0,1,0]
	v_pk_fma_f16 v10, v29, v20, v10 op_sel:[0,1,0]
	v_pk_fma_f16 v9, v28, v22, v9 op_sel:[0,1,0]
	v_pk_fma_f16 v8, v29, v22, v8 op_sel:[0,1,0]
	v_pk_fma_f16 v7, v28, v24, v7 op_sel:[0,1,0]
	v_pk_fma_f16 v6, v29, v24, v6 op_sel:[0,1,0]
	v_pk_fma_f16 v13, v30, v19, v13 op_sel_hi:[1,0,1]
	v_pk_fma_f16 v12, v31, v19, v12 op_sel_hi:[1,0,1]
	;; [unrolled: 1-line block ×8, first 2 shown]
	v_pk_fma_f16 v13, v32, v19, v13 op_sel:[0,1,0]
	v_pk_fma_f16 v12, v33, v19, v12 op_sel:[0,1,0]
	;; [unrolled: 1-line block ×8, first 2 shown]
	s_cbranch_vccnz .LBB2_2
	s_branch .LBB2_4
.LBB2_3:
	v_mov_b32_e32 v13, 0
	v_mov_b32_e32 v12, 0
	;; [unrolled: 1-line block ×8, first 2 shown]
.LBB2_4:
	s_clause 0x3
	s_load_dwordx4 s[12:15], s[4:5], 0x78
	s_load_dword s16, s[4:5], 0x50
	s_load_dword s9, s[4:5], 0x18
	s_load_dwordx8 s[0:7], s[4:5], 0x58
	v_add_co_u32 v17, s17, s20, v1
	v_add_co_ci_u32_e64 v21, null, s21, 0, s17
	v_add_co_u32 v0, s10, s10, v0
	v_add_co_ci_u32_e64 v1, null, s11, 0, s10
	v_lshrrev_b32_e32 v18, 16, v13
	v_lshrrev_b32_e32 v16, 16, v12
	;; [unrolled: 1-line block ×3, first 2 shown]
	v_lshlrev_b64 v[0:1], 1, v[0:1]
	v_lshrrev_b32_e32 v14, 16, v10
	v_lshrrev_b32_e32 v5, 16, v9
	;; [unrolled: 1-line block ×4, first 2 shown]
	s_waitcnt lgkmcnt(0)
	s_mul_i32 s11, s15, s8
	s_mul_hi_u32 s15, s14, s8
	v_mul_lo_u32 v19, v21, s12
	v_mul_lo_u32 v20, v17, s13
	s_mul_i32 s10, s14, s8
	v_cmp_neq_f16_e64 s14, s16, 0
	s_add_i32 s11, s15, s11
	v_lshrrev_b32_e32 v2, 16, v6
	s_lshl_b64 s[10:11], s[10:11], 1
	s_add_u32 s6, s6, s10
	s_addc_u32 s7, s7, s11
	s_and_b32 vcc_lo, exec_lo, s14
	s_mov_b32 s10, 0
	s_cbranch_vccnz .LBB2_8
; %bb.5:
	v_mad_u64_u32 v[22:23], null, v17, s12, 0
	s_lshl_b64 s[14:15], s[12:13], 5
	v_mul_f16_sdwa v26, s9, v13 dst_sel:DWORD dst_unused:UNUSED_PAD src0_sel:DWORD src1_sel:WORD_1
	v_mul_f16_e32 v27, s9, v13
	v_mul_f16_sdwa v28, s9, v12 dst_sel:DWORD dst_unused:UNUSED_PAD src0_sel:DWORD src1_sel:WORD_1
	v_mul_f16_e32 v29, s9, v12
	v_mul_f16_sdwa v30, s9, v11 dst_sel:DWORD dst_unused:UNUSED_PAD src0_sel:DWORD src1_sel:WORD_1
	v_add3_u32 v23, v23, v20, v19
	v_mul_f16_e32 v31, s9, v11
	v_mul_f16_sdwa v32, s9, v10 dst_sel:DWORD dst_unused:UNUSED_PAD src0_sel:DWORD src1_sel:WORD_1
	v_mul_f16_e32 v33, s9, v10
	v_lshlrev_b64 v[22:23], 1, v[22:23]
	v_add_co_u32 v22, vcc_lo, s6, v22
	v_add_co_ci_u32_e64 v23, null, s7, v23, vcc_lo
	v_add_co_u32 v34, vcc_lo, v22, s14
	v_add_co_ci_u32_e64 v35, null, s15, v23, vcc_lo
	;; [unrolled: 2-line block ×4, first 2 shown]
	global_store_short v[22:23], v26, off
	global_store_short v[22:23], v27, off offset:32
	global_store_short v[22:23], v28, off offset:64
	;; [unrolled: 1-line block ×3, first 2 shown]
	global_store_short v[24:25], v30, off
	global_store_short v[24:25], v31, off offset:32
	v_add_co_u32 v26, vcc_lo, v34, s14
	v_add_co_ci_u32_e64 v27, null, s15, v35, vcc_lo
	v_mul_f16_sdwa v28, s9, v9 dst_sel:DWORD dst_unused:UNUSED_PAD src0_sel:DWORD src1_sel:WORD_1
	v_add_co_u32 v22, vcc_lo, v26, v0
	v_add_co_ci_u32_e64 v23, null, v27, v1, vcc_lo
	v_mul_f16_e32 v29, s9, v9
	v_mul_f16_sdwa v30, s9, v8 dst_sel:DWORD dst_unused:UNUSED_PAD src0_sel:DWORD src1_sel:WORD_1
	global_store_short v[24:25], v32, off offset:64
	global_store_short v[24:25], v33, off offset:96
	global_store_short v[22:23], v28, off
	global_store_short v[22:23], v29, off offset:32
	global_store_short v[22:23], v30, off offset:64
	v_add_co_u32 v24, vcc_lo, v26, s14
	v_add_co_ci_u32_e64 v25, null, s15, v27, vcc_lo
	v_mul_f16_e32 v28, s9, v8
	v_add_co_u32 v24, vcc_lo, v24, v0
	v_mul_f16_sdwa v26, s9, v7 dst_sel:DWORD dst_unused:UNUSED_PAD src0_sel:DWORD src1_sel:WORD_1
	v_add_co_ci_u32_e64 v25, null, v25, v1, vcc_lo
	v_mul_f16_e32 v27, s9, v7
	v_mul_f16_sdwa v29, s9, v6 dst_sel:DWORD dst_unused:UNUSED_PAD src0_sel:DWORD src1_sel:WORD_1
	v_mul_f16_e32 v30, s9, v6
	global_store_short v[22:23], v28, off offset:96
	global_store_short v[24:25], v26, off
	global_store_short v[24:25], v27, off offset:32
	global_store_short v[24:25], v29, off offset:64
	;; [unrolled: 1-line block ×3, first 2 shown]
	s_andn2_b32 vcc_lo, exec_lo, s10
	s_cbranch_vccnz .LBB2_7
.LBB2_6:
	v_mul_lo_u32 v23, v21, s2
	v_mul_lo_u32 v24, v17, s3
	v_mad_u64_u32 v[21:22], null, v17, s2, 0
	s_mul_i32 s5, s5, s8
	s_mul_hi_u32 s10, s4, s8
	s_mul_i32 s4, s4, s8
	s_add_i32 s5, s10, s5
	s_lshl_b64 s[4:5], s[4:5], 1
	v_add3_u32 v22, v22, v24, v23
	s_add_u32 s0, s0, s4
	s_addc_u32 s1, s1, s5
	v_mad_u64_u32 v[23:24], null, v17, s12, 0
	v_lshlrev_b64 v[21:22], 1, v[21:22]
	v_add3_u32 v24, v24, v20, v19
	v_add_co_u32 v25, vcc_lo, s0, v21
	v_add_co_ci_u32_e64 v26, null, s1, v22, vcc_lo
	v_lshlrev_b64 v[19:20], 1, v[23:24]
	v_add_co_u32 v21, vcc_lo, v25, v0
	v_add_co_ci_u32_e64 v22, null, v26, v1, vcc_lo
	s_lshl_b64 s[0:1], s[2:3], 5
	v_add_co_u32 v17, vcc_lo, s6, v19
	global_load_ushort v27, v[21:22], off
	v_add_co_ci_u32_e64 v23, null, s7, v20, vcc_lo
	v_add_co_u32 v19, vcc_lo, v17, v0
	s_lshl_b64 s[2:3], s[12:13], 5
	v_add_co_ci_u32_e64 v20, null, v23, v1, vcc_lo
	s_waitcnt vmcnt(0)
	v_mul_f16_e32 v24, s16, v27
	v_fmac_f16_e32 v24, s9, v18
	global_store_short v[19:20], v24, off
	global_load_ushort v18, v[21:22], off offset:32
	s_waitcnt vmcnt(0)
	v_mul_f16_e32 v18, s16, v18
	v_fmac_f16_e32 v18, s9, v13
	global_store_short v[19:20], v18, off offset:32
	global_load_ushort v13, v[21:22], off offset:64
	v_add_co_u32 v18, vcc_lo, v25, s0
	s_waitcnt vmcnt(0)
	v_mul_f16_e32 v13, s16, v13
	v_fmac_f16_e32 v13, s9, v16
	global_store_short v[19:20], v13, off offset:64
	global_load_ushort v13, v[21:22], off offset:96
	v_add_co_ci_u32_e64 v21, null, s1, v26, vcc_lo
	s_waitcnt vmcnt(0)
	v_mul_f16_e32 v16, s16, v13
	v_fmac_f16_e32 v16, s9, v12
	v_add_co_u32 v12, vcc_lo, v18, v0
	v_add_co_ci_u32_e64 v13, null, v21, v1, vcc_lo
	global_store_short v[19:20], v16, off offset:96
	v_add_co_u32 v19, vcc_lo, v17, s2
	global_load_ushort v16, v[12:13], off
	v_add_co_ci_u32_e64 v20, null, s3, v23, vcc_lo
	s_waitcnt vmcnt(0)
	v_mul_f16_e32 v22, s16, v16
	v_add_co_u32 v16, vcc_lo, v19, v0
	v_add_co_ci_u32_e64 v17, null, v20, v1, vcc_lo
	v_fmac_f16_e32 v22, s9, v15
	global_store_short v[16:17], v22, off
	global_load_ushort v15, v[12:13], off offset:32
	s_waitcnt vmcnt(0)
	v_mul_f16_e32 v15, s16, v15
	v_fmac_f16_e32 v15, s9, v11
	global_store_short v[16:17], v15, off offset:32
	global_load_ushort v11, v[12:13], off offset:64
	s_waitcnt vmcnt(0)
	v_mul_f16_e32 v11, s16, v11
	v_fmac_f16_e32 v11, s9, v14
	v_add_co_u32 v14, vcc_lo, v18, s0
	v_add_co_ci_u32_e64 v15, null, s1, v21, vcc_lo
	global_store_short v[16:17], v11, off offset:64
	global_load_ushort v11, v[12:13], off offset:96
	s_waitcnt vmcnt(0)
	v_mul_f16_e32 v12, s16, v11
	v_fmac_f16_e32 v12, s9, v10
	v_add_co_u32 v10, vcc_lo, v14, v0
	v_add_co_ci_u32_e64 v11, null, v15, v1, vcc_lo
	global_store_short v[16:17], v12, off offset:96
	v_add_co_u32 v16, vcc_lo, v19, s2
	global_load_ushort v12, v[10:11], off
	v_add_co_ci_u32_e64 v17, null, s3, v20, vcc_lo
	s_waitcnt vmcnt(0)
	v_mul_f16_e32 v18, s16, v12
	v_add_co_u32 v12, vcc_lo, v16, v0
	v_add_co_ci_u32_e64 v13, null, v17, v1, vcc_lo
	v_fmac_f16_e32 v18, s9, v5
	global_store_short v[12:13], v18, off
	global_load_ushort v5, v[10:11], off offset:32
	s_waitcnt vmcnt(0)
	v_mul_f16_e32 v5, s16, v5
	v_fmac_f16_e32 v5, s9, v9
	global_store_short v[12:13], v5, off offset:32
	global_load_ushort v5, v[10:11], off offset:64
	s_waitcnt vmcnt(0)
	v_mul_f16_e32 v5, s16, v5
	v_fmac_f16_e32 v5, s9, v4
	global_store_short v[12:13], v5, off offset:64
	global_load_ushort v4, v[10:11], off offset:96
	s_waitcnt vmcnt(0)
	v_mul_f16_e32 v9, s16, v4
	v_add_co_u32 v4, vcc_lo, v14, s0
	v_add_co_ci_u32_e64 v5, null, s1, v15, vcc_lo
	v_fmac_f16_e32 v9, s9, v8
	v_add_co_u32 v4, vcc_lo, v4, v0
	v_add_co_ci_u32_e64 v5, null, v5, v1, vcc_lo
	global_store_short v[12:13], v9, off offset:96
	v_add_co_u32 v9, vcc_lo, v16, s2
	global_load_ushort v8, v[4:5], off
	v_add_co_ci_u32_e64 v10, null, s3, v17, vcc_lo
	v_add_co_u32 v0, vcc_lo, v9, v0
	v_add_co_ci_u32_e64 v1, null, v10, v1, vcc_lo
	s_waitcnt vmcnt(0)
	v_mul_f16_e32 v8, s16, v8
	v_fmac_f16_e32 v8, s9, v3
	global_store_short v[0:1], v8, off
	global_load_ushort v3, v[4:5], off offset:32
	s_waitcnt vmcnt(0)
	v_mul_f16_e32 v3, s16, v3
	v_fmac_f16_e32 v3, s9, v7
	global_store_short v[0:1], v3, off offset:32
	global_load_ushort v3, v[4:5], off offset:64
	s_waitcnt vmcnt(0)
	v_mul_f16_e32 v3, s16, v3
	v_fmac_f16_e32 v3, s9, v2
	global_store_short v[0:1], v3, off offset:64
	;; [unrolled: 5-line block ×3, first 2 shown]
.LBB2_7:
	s_endpgm
.LBB2_8:
	s_branch .LBB2_6
	.section	.rodata,"a",@progbits
	.p2align	6, 0x0
	.amdhsa_kernel _ZN12_GLOBAL__N_127rocblas_gemm_batched_kernelIDF16_Li16ELi16ELi64ELi64ELi4ELi64ELi4ELi4ELi64ELc78ELc78EKDF16_S1_DF16_EEvlllT_PT11_llS4_llS2_PT12_llPT13_lli
		.amdhsa_group_segment_fixed_size 1024
		.amdhsa_private_segment_fixed_size 0
		.amdhsa_kernarg_size 140
		.amdhsa_user_sgpr_count 6
		.amdhsa_user_sgpr_private_segment_buffer 1
		.amdhsa_user_sgpr_dispatch_ptr 0
		.amdhsa_user_sgpr_queue_ptr 0
		.amdhsa_user_sgpr_kernarg_segment_ptr 1
		.amdhsa_user_sgpr_dispatch_id 0
		.amdhsa_user_sgpr_flat_scratch_init 0
		.amdhsa_user_sgpr_private_segment_size 0
		.amdhsa_wavefront_size32 1
		.amdhsa_uses_dynamic_stack 0
		.amdhsa_system_sgpr_private_segment_wavefront_offset 0
		.amdhsa_system_sgpr_workgroup_id_x 1
		.amdhsa_system_sgpr_workgroup_id_y 1
		.amdhsa_system_sgpr_workgroup_id_z 1
		.amdhsa_system_sgpr_workgroup_info 0
		.amdhsa_system_vgpr_workitem_id 1
		.amdhsa_next_free_vgpr 36
		.amdhsa_next_free_sgpr 24
		.amdhsa_reserve_vcc 1
		.amdhsa_reserve_flat_scratch 0
		.amdhsa_float_round_mode_32 0
		.amdhsa_float_round_mode_16_64 0
		.amdhsa_float_denorm_mode_32 3
		.amdhsa_float_denorm_mode_16_64 3
		.amdhsa_dx10_clamp 1
		.amdhsa_ieee_mode 1
		.amdhsa_fp16_overflow 0
		.amdhsa_workgroup_processor_mode 1
		.amdhsa_memory_ordered 1
		.amdhsa_forward_progress 1
		.amdhsa_shared_vgpr_count 0
		.amdhsa_exception_fp_ieee_invalid_op 0
		.amdhsa_exception_fp_denorm_src 0
		.amdhsa_exception_fp_ieee_div_zero 0
		.amdhsa_exception_fp_ieee_overflow 0
		.amdhsa_exception_fp_ieee_underflow 0
		.amdhsa_exception_fp_ieee_inexact 0
		.amdhsa_exception_int_div_zero 0
	.end_amdhsa_kernel
	.section	.text._ZN12_GLOBAL__N_127rocblas_gemm_batched_kernelIDF16_Li16ELi16ELi64ELi64ELi4ELi64ELi4ELi4ELi64ELc78ELc78EKDF16_S1_DF16_EEvlllT_PT11_llS4_llS2_PT12_llPT13_lli,"axG",@progbits,_ZN12_GLOBAL__N_127rocblas_gemm_batched_kernelIDF16_Li16ELi16ELi64ELi64ELi4ELi64ELi4ELi4ELi64ELc78ELc78EKDF16_S1_DF16_EEvlllT_PT11_llS4_llS2_PT12_llPT13_lli,comdat
.Lfunc_end2:
	.size	_ZN12_GLOBAL__N_127rocblas_gemm_batched_kernelIDF16_Li16ELi16ELi64ELi64ELi4ELi64ELi4ELi4ELi64ELc78ELc78EKDF16_S1_DF16_EEvlllT_PT11_llS4_llS2_PT12_llPT13_lli, .Lfunc_end2-_ZN12_GLOBAL__N_127rocblas_gemm_batched_kernelIDF16_Li16ELi16ELi64ELi64ELi4ELi64ELi4ELi4ELi64ELc78ELc78EKDF16_S1_DF16_EEvlllT_PT11_llS4_llS2_PT12_llPT13_lli
                                        ; -- End function
	.set _ZN12_GLOBAL__N_127rocblas_gemm_batched_kernelIDF16_Li16ELi16ELi64ELi64ELi4ELi64ELi4ELi4ELi64ELc78ELc78EKDF16_S1_DF16_EEvlllT_PT11_llS4_llS2_PT12_llPT13_lli.num_vgpr, 36
	.set _ZN12_GLOBAL__N_127rocblas_gemm_batched_kernelIDF16_Li16ELi16ELi64ELi64ELi4ELi64ELi4ELi4ELi64ELc78ELc78EKDF16_S1_DF16_EEvlllT_PT11_llS4_llS2_PT12_llPT13_lli.num_agpr, 0
	.set _ZN12_GLOBAL__N_127rocblas_gemm_batched_kernelIDF16_Li16ELi16ELi64ELi64ELi4ELi64ELi4ELi4ELi64ELc78ELc78EKDF16_S1_DF16_EEvlllT_PT11_llS4_llS2_PT12_llPT13_lli.numbered_sgpr, 24
	.set _ZN12_GLOBAL__N_127rocblas_gemm_batched_kernelIDF16_Li16ELi16ELi64ELi64ELi4ELi64ELi4ELi4ELi64ELc78ELc78EKDF16_S1_DF16_EEvlllT_PT11_llS4_llS2_PT12_llPT13_lli.num_named_barrier, 0
	.set _ZN12_GLOBAL__N_127rocblas_gemm_batched_kernelIDF16_Li16ELi16ELi64ELi64ELi4ELi64ELi4ELi4ELi64ELc78ELc78EKDF16_S1_DF16_EEvlllT_PT11_llS4_llS2_PT12_llPT13_lli.private_seg_size, 0
	.set _ZN12_GLOBAL__N_127rocblas_gemm_batched_kernelIDF16_Li16ELi16ELi64ELi64ELi4ELi64ELi4ELi4ELi64ELc78ELc78EKDF16_S1_DF16_EEvlllT_PT11_llS4_llS2_PT12_llPT13_lli.uses_vcc, 1
	.set _ZN12_GLOBAL__N_127rocblas_gemm_batched_kernelIDF16_Li16ELi16ELi64ELi64ELi4ELi64ELi4ELi4ELi64ELc78ELc78EKDF16_S1_DF16_EEvlllT_PT11_llS4_llS2_PT12_llPT13_lli.uses_flat_scratch, 0
	.set _ZN12_GLOBAL__N_127rocblas_gemm_batched_kernelIDF16_Li16ELi16ELi64ELi64ELi4ELi64ELi4ELi4ELi64ELc78ELc78EKDF16_S1_DF16_EEvlllT_PT11_llS4_llS2_PT12_llPT13_lli.has_dyn_sized_stack, 0
	.set _ZN12_GLOBAL__N_127rocblas_gemm_batched_kernelIDF16_Li16ELi16ELi64ELi64ELi4ELi64ELi4ELi4ELi64ELc78ELc78EKDF16_S1_DF16_EEvlllT_PT11_llS4_llS2_PT12_llPT13_lli.has_recursion, 0
	.set _ZN12_GLOBAL__N_127rocblas_gemm_batched_kernelIDF16_Li16ELi16ELi64ELi64ELi4ELi64ELi4ELi4ELi64ELc78ELc78EKDF16_S1_DF16_EEvlllT_PT11_llS4_llS2_PT12_llPT13_lli.has_indirect_call, 0
	.section	.AMDGPU.csdata,"",@progbits
; Kernel info:
; codeLenInByte = 2360
; TotalNumSgprs: 26
; NumVgprs: 36
; ScratchSize: 0
; MemoryBound: 0
; FloatMode: 240
; IeeeMode: 1
; LDSByteSize: 1024 bytes/workgroup (compile time only)
; SGPRBlocks: 0
; VGPRBlocks: 4
; NumSGPRsForWavesPerEU: 26
; NumVGPRsForWavesPerEU: 36
; Occupancy: 16
; WaveLimiterHint : 0
; COMPUTE_PGM_RSRC2:SCRATCH_EN: 0
; COMPUTE_PGM_RSRC2:USER_SGPR: 6
; COMPUTE_PGM_RSRC2:TRAP_HANDLER: 0
; COMPUTE_PGM_RSRC2:TGID_X_EN: 1
; COMPUTE_PGM_RSRC2:TGID_Y_EN: 1
; COMPUTE_PGM_RSRC2:TGID_Z_EN: 1
; COMPUTE_PGM_RSRC2:TIDIG_COMP_CNT: 1
	.section	.text._ZN12_GLOBAL__N_127rocblas_gemm_batched_kernelIDF16_Li16ELi16ELi64ELi64ELi4ELi64ELi4ELi4ELi64ELc84ELc78EKDF16_S1_DF16_EEvlllT_PT11_llS4_llS2_PT12_llPT13_lli,"axG",@progbits,_ZN12_GLOBAL__N_127rocblas_gemm_batched_kernelIDF16_Li16ELi16ELi64ELi64ELi4ELi64ELi4ELi4ELi64ELc84ELc78EKDF16_S1_DF16_EEvlllT_PT11_llS4_llS2_PT12_llPT13_lli,comdat
	.globl	_ZN12_GLOBAL__N_127rocblas_gemm_batched_kernelIDF16_Li16ELi16ELi64ELi64ELi4ELi64ELi4ELi4ELi64ELc84ELc78EKDF16_S1_DF16_EEvlllT_PT11_llS4_llS2_PT12_llPT13_lli ; -- Begin function _ZN12_GLOBAL__N_127rocblas_gemm_batched_kernelIDF16_Li16ELi16ELi64ELi64ELi4ELi64ELi4ELi4ELi64ELc84ELc78EKDF16_S1_DF16_EEvlllT_PT11_llS4_llS2_PT12_llPT13_lli
	.p2align	8
	.type	_ZN12_GLOBAL__N_127rocblas_gemm_batched_kernelIDF16_Li16ELi16ELi64ELi64ELi4ELi64ELi4ELi4ELi64ELc84ELc78EKDF16_S1_DF16_EEvlllT_PT11_llS4_llS2_PT12_llPT13_lli,@function
_ZN12_GLOBAL__N_127rocblas_gemm_batched_kernelIDF16_Li16ELi16ELi64ELi64ELi4ELi64ELi4ELi4ELi64ELc84ELc78EKDF16_S1_DF16_EEvlllT_PT11_llS4_llS2_PT12_llPT13_lli: ; @_ZN12_GLOBAL__N_127rocblas_gemm_batched_kernelIDF16_Li16ELi16ELi64ELi64ELi4ELi64ELi4ELi4ELi64ELc84ELc78EKDF16_S1_DF16_EEvlllT_PT11_llS4_llS2_PT12_llPT13_lli
; %bb.0:
	s_load_dwordx2 s[22:23], s[4:5], 0x10
	s_mov_b32 s0, s7
	s_ashr_i32 s7, s6, 31
	s_ashr_i32 s1, s0, 31
	s_lshl_b64 s[10:11], s[6:7], 6
	s_lshl_b64 s[20:21], s[0:1], 6
	s_waitcnt lgkmcnt(0)
	v_cmp_lt_i64_e64 s2, s[22:23], 1
	s_and_b32 vcc_lo, exec_lo, s2
	s_cbranch_vccnz .LBB3_3
; %bb.1:
	s_load_dwordx4 s[0:3], s[4:5], 0x40
	v_lshl_add_u32 v2, v1, 4, v0
	s_load_dwordx8 s[12:19], s[4:5], 0x20
	v_and_b32_e32 v3, 3, v0
	v_lshlrev_b32_e32 v16, 1, v0
	v_lshl_add_u32 v17, v1, 3, 0x200
	v_lshrrev_b32_e32 v4, 2, v2
	v_and_b32_e32 v5, 63, v2
	v_lshrrev_b32_e32 v6, 6, v2
	v_lshlrev_b32_e32 v7, 1, v3
	v_mov_b32_e32 v12, 0
	v_add_co_u32 v2, s6, v4, s20
	v_add_co_ci_u32_e64 v3, null, 0, s21, s6
	v_lshlrev_b32_e32 v8, 1, v5
	v_add_co_u32 v5, s6, s10, v5
	v_lshl_or_b32 v4, v4, 3, v7
	v_add_co_ci_u32_e64 v9, null, s11, 0, s6
	s_waitcnt lgkmcnt(0)
	v_mul_lo_u32 v10, s1, v2
	v_mul_lo_u32 v11, s0, v3
	v_mad_u64_u32 v[2:3], null, s0, v2, 0
	v_lshl_or_b32 v14, v6, 7, v8
	v_add_nc_u32_e32 v15, 0x200, v4
	v_mul_lo_u32 v8, s15, v5
	v_mul_lo_u32 v9, s14, v9
	v_mad_u64_u32 v[4:5], null, s14, v5, 0
	v_add3_u32 v3, v3, v11, v10
	s_mul_i32 s0, s3, s8
	s_mul_hi_u32 s1, s2, s8
	s_mul_hi_u32 s3, s16, s8
	s_add_i32 s1, s1, s0
	v_lshlrev_b64 v[2:3], 1, v[2:3]
	v_add3_u32 v5, v5, v9, v8
	s_mul_i32 s0, s2, s8
	s_mul_i32 s2, s17, s8
	s_lshl_b64 s[0:1], s[0:1], 1
	s_add_i32 s3, s3, s2
	v_lshlrev_b64 v[4:5], 1, v[4:5]
	s_mul_i32 s2, s16, s8
	v_add_co_u32 v2, vcc_lo, v2, s0
	v_add_co_ci_u32_e64 v3, null, s1, v3, vcc_lo
	s_lshl_b64 s[0:1], s[2:3], 1
	v_lshlrev_b32_e32 v6, 1, v6
	v_add_co_u32 v4, vcc_lo, v4, s0
	v_add_co_ci_u32_e64 v5, null, s1, v5, vcc_lo
	v_add_co_u32 v2, vcc_lo, v2, v7
	v_add_co_ci_u32_e64 v3, null, 0, v3, vcc_lo
	;; [unrolled: 2-line block ×5, first 2 shown]
	v_mov_b32_e32 v6, 0
	v_mov_b32_e32 v7, 0
	;; [unrolled: 1-line block ×7, first 2 shown]
	s_mov_b64 s[0:1], 0
.LBB3_2:                                ; =>This Inner Loop Header: Depth=1
	global_load_ushort v18, v[4:5], off
	global_load_ushort v19, v[2:3], off
	s_add_u32 s0, s0, 4
	s_addc_u32 s1, s1, 0
	v_add_co_u32 v2, vcc_lo, v2, 8
	v_cmp_lt_i64_e64 s2, s[0:1], s[22:23]
	v_add_co_ci_u32_e64 v3, null, 0, v3, vcc_lo
	v_add_co_u32 v4, vcc_lo, v4, 8
	v_add_co_ci_u32_e64 v5, null, 0, v5, vcc_lo
	s_and_b32 vcc_lo, exec_lo, s2
	s_waitcnt vmcnt(1)
	ds_write_b16 v14, v18
	s_waitcnt vmcnt(0)
	ds_write_b16 v15, v19
	s_waitcnt lgkmcnt(0)
	s_barrier
	buffer_gl0_inv
	ds_read_u16 v26, v16 offset:32
	ds_read_u16 v27, v16 offset:96
	;; [unrolled: 1-line block ×8, first 2 shown]
	ds_read2_b64 v[18:21], v17 offset1:16
	ds_read2_b64 v[22:25], v17 offset0:32 offset1:48
	s_waitcnt lgkmcnt(9)
	ds_read_u16_d16_hi v26, v16
	s_waitcnt lgkmcnt(9)
	ds_read_u16_d16_hi v27, v16 offset:64
	s_waitcnt lgkmcnt(9)
	ds_read_u16_d16_hi v28, v16 offset:128
	;; [unrolled: 2-line block ×7, first 2 shown]
	s_waitcnt lgkmcnt(0)
	s_barrier
	buffer_gl0_inv
	v_pk_fma_f16 v13, v26, v18, v13 op_sel_hi:[1,0,1]
	v_pk_fma_f16 v12, v27, v18, v12 op_sel_hi:[1,0,1]
	;; [unrolled: 1-line block ×8, first 2 shown]
	v_pk_fma_f16 v13, v28, v18, v13 op_sel:[0,1,0]
	v_pk_fma_f16 v12, v29, v18, v12 op_sel:[0,1,0]
	;; [unrolled: 1-line block ×8, first 2 shown]
	v_pk_fma_f16 v13, v30, v19, v13 op_sel_hi:[1,0,1]
	v_pk_fma_f16 v12, v31, v19, v12 op_sel_hi:[1,0,1]
	;; [unrolled: 1-line block ×8, first 2 shown]
	v_pk_fma_f16 v13, v32, v19, v13 op_sel:[0,1,0]
	v_pk_fma_f16 v12, v33, v19, v12 op_sel:[0,1,0]
	;; [unrolled: 1-line block ×8, first 2 shown]
	s_cbranch_vccnz .LBB3_2
	s_branch .LBB3_4
.LBB3_3:
	v_mov_b32_e32 v13, 0
	v_mov_b32_e32 v12, 0
	;; [unrolled: 1-line block ×8, first 2 shown]
.LBB3_4:
	s_clause 0x3
	s_load_dwordx4 s[12:15], s[4:5], 0x78
	s_load_dword s16, s[4:5], 0x50
	s_load_dword s9, s[4:5], 0x18
	s_load_dwordx8 s[0:7], s[4:5], 0x58
	v_add_co_u32 v17, s17, s20, v1
	v_add_co_ci_u32_e64 v21, null, s21, 0, s17
	v_add_co_u32 v0, s10, s10, v0
	v_add_co_ci_u32_e64 v1, null, s11, 0, s10
	v_lshrrev_b32_e32 v18, 16, v13
	v_lshrrev_b32_e32 v16, 16, v12
	v_lshrrev_b32_e32 v15, 16, v11
	v_lshlrev_b64 v[0:1], 1, v[0:1]
	v_lshrrev_b32_e32 v14, 16, v10
	v_lshrrev_b32_e32 v5, 16, v9
	;; [unrolled: 1-line block ×4, first 2 shown]
	s_waitcnt lgkmcnt(0)
	s_mul_i32 s11, s15, s8
	s_mul_hi_u32 s15, s14, s8
	v_mul_lo_u32 v19, v21, s12
	v_mul_lo_u32 v20, v17, s13
	s_mul_i32 s10, s14, s8
	v_cmp_neq_f16_e64 s14, s16, 0
	s_add_i32 s11, s15, s11
	v_lshrrev_b32_e32 v2, 16, v6
	s_lshl_b64 s[10:11], s[10:11], 1
	s_add_u32 s6, s6, s10
	s_addc_u32 s7, s7, s11
	s_and_b32 vcc_lo, exec_lo, s14
	s_mov_b32 s10, 0
	s_cbranch_vccnz .LBB3_8
; %bb.5:
	v_mad_u64_u32 v[22:23], null, v17, s12, 0
	s_lshl_b64 s[14:15], s[12:13], 5
	v_mul_f16_sdwa v26, s9, v13 dst_sel:DWORD dst_unused:UNUSED_PAD src0_sel:DWORD src1_sel:WORD_1
	v_mul_f16_e32 v27, s9, v13
	v_mul_f16_sdwa v28, s9, v12 dst_sel:DWORD dst_unused:UNUSED_PAD src0_sel:DWORD src1_sel:WORD_1
	v_mul_f16_e32 v29, s9, v12
	v_mul_f16_sdwa v30, s9, v11 dst_sel:DWORD dst_unused:UNUSED_PAD src0_sel:DWORD src1_sel:WORD_1
	v_add3_u32 v23, v23, v20, v19
	v_mul_f16_e32 v31, s9, v11
	v_mul_f16_sdwa v32, s9, v10 dst_sel:DWORD dst_unused:UNUSED_PAD src0_sel:DWORD src1_sel:WORD_1
	v_mul_f16_e32 v33, s9, v10
	v_lshlrev_b64 v[22:23], 1, v[22:23]
	v_add_co_u32 v22, vcc_lo, s6, v22
	v_add_co_ci_u32_e64 v23, null, s7, v23, vcc_lo
	v_add_co_u32 v34, vcc_lo, v22, s14
	v_add_co_ci_u32_e64 v35, null, s15, v23, vcc_lo
	;; [unrolled: 2-line block ×4, first 2 shown]
	global_store_short v[22:23], v26, off
	global_store_short v[22:23], v27, off offset:32
	global_store_short v[22:23], v28, off offset:64
	;; [unrolled: 1-line block ×3, first 2 shown]
	global_store_short v[24:25], v30, off
	global_store_short v[24:25], v31, off offset:32
	v_add_co_u32 v26, vcc_lo, v34, s14
	v_add_co_ci_u32_e64 v27, null, s15, v35, vcc_lo
	v_mul_f16_sdwa v28, s9, v9 dst_sel:DWORD dst_unused:UNUSED_PAD src0_sel:DWORD src1_sel:WORD_1
	v_add_co_u32 v22, vcc_lo, v26, v0
	v_add_co_ci_u32_e64 v23, null, v27, v1, vcc_lo
	v_mul_f16_e32 v29, s9, v9
	v_mul_f16_sdwa v30, s9, v8 dst_sel:DWORD dst_unused:UNUSED_PAD src0_sel:DWORD src1_sel:WORD_1
	global_store_short v[24:25], v32, off offset:64
	global_store_short v[24:25], v33, off offset:96
	global_store_short v[22:23], v28, off
	global_store_short v[22:23], v29, off offset:32
	global_store_short v[22:23], v30, off offset:64
	v_add_co_u32 v24, vcc_lo, v26, s14
	v_add_co_ci_u32_e64 v25, null, s15, v27, vcc_lo
	v_mul_f16_e32 v28, s9, v8
	v_add_co_u32 v24, vcc_lo, v24, v0
	v_mul_f16_sdwa v26, s9, v7 dst_sel:DWORD dst_unused:UNUSED_PAD src0_sel:DWORD src1_sel:WORD_1
	v_add_co_ci_u32_e64 v25, null, v25, v1, vcc_lo
	v_mul_f16_e32 v27, s9, v7
	v_mul_f16_sdwa v29, s9, v6 dst_sel:DWORD dst_unused:UNUSED_PAD src0_sel:DWORD src1_sel:WORD_1
	v_mul_f16_e32 v30, s9, v6
	global_store_short v[22:23], v28, off offset:96
	global_store_short v[24:25], v26, off
	global_store_short v[24:25], v27, off offset:32
	global_store_short v[24:25], v29, off offset:64
	;; [unrolled: 1-line block ×3, first 2 shown]
	s_andn2_b32 vcc_lo, exec_lo, s10
	s_cbranch_vccnz .LBB3_7
.LBB3_6:
	v_mul_lo_u32 v23, v21, s2
	v_mul_lo_u32 v24, v17, s3
	v_mad_u64_u32 v[21:22], null, v17, s2, 0
	s_mul_i32 s5, s5, s8
	s_mul_hi_u32 s10, s4, s8
	s_mul_i32 s4, s4, s8
	s_add_i32 s5, s10, s5
	s_lshl_b64 s[4:5], s[4:5], 1
	v_add3_u32 v22, v22, v24, v23
	s_add_u32 s0, s0, s4
	s_addc_u32 s1, s1, s5
	v_mad_u64_u32 v[23:24], null, v17, s12, 0
	v_lshlrev_b64 v[21:22], 1, v[21:22]
	v_add3_u32 v24, v24, v20, v19
	v_add_co_u32 v25, vcc_lo, s0, v21
	v_add_co_ci_u32_e64 v26, null, s1, v22, vcc_lo
	v_lshlrev_b64 v[19:20], 1, v[23:24]
	v_add_co_u32 v21, vcc_lo, v25, v0
	v_add_co_ci_u32_e64 v22, null, v26, v1, vcc_lo
	s_lshl_b64 s[0:1], s[2:3], 5
	v_add_co_u32 v17, vcc_lo, s6, v19
	global_load_ushort v27, v[21:22], off
	v_add_co_ci_u32_e64 v23, null, s7, v20, vcc_lo
	v_add_co_u32 v19, vcc_lo, v17, v0
	s_lshl_b64 s[2:3], s[12:13], 5
	v_add_co_ci_u32_e64 v20, null, v23, v1, vcc_lo
	s_waitcnt vmcnt(0)
	v_mul_f16_e32 v24, s16, v27
	v_fmac_f16_e32 v24, s9, v18
	global_store_short v[19:20], v24, off
	global_load_ushort v18, v[21:22], off offset:32
	s_waitcnt vmcnt(0)
	v_mul_f16_e32 v18, s16, v18
	v_fmac_f16_e32 v18, s9, v13
	global_store_short v[19:20], v18, off offset:32
	global_load_ushort v13, v[21:22], off offset:64
	v_add_co_u32 v18, vcc_lo, v25, s0
	s_waitcnt vmcnt(0)
	v_mul_f16_e32 v13, s16, v13
	v_fmac_f16_e32 v13, s9, v16
	global_store_short v[19:20], v13, off offset:64
	global_load_ushort v13, v[21:22], off offset:96
	v_add_co_ci_u32_e64 v21, null, s1, v26, vcc_lo
	s_waitcnt vmcnt(0)
	v_mul_f16_e32 v16, s16, v13
	v_fmac_f16_e32 v16, s9, v12
	v_add_co_u32 v12, vcc_lo, v18, v0
	v_add_co_ci_u32_e64 v13, null, v21, v1, vcc_lo
	global_store_short v[19:20], v16, off offset:96
	v_add_co_u32 v19, vcc_lo, v17, s2
	global_load_ushort v16, v[12:13], off
	v_add_co_ci_u32_e64 v20, null, s3, v23, vcc_lo
	s_waitcnt vmcnt(0)
	v_mul_f16_e32 v22, s16, v16
	v_add_co_u32 v16, vcc_lo, v19, v0
	v_add_co_ci_u32_e64 v17, null, v20, v1, vcc_lo
	v_fmac_f16_e32 v22, s9, v15
	global_store_short v[16:17], v22, off
	global_load_ushort v15, v[12:13], off offset:32
	s_waitcnt vmcnt(0)
	v_mul_f16_e32 v15, s16, v15
	v_fmac_f16_e32 v15, s9, v11
	global_store_short v[16:17], v15, off offset:32
	global_load_ushort v11, v[12:13], off offset:64
	s_waitcnt vmcnt(0)
	v_mul_f16_e32 v11, s16, v11
	v_fmac_f16_e32 v11, s9, v14
	v_add_co_u32 v14, vcc_lo, v18, s0
	v_add_co_ci_u32_e64 v15, null, s1, v21, vcc_lo
	global_store_short v[16:17], v11, off offset:64
	global_load_ushort v11, v[12:13], off offset:96
	s_waitcnt vmcnt(0)
	v_mul_f16_e32 v12, s16, v11
	v_fmac_f16_e32 v12, s9, v10
	v_add_co_u32 v10, vcc_lo, v14, v0
	v_add_co_ci_u32_e64 v11, null, v15, v1, vcc_lo
	global_store_short v[16:17], v12, off offset:96
	v_add_co_u32 v16, vcc_lo, v19, s2
	global_load_ushort v12, v[10:11], off
	v_add_co_ci_u32_e64 v17, null, s3, v20, vcc_lo
	s_waitcnt vmcnt(0)
	v_mul_f16_e32 v18, s16, v12
	v_add_co_u32 v12, vcc_lo, v16, v0
	v_add_co_ci_u32_e64 v13, null, v17, v1, vcc_lo
	v_fmac_f16_e32 v18, s9, v5
	global_store_short v[12:13], v18, off
	global_load_ushort v5, v[10:11], off offset:32
	s_waitcnt vmcnt(0)
	v_mul_f16_e32 v5, s16, v5
	v_fmac_f16_e32 v5, s9, v9
	global_store_short v[12:13], v5, off offset:32
	global_load_ushort v5, v[10:11], off offset:64
	s_waitcnt vmcnt(0)
	v_mul_f16_e32 v5, s16, v5
	v_fmac_f16_e32 v5, s9, v4
	global_store_short v[12:13], v5, off offset:64
	global_load_ushort v4, v[10:11], off offset:96
	s_waitcnt vmcnt(0)
	v_mul_f16_e32 v9, s16, v4
	v_add_co_u32 v4, vcc_lo, v14, s0
	v_add_co_ci_u32_e64 v5, null, s1, v15, vcc_lo
	v_fmac_f16_e32 v9, s9, v8
	v_add_co_u32 v4, vcc_lo, v4, v0
	v_add_co_ci_u32_e64 v5, null, v5, v1, vcc_lo
	global_store_short v[12:13], v9, off offset:96
	v_add_co_u32 v9, vcc_lo, v16, s2
	global_load_ushort v8, v[4:5], off
	v_add_co_ci_u32_e64 v10, null, s3, v17, vcc_lo
	v_add_co_u32 v0, vcc_lo, v9, v0
	v_add_co_ci_u32_e64 v1, null, v10, v1, vcc_lo
	s_waitcnt vmcnt(0)
	v_mul_f16_e32 v8, s16, v8
	v_fmac_f16_e32 v8, s9, v3
	global_store_short v[0:1], v8, off
	global_load_ushort v3, v[4:5], off offset:32
	s_waitcnt vmcnt(0)
	v_mul_f16_e32 v3, s16, v3
	v_fmac_f16_e32 v3, s9, v7
	global_store_short v[0:1], v3, off offset:32
	global_load_ushort v3, v[4:5], off offset:64
	s_waitcnt vmcnt(0)
	v_mul_f16_e32 v3, s16, v3
	v_fmac_f16_e32 v3, s9, v2
	global_store_short v[0:1], v3, off offset:64
	;; [unrolled: 5-line block ×3, first 2 shown]
.LBB3_7:
	s_endpgm
.LBB3_8:
	s_branch .LBB3_6
	.section	.rodata,"a",@progbits
	.p2align	6, 0x0
	.amdhsa_kernel _ZN12_GLOBAL__N_127rocblas_gemm_batched_kernelIDF16_Li16ELi16ELi64ELi64ELi4ELi64ELi4ELi4ELi64ELc84ELc78EKDF16_S1_DF16_EEvlllT_PT11_llS4_llS2_PT12_llPT13_lli
		.amdhsa_group_segment_fixed_size 1024
		.amdhsa_private_segment_fixed_size 0
		.amdhsa_kernarg_size 140
		.amdhsa_user_sgpr_count 6
		.amdhsa_user_sgpr_private_segment_buffer 1
		.amdhsa_user_sgpr_dispatch_ptr 0
		.amdhsa_user_sgpr_queue_ptr 0
		.amdhsa_user_sgpr_kernarg_segment_ptr 1
		.amdhsa_user_sgpr_dispatch_id 0
		.amdhsa_user_sgpr_flat_scratch_init 0
		.amdhsa_user_sgpr_private_segment_size 0
		.amdhsa_wavefront_size32 1
		.amdhsa_uses_dynamic_stack 0
		.amdhsa_system_sgpr_private_segment_wavefront_offset 0
		.amdhsa_system_sgpr_workgroup_id_x 1
		.amdhsa_system_sgpr_workgroup_id_y 1
		.amdhsa_system_sgpr_workgroup_id_z 1
		.amdhsa_system_sgpr_workgroup_info 0
		.amdhsa_system_vgpr_workitem_id 1
		.amdhsa_next_free_vgpr 36
		.amdhsa_next_free_sgpr 24
		.amdhsa_reserve_vcc 1
		.amdhsa_reserve_flat_scratch 0
		.amdhsa_float_round_mode_32 0
		.amdhsa_float_round_mode_16_64 0
		.amdhsa_float_denorm_mode_32 3
		.amdhsa_float_denorm_mode_16_64 3
		.amdhsa_dx10_clamp 1
		.amdhsa_ieee_mode 1
		.amdhsa_fp16_overflow 0
		.amdhsa_workgroup_processor_mode 1
		.amdhsa_memory_ordered 1
		.amdhsa_forward_progress 1
		.amdhsa_shared_vgpr_count 0
		.amdhsa_exception_fp_ieee_invalid_op 0
		.amdhsa_exception_fp_denorm_src 0
		.amdhsa_exception_fp_ieee_div_zero 0
		.amdhsa_exception_fp_ieee_overflow 0
		.amdhsa_exception_fp_ieee_underflow 0
		.amdhsa_exception_fp_ieee_inexact 0
		.amdhsa_exception_int_div_zero 0
	.end_amdhsa_kernel
	.section	.text._ZN12_GLOBAL__N_127rocblas_gemm_batched_kernelIDF16_Li16ELi16ELi64ELi64ELi4ELi64ELi4ELi4ELi64ELc84ELc78EKDF16_S1_DF16_EEvlllT_PT11_llS4_llS2_PT12_llPT13_lli,"axG",@progbits,_ZN12_GLOBAL__N_127rocblas_gemm_batched_kernelIDF16_Li16ELi16ELi64ELi64ELi4ELi64ELi4ELi4ELi64ELc84ELc78EKDF16_S1_DF16_EEvlllT_PT11_llS4_llS2_PT12_llPT13_lli,comdat
.Lfunc_end3:
	.size	_ZN12_GLOBAL__N_127rocblas_gemm_batched_kernelIDF16_Li16ELi16ELi64ELi64ELi4ELi64ELi4ELi4ELi64ELc84ELc78EKDF16_S1_DF16_EEvlllT_PT11_llS4_llS2_PT12_llPT13_lli, .Lfunc_end3-_ZN12_GLOBAL__N_127rocblas_gemm_batched_kernelIDF16_Li16ELi16ELi64ELi64ELi4ELi64ELi4ELi4ELi64ELc84ELc78EKDF16_S1_DF16_EEvlllT_PT11_llS4_llS2_PT12_llPT13_lli
                                        ; -- End function
	.set _ZN12_GLOBAL__N_127rocblas_gemm_batched_kernelIDF16_Li16ELi16ELi64ELi64ELi4ELi64ELi4ELi4ELi64ELc84ELc78EKDF16_S1_DF16_EEvlllT_PT11_llS4_llS2_PT12_llPT13_lli.num_vgpr, 36
	.set _ZN12_GLOBAL__N_127rocblas_gemm_batched_kernelIDF16_Li16ELi16ELi64ELi64ELi4ELi64ELi4ELi4ELi64ELc84ELc78EKDF16_S1_DF16_EEvlllT_PT11_llS4_llS2_PT12_llPT13_lli.num_agpr, 0
	.set _ZN12_GLOBAL__N_127rocblas_gemm_batched_kernelIDF16_Li16ELi16ELi64ELi64ELi4ELi64ELi4ELi4ELi64ELc84ELc78EKDF16_S1_DF16_EEvlllT_PT11_llS4_llS2_PT12_llPT13_lli.numbered_sgpr, 24
	.set _ZN12_GLOBAL__N_127rocblas_gemm_batched_kernelIDF16_Li16ELi16ELi64ELi64ELi4ELi64ELi4ELi4ELi64ELc84ELc78EKDF16_S1_DF16_EEvlllT_PT11_llS4_llS2_PT12_llPT13_lli.num_named_barrier, 0
	.set _ZN12_GLOBAL__N_127rocblas_gemm_batched_kernelIDF16_Li16ELi16ELi64ELi64ELi4ELi64ELi4ELi4ELi64ELc84ELc78EKDF16_S1_DF16_EEvlllT_PT11_llS4_llS2_PT12_llPT13_lli.private_seg_size, 0
	.set _ZN12_GLOBAL__N_127rocblas_gemm_batched_kernelIDF16_Li16ELi16ELi64ELi64ELi4ELi64ELi4ELi4ELi64ELc84ELc78EKDF16_S1_DF16_EEvlllT_PT11_llS4_llS2_PT12_llPT13_lli.uses_vcc, 1
	.set _ZN12_GLOBAL__N_127rocblas_gemm_batched_kernelIDF16_Li16ELi16ELi64ELi64ELi4ELi64ELi4ELi4ELi64ELc84ELc78EKDF16_S1_DF16_EEvlllT_PT11_llS4_llS2_PT12_llPT13_lli.uses_flat_scratch, 0
	.set _ZN12_GLOBAL__N_127rocblas_gemm_batched_kernelIDF16_Li16ELi16ELi64ELi64ELi4ELi64ELi4ELi4ELi64ELc84ELc78EKDF16_S1_DF16_EEvlllT_PT11_llS4_llS2_PT12_llPT13_lli.has_dyn_sized_stack, 0
	.set _ZN12_GLOBAL__N_127rocblas_gemm_batched_kernelIDF16_Li16ELi16ELi64ELi64ELi4ELi64ELi4ELi4ELi64ELc84ELc78EKDF16_S1_DF16_EEvlllT_PT11_llS4_llS2_PT12_llPT13_lli.has_recursion, 0
	.set _ZN12_GLOBAL__N_127rocblas_gemm_batched_kernelIDF16_Li16ELi16ELi64ELi64ELi4ELi64ELi4ELi4ELi64ELc84ELc78EKDF16_S1_DF16_EEvlllT_PT11_llS4_llS2_PT12_llPT13_lli.has_indirect_call, 0
	.section	.AMDGPU.csdata,"",@progbits
; Kernel info:
; codeLenInByte = 2400
; TotalNumSgprs: 26
; NumVgprs: 36
; ScratchSize: 0
; MemoryBound: 0
; FloatMode: 240
; IeeeMode: 1
; LDSByteSize: 1024 bytes/workgroup (compile time only)
; SGPRBlocks: 0
; VGPRBlocks: 4
; NumSGPRsForWavesPerEU: 26
; NumVGPRsForWavesPerEU: 36
; Occupancy: 16
; WaveLimiterHint : 0
; COMPUTE_PGM_RSRC2:SCRATCH_EN: 0
; COMPUTE_PGM_RSRC2:USER_SGPR: 6
; COMPUTE_PGM_RSRC2:TRAP_HANDLER: 0
; COMPUTE_PGM_RSRC2:TGID_X_EN: 1
; COMPUTE_PGM_RSRC2:TGID_Y_EN: 1
; COMPUTE_PGM_RSRC2:TGID_Z_EN: 1
; COMPUTE_PGM_RSRC2:TIDIG_COMP_CNT: 1
	.section	.text._ZN12_GLOBAL__N_127rocblas_gemm_batched_kernelIDF16_Li16ELi16ELi64ELi64ELi4ELi64ELi4ELi4ELi64ELc78ELc84EKDF16_S1_DF16_EEvlllT_PT11_llS4_llS2_PT12_llPT13_lli,"axG",@progbits,_ZN12_GLOBAL__N_127rocblas_gemm_batched_kernelIDF16_Li16ELi16ELi64ELi64ELi4ELi64ELi4ELi4ELi64ELc78ELc84EKDF16_S1_DF16_EEvlllT_PT11_llS4_llS2_PT12_llPT13_lli,comdat
	.globl	_ZN12_GLOBAL__N_127rocblas_gemm_batched_kernelIDF16_Li16ELi16ELi64ELi64ELi4ELi64ELi4ELi4ELi64ELc78ELc84EKDF16_S1_DF16_EEvlllT_PT11_llS4_llS2_PT12_llPT13_lli ; -- Begin function _ZN12_GLOBAL__N_127rocblas_gemm_batched_kernelIDF16_Li16ELi16ELi64ELi64ELi4ELi64ELi4ELi4ELi64ELc78ELc84EKDF16_S1_DF16_EEvlllT_PT11_llS4_llS2_PT12_llPT13_lli
	.p2align	8
	.type	_ZN12_GLOBAL__N_127rocblas_gemm_batched_kernelIDF16_Li16ELi16ELi64ELi64ELi4ELi64ELi4ELi4ELi64ELc78ELc84EKDF16_S1_DF16_EEvlllT_PT11_llS4_llS2_PT12_llPT13_lli,@function
_ZN12_GLOBAL__N_127rocblas_gemm_batched_kernelIDF16_Li16ELi16ELi64ELi64ELi4ELi64ELi4ELi4ELi64ELc78ELc84EKDF16_S1_DF16_EEvlllT_PT11_llS4_llS2_PT12_llPT13_lli: ; @_ZN12_GLOBAL__N_127rocblas_gemm_batched_kernelIDF16_Li16ELi16ELi64ELi64ELi4ELi64ELi4ELi4ELi64ELc78ELc84EKDF16_S1_DF16_EEvlllT_PT11_llS4_llS2_PT12_llPT13_lli
; %bb.0:
	s_load_dwordx2 s[22:23], s[4:5], 0x10
	s_mov_b32 s0, s7
	v_mov_b32_e32 v3, 0
	s_ashr_i32 s7, s6, 31
	s_ashr_i32 s1, s0, 31
	s_lshl_b64 s[10:11], s[6:7], 6
	s_lshl_b64 s[20:21], s[0:1], 6
	s_waitcnt lgkmcnt(0)
	v_cmp_lt_i64_e64 s2, s[22:23], 1
	s_and_b32 vcc_lo, exec_lo, s2
	s_cbranch_vccnz .LBB4_3
; %bb.1:
	s_clause 0x1
	s_load_dwordx4 s[0:3], s[4:5], 0x40
	s_load_dwordx8 s[12:19], s[4:5], 0x20
	v_lshl_add_u32 v4, v1, 4, v0
	v_and_b32_e32 v8, 3, v0
	v_lshlrev_b32_e32 v14, 1, v0
	v_lshl_add_u32 v15, v1, 3, 0x200
	v_mov_b32_e32 v12, 0
	v_and_b32_e32 v10, 63, v4
	v_lshrrev_b32_e32 v2, 2, v4
	v_lshrrev_b32_e32 v9, 6, v4
	v_lshlrev_b32_e32 v4, 1, v8
	v_mov_b32_e32 v13, 0
	v_lshlrev_b32_e32 v5, 1, v10
	v_lshl_or_b32 v11, v2, 3, v4
	v_lshl_or_b32 v16, v9, 7, v5
	v_add_nc_u32_e32 v17, 0x200, v11
	s_waitcnt lgkmcnt(0)
	v_mad_u64_u32 v[4:5], null, s0, v8, v[2:3]
	v_mad_u64_u32 v[6:7], null, s14, v9, s[10:11]
	s_mul_i32 s3, s3, s8
	s_mul_hi_u32 s6, s2, s8
	s_mul_i32 s2, s2, s8
	s_add_i32 s3, s6, s3
	v_mov_b32_e32 v2, v5
	v_add_co_u32 v4, vcc_lo, v4, s20
	v_mov_b32_e32 v5, v7
	s_lshl_b64 s[2:3], s[2:3], 1
	v_mad_u64_u32 v[7:8], null, s1, v8, v[2:3]
	s_mul_i32 s7, s17, s8
	v_mad_u64_u32 v[8:9], null, s15, v9, v[5:6]
	s_mul_hi_u32 s9, s16, s8
	s_mul_i32 s6, s16, s8
	s_add_u32 s16, s18, s2
	v_add_co_ci_u32_e64 v5, null, s21, v7, vcc_lo
	v_add_co_u32 v6, vcc_lo, v6, v10
	v_add_co_ci_u32_e64 v7, null, 0, v8, vcc_lo
	v_lshlrev_b64 v[4:5], 1, v[4:5]
	s_addc_u32 s17, s19, s3
	s_add_i32 s7, s9, s7
	v_lshlrev_b64 v[6:7], 1, v[6:7]
	s_lshl_b64 s[2:3], s[6:7], 1
	s_lshl_b64 s[0:1], s[0:1], 3
	s_add_u32 s2, s12, s2
	v_add_co_u32 v4, vcc_lo, s16, v4
	s_addc_u32 s3, s13, s3
	v_add_co_ci_u32_e64 v5, null, s17, v5, vcc_lo
	v_add_co_u32 v6, vcc_lo, s2, v6
	v_add_co_ci_u32_e64 v7, null, s3, v7, vcc_lo
	v_mov_b32_e32 v2, 0
	v_mov_b32_e32 v8, 0
	;; [unrolled: 1-line block ×5, first 2 shown]
	s_lshl_b64 s[2:3], s[14:15], 3
	s_mov_b64 s[6:7], 0
.LBB4_2:                                ; =>This Inner Loop Header: Depth=1
	global_load_ushort v18, v[6:7], off
	global_load_ushort v19, v[4:5], off
	s_add_u32 s6, s6, 4
	s_addc_u32 s7, s7, 0
	v_add_co_u32 v4, vcc_lo, v4, s0
	v_cmp_lt_i64_e64 s9, s[6:7], s[22:23]
	v_add_co_ci_u32_e64 v5, null, s1, v5, vcc_lo
	v_add_co_u32 v6, vcc_lo, v6, s2
	v_add_co_ci_u32_e64 v7, null, s3, v7, vcc_lo
	s_and_b32 vcc_lo, exec_lo, s9
	s_waitcnt vmcnt(1)
	ds_write_b16 v16, v18
	s_waitcnt vmcnt(0)
	ds_write_b16 v17, v19
	s_waitcnt lgkmcnt(0)
	s_barrier
	buffer_gl0_inv
	ds_read_u16 v26, v14 offset:32
	ds_read_u16 v27, v14 offset:96
	;; [unrolled: 1-line block ×8, first 2 shown]
	ds_read2_b64 v[18:21], v15 offset1:16
	ds_read2_b64 v[22:25], v15 offset0:32 offset1:48
	s_waitcnt lgkmcnt(9)
	ds_read_u16_d16_hi v26, v14
	s_waitcnt lgkmcnt(9)
	ds_read_u16_d16_hi v27, v14 offset:64
	s_waitcnt lgkmcnt(9)
	ds_read_u16_d16_hi v28, v14 offset:128
	;; [unrolled: 2-line block ×7, first 2 shown]
	s_waitcnt lgkmcnt(0)
	s_barrier
	buffer_gl0_inv
	v_pk_fma_f16 v3, v26, v18, v3 op_sel_hi:[1,0,1]
	v_pk_fma_f16 v13, v27, v18, v13 op_sel_hi:[1,0,1]
	;; [unrolled: 1-line block ×8, first 2 shown]
	v_pk_fma_f16 v3, v28, v18, v3 op_sel:[0,1,0]
	v_pk_fma_f16 v13, v29, v18, v13 op_sel:[0,1,0]
	;; [unrolled: 1-line block ×8, first 2 shown]
	v_pk_fma_f16 v3, v30, v19, v3 op_sel_hi:[1,0,1]
	v_pk_fma_f16 v13, v31, v19, v13 op_sel_hi:[1,0,1]
	;; [unrolled: 1-line block ×8, first 2 shown]
	v_pk_fma_f16 v3, v32, v19, v3 op_sel:[0,1,0]
	v_pk_fma_f16 v13, v33, v19, v13 op_sel:[0,1,0]
	;; [unrolled: 1-line block ×8, first 2 shown]
	s_cbranch_vccnz .LBB4_2
	s_branch .LBB4_4
.LBB4_3:
	v_mov_b32_e32 v13, 0
	v_mov_b32_e32 v12, 0
	;; [unrolled: 1-line block ×7, first 2 shown]
.LBB4_4:
	s_clause 0x3
	s_load_dwordx4 s[12:15], s[4:5], 0x78
	s_load_dword s16, s[4:5], 0x50
	s_load_dword s9, s[4:5], 0x18
	s_load_dwordx8 s[0:7], s[4:5], 0x58
	v_add_co_u32 v17, s17, s20, v1
	v_add_co_ci_u32_e64 v21, null, s21, 0, s17
	v_add_co_u32 v0, s10, s10, v0
	v_add_co_ci_u32_e64 v1, null, s11, 0, s10
	v_lshrrev_b32_e32 v18, 16, v3
	v_lshrrev_b32_e32 v16, 16, v13
	;; [unrolled: 1-line block ×3, first 2 shown]
	v_lshlrev_b64 v[0:1], 1, v[0:1]
	v_lshrrev_b32_e32 v14, 16, v11
	v_lshrrev_b32_e32 v7, 16, v10
	;; [unrolled: 1-line block ×4, first 2 shown]
	s_waitcnt lgkmcnt(0)
	s_mul_i32 s11, s15, s8
	s_mul_hi_u32 s15, s14, s8
	v_mul_lo_u32 v19, v21, s12
	v_mul_lo_u32 v20, v17, s13
	s_mul_i32 s10, s14, s8
	v_cmp_neq_f16_e64 s14, s16, 0
	s_add_i32 s11, s15, s11
	v_lshrrev_b32_e32 v4, 16, v2
	s_lshl_b64 s[10:11], s[10:11], 1
	s_add_u32 s6, s6, s10
	s_addc_u32 s7, s7, s11
	s_and_b32 vcc_lo, exec_lo, s14
	s_mov_b32 s10, 0
	s_cbranch_vccnz .LBB4_8
; %bb.5:
	v_mad_u64_u32 v[22:23], null, v17, s12, 0
	s_lshl_b64 s[14:15], s[12:13], 5
	v_mul_f16_sdwa v26, s9, v3 dst_sel:DWORD dst_unused:UNUSED_PAD src0_sel:DWORD src1_sel:WORD_1
	v_mul_f16_e32 v27, s9, v3
	v_mul_f16_sdwa v28, s9, v13 dst_sel:DWORD dst_unused:UNUSED_PAD src0_sel:DWORD src1_sel:WORD_1
	v_mul_f16_e32 v29, s9, v13
	v_mul_f16_sdwa v30, s9, v12 dst_sel:DWORD dst_unused:UNUSED_PAD src0_sel:DWORD src1_sel:WORD_1
	v_add3_u32 v23, v23, v20, v19
	v_mul_f16_e32 v31, s9, v12
	v_mul_f16_sdwa v32, s9, v11 dst_sel:DWORD dst_unused:UNUSED_PAD src0_sel:DWORD src1_sel:WORD_1
	v_mul_f16_e32 v33, s9, v11
	v_lshlrev_b64 v[22:23], 1, v[22:23]
	v_add_co_u32 v22, vcc_lo, s6, v22
	v_add_co_ci_u32_e64 v23, null, s7, v23, vcc_lo
	v_add_co_u32 v34, vcc_lo, v22, s14
	v_add_co_ci_u32_e64 v35, null, s15, v23, vcc_lo
	;; [unrolled: 2-line block ×4, first 2 shown]
	global_store_short v[22:23], v26, off
	global_store_short v[22:23], v27, off offset:32
	global_store_short v[22:23], v28, off offset:64
	;; [unrolled: 1-line block ×3, first 2 shown]
	global_store_short v[24:25], v30, off
	global_store_short v[24:25], v31, off offset:32
	v_add_co_u32 v26, vcc_lo, v34, s14
	v_add_co_ci_u32_e64 v27, null, s15, v35, vcc_lo
	v_mul_f16_sdwa v28, s9, v10 dst_sel:DWORD dst_unused:UNUSED_PAD src0_sel:DWORD src1_sel:WORD_1
	v_add_co_u32 v22, vcc_lo, v26, v0
	v_add_co_ci_u32_e64 v23, null, v27, v1, vcc_lo
	v_mul_f16_e32 v29, s9, v10
	v_mul_f16_sdwa v30, s9, v9 dst_sel:DWORD dst_unused:UNUSED_PAD src0_sel:DWORD src1_sel:WORD_1
	global_store_short v[24:25], v32, off offset:64
	global_store_short v[24:25], v33, off offset:96
	global_store_short v[22:23], v28, off
	global_store_short v[22:23], v29, off offset:32
	global_store_short v[22:23], v30, off offset:64
	v_add_co_u32 v24, vcc_lo, v26, s14
	v_add_co_ci_u32_e64 v25, null, s15, v27, vcc_lo
	v_mul_f16_e32 v28, s9, v9
	v_add_co_u32 v24, vcc_lo, v24, v0
	v_mul_f16_sdwa v26, s9, v8 dst_sel:DWORD dst_unused:UNUSED_PAD src0_sel:DWORD src1_sel:WORD_1
	v_add_co_ci_u32_e64 v25, null, v25, v1, vcc_lo
	v_mul_f16_e32 v27, s9, v8
	v_mul_f16_sdwa v29, s9, v2 dst_sel:DWORD dst_unused:UNUSED_PAD src0_sel:DWORD src1_sel:WORD_1
	v_mul_f16_e32 v30, s9, v2
	global_store_short v[22:23], v28, off offset:96
	global_store_short v[24:25], v26, off
	global_store_short v[24:25], v27, off offset:32
	global_store_short v[24:25], v29, off offset:64
	;; [unrolled: 1-line block ×3, first 2 shown]
	s_andn2_b32 vcc_lo, exec_lo, s10
	s_cbranch_vccnz .LBB4_7
.LBB4_6:
	v_mul_lo_u32 v23, v21, s2
	v_mul_lo_u32 v24, v17, s3
	v_mad_u64_u32 v[21:22], null, v17, s2, 0
	s_mul_i32 s5, s5, s8
	s_mul_hi_u32 s10, s4, s8
	s_mul_i32 s4, s4, s8
	s_add_i32 s5, s10, s5
	s_lshl_b64 s[4:5], s[4:5], 1
	v_add3_u32 v22, v22, v24, v23
	s_add_u32 s0, s0, s4
	s_addc_u32 s1, s1, s5
	v_mad_u64_u32 v[23:24], null, v17, s12, 0
	v_lshlrev_b64 v[21:22], 1, v[21:22]
	v_add3_u32 v24, v24, v20, v19
	v_add_co_u32 v25, vcc_lo, s0, v21
	v_add_co_ci_u32_e64 v26, null, s1, v22, vcc_lo
	v_lshlrev_b64 v[19:20], 1, v[23:24]
	v_add_co_u32 v21, vcc_lo, v25, v0
	v_add_co_ci_u32_e64 v22, null, v26, v1, vcc_lo
	s_lshl_b64 s[0:1], s[2:3], 5
	v_add_co_u32 v23, vcc_lo, s6, v19
	global_load_ushort v27, v[21:22], off
	v_add_co_ci_u32_e64 v24, null, s7, v20, vcc_lo
	v_add_co_u32 v19, vcc_lo, v23, v0
	s_lshl_b64 s[2:3], s[12:13], 5
	v_add_co_ci_u32_e64 v20, null, v24, v1, vcc_lo
	s_waitcnt vmcnt(0)
	v_mul_f16_e32 v17, s16, v27
	v_fmac_f16_e32 v17, s9, v18
	global_store_short v[19:20], v17, off
	global_load_ushort v17, v[21:22], off offset:32
	s_waitcnt vmcnt(0)
	v_mul_f16_e32 v17, s16, v17
	v_fmac_f16_e32 v17, s9, v3
	global_store_short v[19:20], v17, off offset:32
	global_load_ushort v3, v[21:22], off offset:64
	s_waitcnt vmcnt(0)
	v_mul_f16_e32 v3, s16, v3
	v_fmac_f16_e32 v3, s9, v16
	global_store_short v[19:20], v3, off offset:64
	global_load_ushort v3, v[21:22], off offset:96
	v_add_co_u32 v21, vcc_lo, v25, s0
	v_add_co_ci_u32_e64 v22, null, s1, v26, vcc_lo
	v_add_co_u32 v16, vcc_lo, v21, v0
	v_add_co_ci_u32_e64 v17, null, v22, v1, vcc_lo
	s_waitcnt vmcnt(0)
	v_mul_f16_e32 v3, s16, v3
	v_fmac_f16_e32 v3, s9, v13
	v_add_co_u32 v13, vcc_lo, v23, s2
	global_store_short v[19:20], v3, off offset:96
	global_load_ushort v3, v[16:17], off
	v_add_co_ci_u32_e64 v20, null, s3, v24, vcc_lo
	v_add_co_u32 v18, vcc_lo, v13, v0
	v_add_co_ci_u32_e64 v19, null, v20, v1, vcc_lo
	s_waitcnt vmcnt(0)
	v_mul_f16_e32 v3, s16, v3
	v_fmac_f16_e32 v3, s9, v15
	v_add_co_u32 v15, vcc_lo, v21, s0
	global_store_short v[18:19], v3, off
	global_load_ushort v3, v[16:17], off offset:32
	s_waitcnt vmcnt(0)
	v_mul_f16_e32 v3, s16, v3
	v_fmac_f16_e32 v3, s9, v12
	global_store_short v[18:19], v3, off offset:32
	global_load_ushort v3, v[16:17], off offset:64
	s_waitcnt vmcnt(0)
	v_mul_f16_e32 v3, s16, v3
	v_fmac_f16_e32 v3, s9, v14
	global_store_short v[18:19], v3, off offset:64
	global_load_ushort v3, v[16:17], off offset:96
	v_add_co_ci_u32_e64 v16, null, s1, v22, vcc_lo
	s_waitcnt vmcnt(0)
	v_mul_f16_e32 v3, s16, v3
	v_fmac_f16_e32 v3, s9, v11
	v_add_co_u32 v11, vcc_lo, v15, v0
	v_add_co_ci_u32_e64 v12, null, v16, v1, vcc_lo
	global_store_short v[18:19], v3, off offset:96
	v_add_co_u32 v17, vcc_lo, v13, s2
	global_load_ushort v3, v[11:12], off
	v_add_co_ci_u32_e64 v18, null, s3, v20, vcc_lo
	v_add_co_u32 v13, vcc_lo, v17, v0
	v_add_co_ci_u32_e64 v14, null, v18, v1, vcc_lo
	s_waitcnt vmcnt(0)
	v_mul_f16_e32 v3, s16, v3
	v_fmac_f16_e32 v3, s9, v7
	global_store_short v[13:14], v3, off
	global_load_ushort v3, v[11:12], off offset:32
	s_waitcnt vmcnt(0)
	v_mul_f16_e32 v3, s16, v3
	v_fmac_f16_e32 v3, s9, v10
	global_store_short v[13:14], v3, off offset:32
	global_load_ushort v3, v[11:12], off offset:64
	s_waitcnt vmcnt(0)
	v_mul_f16_e32 v3, s16, v3
	v_fmac_f16_e32 v3, s9, v6
	v_add_co_u32 v6, vcc_lo, v15, s0
	v_add_co_ci_u32_e64 v7, null, s1, v16, vcc_lo
	global_store_short v[13:14], v3, off offset:64
	global_load_ushort v3, v[11:12], off offset:96
	v_add_co_u32 v6, vcc_lo, v6, v0
	v_add_co_ci_u32_e64 v7, null, v7, v1, vcc_lo
	s_waitcnt vmcnt(0)
	v_mul_f16_e32 v3, s16, v3
	v_fmac_f16_e32 v3, s9, v9
	v_add_co_u32 v9, vcc_lo, v17, s2
	v_add_co_ci_u32_e64 v10, null, s3, v18, vcc_lo
	global_store_short v[13:14], v3, off offset:96
	global_load_ushort v3, v[6:7], off
	v_add_co_u32 v0, vcc_lo, v9, v0
	v_add_co_ci_u32_e64 v1, null, v10, v1, vcc_lo
	s_waitcnt vmcnt(0)
	v_mul_f16_e32 v3, s16, v3
	v_fmac_f16_e32 v3, s9, v5
	global_store_short v[0:1], v3, off
	global_load_ushort v3, v[6:7], off offset:32
	s_waitcnt vmcnt(0)
	v_mul_f16_e32 v3, s16, v3
	v_fmac_f16_e32 v3, s9, v8
	global_store_short v[0:1], v3, off offset:32
	global_load_ushort v3, v[6:7], off offset:64
	s_waitcnt vmcnt(0)
	v_mul_f16_e32 v3, s16, v3
	v_fmac_f16_e32 v3, s9, v4
	global_store_short v[0:1], v3, off offset:64
	;; [unrolled: 5-line block ×3, first 2 shown]
.LBB4_7:
	s_endpgm
.LBB4_8:
	s_branch .LBB4_6
	.section	.rodata,"a",@progbits
	.p2align	6, 0x0
	.amdhsa_kernel _ZN12_GLOBAL__N_127rocblas_gemm_batched_kernelIDF16_Li16ELi16ELi64ELi64ELi4ELi64ELi4ELi4ELi64ELc78ELc84EKDF16_S1_DF16_EEvlllT_PT11_llS4_llS2_PT12_llPT13_lli
		.amdhsa_group_segment_fixed_size 1024
		.amdhsa_private_segment_fixed_size 0
		.amdhsa_kernarg_size 140
		.amdhsa_user_sgpr_count 6
		.amdhsa_user_sgpr_private_segment_buffer 1
		.amdhsa_user_sgpr_dispatch_ptr 0
		.amdhsa_user_sgpr_queue_ptr 0
		.amdhsa_user_sgpr_kernarg_segment_ptr 1
		.amdhsa_user_sgpr_dispatch_id 0
		.amdhsa_user_sgpr_flat_scratch_init 0
		.amdhsa_user_sgpr_private_segment_size 0
		.amdhsa_wavefront_size32 1
		.amdhsa_uses_dynamic_stack 0
		.amdhsa_system_sgpr_private_segment_wavefront_offset 0
		.amdhsa_system_sgpr_workgroup_id_x 1
		.amdhsa_system_sgpr_workgroup_id_y 1
		.amdhsa_system_sgpr_workgroup_id_z 1
		.amdhsa_system_sgpr_workgroup_info 0
		.amdhsa_system_vgpr_workitem_id 1
		.amdhsa_next_free_vgpr 36
		.amdhsa_next_free_sgpr 24
		.amdhsa_reserve_vcc 1
		.amdhsa_reserve_flat_scratch 0
		.amdhsa_float_round_mode_32 0
		.amdhsa_float_round_mode_16_64 0
		.amdhsa_float_denorm_mode_32 3
		.amdhsa_float_denorm_mode_16_64 3
		.amdhsa_dx10_clamp 1
		.amdhsa_ieee_mode 1
		.amdhsa_fp16_overflow 0
		.amdhsa_workgroup_processor_mode 1
		.amdhsa_memory_ordered 1
		.amdhsa_forward_progress 1
		.amdhsa_shared_vgpr_count 0
		.amdhsa_exception_fp_ieee_invalid_op 0
		.amdhsa_exception_fp_denorm_src 0
		.amdhsa_exception_fp_ieee_div_zero 0
		.amdhsa_exception_fp_ieee_overflow 0
		.amdhsa_exception_fp_ieee_underflow 0
		.amdhsa_exception_fp_ieee_inexact 0
		.amdhsa_exception_int_div_zero 0
	.end_amdhsa_kernel
	.section	.text._ZN12_GLOBAL__N_127rocblas_gemm_batched_kernelIDF16_Li16ELi16ELi64ELi64ELi4ELi64ELi4ELi4ELi64ELc78ELc84EKDF16_S1_DF16_EEvlllT_PT11_llS4_llS2_PT12_llPT13_lli,"axG",@progbits,_ZN12_GLOBAL__N_127rocblas_gemm_batched_kernelIDF16_Li16ELi16ELi64ELi64ELi4ELi64ELi4ELi4ELi64ELc78ELc84EKDF16_S1_DF16_EEvlllT_PT11_llS4_llS2_PT12_llPT13_lli,comdat
.Lfunc_end4:
	.size	_ZN12_GLOBAL__N_127rocblas_gemm_batched_kernelIDF16_Li16ELi16ELi64ELi64ELi4ELi64ELi4ELi4ELi64ELc78ELc84EKDF16_S1_DF16_EEvlllT_PT11_llS4_llS2_PT12_llPT13_lli, .Lfunc_end4-_ZN12_GLOBAL__N_127rocblas_gemm_batched_kernelIDF16_Li16ELi16ELi64ELi64ELi4ELi64ELi4ELi4ELi64ELc78ELc84EKDF16_S1_DF16_EEvlllT_PT11_llS4_llS2_PT12_llPT13_lli
                                        ; -- End function
	.set _ZN12_GLOBAL__N_127rocblas_gemm_batched_kernelIDF16_Li16ELi16ELi64ELi64ELi4ELi64ELi4ELi4ELi64ELc78ELc84EKDF16_S1_DF16_EEvlllT_PT11_llS4_llS2_PT12_llPT13_lli.num_vgpr, 36
	.set _ZN12_GLOBAL__N_127rocblas_gemm_batched_kernelIDF16_Li16ELi16ELi64ELi64ELi4ELi64ELi4ELi4ELi64ELc78ELc84EKDF16_S1_DF16_EEvlllT_PT11_llS4_llS2_PT12_llPT13_lli.num_agpr, 0
	.set _ZN12_GLOBAL__N_127rocblas_gemm_batched_kernelIDF16_Li16ELi16ELi64ELi64ELi4ELi64ELi4ELi4ELi64ELc78ELc84EKDF16_S1_DF16_EEvlllT_PT11_llS4_llS2_PT12_llPT13_lli.numbered_sgpr, 24
	.set _ZN12_GLOBAL__N_127rocblas_gemm_batched_kernelIDF16_Li16ELi16ELi64ELi64ELi4ELi64ELi4ELi4ELi64ELc78ELc84EKDF16_S1_DF16_EEvlllT_PT11_llS4_llS2_PT12_llPT13_lli.num_named_barrier, 0
	.set _ZN12_GLOBAL__N_127rocblas_gemm_batched_kernelIDF16_Li16ELi16ELi64ELi64ELi4ELi64ELi4ELi4ELi64ELc78ELc84EKDF16_S1_DF16_EEvlllT_PT11_llS4_llS2_PT12_llPT13_lli.private_seg_size, 0
	.set _ZN12_GLOBAL__N_127rocblas_gemm_batched_kernelIDF16_Li16ELi16ELi64ELi64ELi4ELi64ELi4ELi4ELi64ELc78ELc84EKDF16_S1_DF16_EEvlllT_PT11_llS4_llS2_PT12_llPT13_lli.uses_vcc, 1
	.set _ZN12_GLOBAL__N_127rocblas_gemm_batched_kernelIDF16_Li16ELi16ELi64ELi64ELi4ELi64ELi4ELi4ELi64ELc78ELc84EKDF16_S1_DF16_EEvlllT_PT11_llS4_llS2_PT12_llPT13_lli.uses_flat_scratch, 0
	.set _ZN12_GLOBAL__N_127rocblas_gemm_batched_kernelIDF16_Li16ELi16ELi64ELi64ELi4ELi64ELi4ELi4ELi64ELc78ELc84EKDF16_S1_DF16_EEvlllT_PT11_llS4_llS2_PT12_llPT13_lli.has_dyn_sized_stack, 0
	.set _ZN12_GLOBAL__N_127rocblas_gemm_batched_kernelIDF16_Li16ELi16ELi64ELi64ELi4ELi64ELi4ELi4ELi64ELc78ELc84EKDF16_S1_DF16_EEvlllT_PT11_llS4_llS2_PT12_llPT13_lli.has_recursion, 0
	.set _ZN12_GLOBAL__N_127rocblas_gemm_batched_kernelIDF16_Li16ELi16ELi64ELi64ELi4ELi64ELi4ELi4ELi64ELc78ELc84EKDF16_S1_DF16_EEvlllT_PT11_llS4_llS2_PT12_llPT13_lli.has_indirect_call, 0
	.section	.AMDGPU.csdata,"",@progbits
; Kernel info:
; codeLenInByte = 2332
; TotalNumSgprs: 26
; NumVgprs: 36
; ScratchSize: 0
; MemoryBound: 0
; FloatMode: 240
; IeeeMode: 1
; LDSByteSize: 1024 bytes/workgroup (compile time only)
; SGPRBlocks: 0
; VGPRBlocks: 4
; NumSGPRsForWavesPerEU: 26
; NumVGPRsForWavesPerEU: 36
; Occupancy: 16
; WaveLimiterHint : 0
; COMPUTE_PGM_RSRC2:SCRATCH_EN: 0
; COMPUTE_PGM_RSRC2:USER_SGPR: 6
; COMPUTE_PGM_RSRC2:TRAP_HANDLER: 0
; COMPUTE_PGM_RSRC2:TGID_X_EN: 1
; COMPUTE_PGM_RSRC2:TGID_Y_EN: 1
; COMPUTE_PGM_RSRC2:TGID_Z_EN: 1
; COMPUTE_PGM_RSRC2:TIDIG_COMP_CNT: 1
	.section	.text._ZN12_GLOBAL__N_127rocblas_gemm_batched_kernelIDF16_Li16ELi16ELi64ELi64ELi4ELi64ELi4ELi4ELi64ELc84ELc84EKDF16_S1_DF16_EEvlllT_PT11_llS4_llS2_PT12_llPT13_lli,"axG",@progbits,_ZN12_GLOBAL__N_127rocblas_gemm_batched_kernelIDF16_Li16ELi16ELi64ELi64ELi4ELi64ELi4ELi4ELi64ELc84ELc84EKDF16_S1_DF16_EEvlllT_PT11_llS4_llS2_PT12_llPT13_lli,comdat
	.globl	_ZN12_GLOBAL__N_127rocblas_gemm_batched_kernelIDF16_Li16ELi16ELi64ELi64ELi4ELi64ELi4ELi4ELi64ELc84ELc84EKDF16_S1_DF16_EEvlllT_PT11_llS4_llS2_PT12_llPT13_lli ; -- Begin function _ZN12_GLOBAL__N_127rocblas_gemm_batched_kernelIDF16_Li16ELi16ELi64ELi64ELi4ELi64ELi4ELi4ELi64ELc84ELc84EKDF16_S1_DF16_EEvlllT_PT11_llS4_llS2_PT12_llPT13_lli
	.p2align	8
	.type	_ZN12_GLOBAL__N_127rocblas_gemm_batched_kernelIDF16_Li16ELi16ELi64ELi64ELi4ELi64ELi4ELi4ELi64ELc84ELc84EKDF16_S1_DF16_EEvlllT_PT11_llS4_llS2_PT12_llPT13_lli,@function
_ZN12_GLOBAL__N_127rocblas_gemm_batched_kernelIDF16_Li16ELi16ELi64ELi64ELi4ELi64ELi4ELi4ELi64ELc84ELc84EKDF16_S1_DF16_EEvlllT_PT11_llS4_llS2_PT12_llPT13_lli: ; @_ZN12_GLOBAL__N_127rocblas_gemm_batched_kernelIDF16_Li16ELi16ELi64ELi64ELi4ELi64ELi4ELi4ELi64ELc84ELc84EKDF16_S1_DF16_EEvlllT_PT11_llS4_llS2_PT12_llPT13_lli
; %bb.0:
	s_load_dwordx2 s[22:23], s[4:5], 0x10
	s_mov_b32 s0, s7
	v_mov_b32_e32 v3, 0
	s_ashr_i32 s7, s6, 31
	s_ashr_i32 s1, s0, 31
	s_lshl_b64 s[10:11], s[6:7], 6
	s_lshl_b64 s[20:21], s[0:1], 6
	s_waitcnt lgkmcnt(0)
	v_cmp_lt_i64_e64 s2, s[22:23], 1
	s_and_b32 vcc_lo, exec_lo, s2
	s_cbranch_vccnz .LBB5_3
; %bb.1:
	s_clause 0x1
	s_load_dwordx4 s[0:3], s[4:5], 0x40
	s_load_dwordx8 s[12:19], s[4:5], 0x20
	v_lshl_add_u32 v4, v1, 4, v0
	v_and_b32_e32 v8, 3, v0
	v_lshlrev_b32_e32 v14, 1, v0
	v_lshl_add_u32 v15, v1, 3, 0x200
	v_lshrrev_b32_e32 v2, 2, v4
	v_and_b32_e32 v5, 63, v4
	v_lshlrev_b32_e32 v6, 1, v8
	v_lshrrev_b32_e32 v10, 6, v4
	v_lshlrev_b32_e32 v9, 1, v5
	v_lshl_or_b32 v11, v2, 3, v6
	v_add_co_u32 v6, s6, s10, v5
	v_add_co_ci_u32_e64 v7, null, s11, 0, s6
	v_lshl_or_b32 v16, v10, 7, v9
	s_waitcnt lgkmcnt(0)
	v_mad_u64_u32 v[4:5], null, s0, v8, v[2:3]
	v_mul_lo_u32 v12, s15, v6
	v_mul_lo_u32 v13, s14, v7
	v_mad_u64_u32 v[6:7], null, s14, v6, 0
	s_mul_i32 s3, s3, s8
	s_mul_hi_u32 s6, s2, s8
	v_mov_b32_e32 v2, v5
	s_mul_i32 s2, s2, s8
	s_add_i32 s3, s6, s3
	v_add_nc_u32_e32 v17, 0x200, v11
	v_add3_u32 v7, v7, v13, v12
	v_mad_u64_u32 v[8:9], null, s1, v8, v[2:3]
	s_lshl_b64 s[2:3], s[2:3], 1
	v_lshlrev_b32_e32 v2, 1, v10
	s_add_u32 s6, s18, s2
	s_addc_u32 s7, s19, s3
	s_mul_i32 s2, s17, s8
	s_mul_hi_u32 s3, s16, s8
	v_lshlrev_b64 v[5:6], 1, v[6:7]
	v_add_co_u32 v7, vcc_lo, v4, s20
	s_add_i32 s3, s3, s2
	s_mul_i32 s2, s16, s8
	v_add_co_ci_u32_e64 v8, null, s21, v8, vcc_lo
	s_lshl_b64 s[2:3], s[2:3], 1
	v_mov_b32_e32 v10, 0
	v_add_co_u32 v9, vcc_lo, v5, s2
	v_add_co_ci_u32_e64 v6, null, s3, v6, vcc_lo
	v_lshlrev_b64 v[4:5], 1, v[7:8]
	v_add_co_u32 v2, vcc_lo, v9, v2
	v_add_co_ci_u32_e64 v7, null, 0, v6, vcc_lo
	v_mov_b32_e32 v8, 0
	v_add_co_u32 v4, vcc_lo, s6, v4
	v_add_co_ci_u32_e64 v5, null, s7, v5, vcc_lo
	v_add_co_u32 v6, vcc_lo, s12, v2
	v_add_co_ci_u32_e64 v7, null, s13, v7, vcc_lo
	v_mov_b32_e32 v2, 0
	v_mov_b32_e32 v9, 0
	;; [unrolled: 1-line block ×5, first 2 shown]
	s_lshl_b64 s[0:1], s[0:1], 3
	s_mov_b64 s[2:3], 0
.LBB5_2:                                ; =>This Inner Loop Header: Depth=1
	global_load_ushort v18, v[6:7], off
	global_load_ushort v19, v[4:5], off
	s_add_u32 s2, s2, 4
	s_addc_u32 s3, s3, 0
	v_add_co_u32 v4, vcc_lo, v4, s0
	v_cmp_lt_i64_e64 s6, s[2:3], s[22:23]
	v_add_co_ci_u32_e64 v5, null, s1, v5, vcc_lo
	v_add_co_u32 v6, vcc_lo, v6, 8
	v_add_co_ci_u32_e64 v7, null, 0, v7, vcc_lo
	s_and_b32 vcc_lo, exec_lo, s6
	s_waitcnt vmcnt(1)
	ds_write_b16 v16, v18
	s_waitcnt vmcnt(0)
	ds_write_b16 v17, v19
	s_waitcnt lgkmcnt(0)
	s_barrier
	buffer_gl0_inv
	ds_read_u16 v26, v14 offset:32
	ds_read_u16 v27, v14 offset:96
	;; [unrolled: 1-line block ×8, first 2 shown]
	ds_read2_b64 v[18:21], v15 offset1:16
	ds_read2_b64 v[22:25], v15 offset0:32 offset1:48
	s_waitcnt lgkmcnt(9)
	ds_read_u16_d16_hi v26, v14
	s_waitcnt lgkmcnt(9)
	ds_read_u16_d16_hi v27, v14 offset:64
	s_waitcnt lgkmcnt(9)
	ds_read_u16_d16_hi v28, v14 offset:128
	;; [unrolled: 2-line block ×7, first 2 shown]
	s_waitcnt lgkmcnt(0)
	s_barrier
	buffer_gl0_inv
	v_pk_fma_f16 v3, v26, v18, v3 op_sel_hi:[1,0,1]
	v_pk_fma_f16 v13, v27, v18, v13 op_sel_hi:[1,0,1]
	;; [unrolled: 1-line block ×8, first 2 shown]
	v_pk_fma_f16 v3, v28, v18, v3 op_sel:[0,1,0]
	v_pk_fma_f16 v13, v29, v18, v13 op_sel:[0,1,0]
	;; [unrolled: 1-line block ×8, first 2 shown]
	v_pk_fma_f16 v3, v30, v19, v3 op_sel_hi:[1,0,1]
	v_pk_fma_f16 v13, v31, v19, v13 op_sel_hi:[1,0,1]
	;; [unrolled: 1-line block ×8, first 2 shown]
	v_pk_fma_f16 v3, v32, v19, v3 op_sel:[0,1,0]
	v_pk_fma_f16 v13, v33, v19, v13 op_sel:[0,1,0]
	;; [unrolled: 1-line block ×8, first 2 shown]
	s_cbranch_vccnz .LBB5_2
	s_branch .LBB5_4
.LBB5_3:
	v_mov_b32_e32 v13, 0
	v_mov_b32_e32 v12, 0
	;; [unrolled: 1-line block ×7, first 2 shown]
.LBB5_4:
	s_clause 0x3
	s_load_dwordx4 s[12:15], s[4:5], 0x78
	s_load_dword s16, s[4:5], 0x50
	s_load_dword s9, s[4:5], 0x18
	s_load_dwordx8 s[0:7], s[4:5], 0x58
	v_add_co_u32 v17, s17, s20, v1
	v_add_co_ci_u32_e64 v21, null, s21, 0, s17
	v_add_co_u32 v0, s10, s10, v0
	v_add_co_ci_u32_e64 v1, null, s11, 0, s10
	v_lshrrev_b32_e32 v18, 16, v3
	v_lshrrev_b32_e32 v16, 16, v13
	;; [unrolled: 1-line block ×3, first 2 shown]
	v_lshlrev_b64 v[0:1], 1, v[0:1]
	v_lshrrev_b32_e32 v14, 16, v11
	v_lshrrev_b32_e32 v7, 16, v10
	;; [unrolled: 1-line block ×4, first 2 shown]
	s_waitcnt lgkmcnt(0)
	s_mul_i32 s11, s15, s8
	s_mul_hi_u32 s15, s14, s8
	v_mul_lo_u32 v19, v21, s12
	v_mul_lo_u32 v20, v17, s13
	s_mul_i32 s10, s14, s8
	v_cmp_neq_f16_e64 s14, s16, 0
	s_add_i32 s11, s15, s11
	v_lshrrev_b32_e32 v4, 16, v2
	s_lshl_b64 s[10:11], s[10:11], 1
	s_add_u32 s6, s6, s10
	s_addc_u32 s7, s7, s11
	s_and_b32 vcc_lo, exec_lo, s14
	s_mov_b32 s10, 0
	s_cbranch_vccnz .LBB5_8
; %bb.5:
	v_mad_u64_u32 v[22:23], null, v17, s12, 0
	s_lshl_b64 s[14:15], s[12:13], 5
	v_mul_f16_sdwa v26, s9, v3 dst_sel:DWORD dst_unused:UNUSED_PAD src0_sel:DWORD src1_sel:WORD_1
	v_mul_f16_e32 v27, s9, v3
	v_mul_f16_sdwa v28, s9, v13 dst_sel:DWORD dst_unused:UNUSED_PAD src0_sel:DWORD src1_sel:WORD_1
	v_mul_f16_e32 v29, s9, v13
	v_mul_f16_sdwa v30, s9, v12 dst_sel:DWORD dst_unused:UNUSED_PAD src0_sel:DWORD src1_sel:WORD_1
	v_add3_u32 v23, v23, v20, v19
	v_mul_f16_e32 v31, s9, v12
	v_mul_f16_sdwa v32, s9, v11 dst_sel:DWORD dst_unused:UNUSED_PAD src0_sel:DWORD src1_sel:WORD_1
	v_mul_f16_e32 v33, s9, v11
	v_lshlrev_b64 v[22:23], 1, v[22:23]
	v_add_co_u32 v22, vcc_lo, s6, v22
	v_add_co_ci_u32_e64 v23, null, s7, v23, vcc_lo
	v_add_co_u32 v34, vcc_lo, v22, s14
	v_add_co_ci_u32_e64 v35, null, s15, v23, vcc_lo
	;; [unrolled: 2-line block ×4, first 2 shown]
	global_store_short v[22:23], v26, off
	global_store_short v[22:23], v27, off offset:32
	global_store_short v[22:23], v28, off offset:64
	;; [unrolled: 1-line block ×3, first 2 shown]
	global_store_short v[24:25], v30, off
	global_store_short v[24:25], v31, off offset:32
	v_add_co_u32 v26, vcc_lo, v34, s14
	v_add_co_ci_u32_e64 v27, null, s15, v35, vcc_lo
	v_mul_f16_sdwa v28, s9, v10 dst_sel:DWORD dst_unused:UNUSED_PAD src0_sel:DWORD src1_sel:WORD_1
	v_add_co_u32 v22, vcc_lo, v26, v0
	v_add_co_ci_u32_e64 v23, null, v27, v1, vcc_lo
	v_mul_f16_e32 v29, s9, v10
	v_mul_f16_sdwa v30, s9, v9 dst_sel:DWORD dst_unused:UNUSED_PAD src0_sel:DWORD src1_sel:WORD_1
	global_store_short v[24:25], v32, off offset:64
	global_store_short v[24:25], v33, off offset:96
	global_store_short v[22:23], v28, off
	global_store_short v[22:23], v29, off offset:32
	global_store_short v[22:23], v30, off offset:64
	v_add_co_u32 v24, vcc_lo, v26, s14
	v_add_co_ci_u32_e64 v25, null, s15, v27, vcc_lo
	v_mul_f16_e32 v28, s9, v9
	v_add_co_u32 v24, vcc_lo, v24, v0
	v_mul_f16_sdwa v26, s9, v8 dst_sel:DWORD dst_unused:UNUSED_PAD src0_sel:DWORD src1_sel:WORD_1
	v_add_co_ci_u32_e64 v25, null, v25, v1, vcc_lo
	v_mul_f16_e32 v27, s9, v8
	v_mul_f16_sdwa v29, s9, v2 dst_sel:DWORD dst_unused:UNUSED_PAD src0_sel:DWORD src1_sel:WORD_1
	v_mul_f16_e32 v30, s9, v2
	global_store_short v[22:23], v28, off offset:96
	global_store_short v[24:25], v26, off
	global_store_short v[24:25], v27, off offset:32
	global_store_short v[24:25], v29, off offset:64
	global_store_short v[24:25], v30, off offset:96
	s_andn2_b32 vcc_lo, exec_lo, s10
	s_cbranch_vccnz .LBB5_7
.LBB5_6:
	v_mul_lo_u32 v23, v21, s2
	v_mul_lo_u32 v24, v17, s3
	v_mad_u64_u32 v[21:22], null, v17, s2, 0
	s_mul_i32 s5, s5, s8
	s_mul_hi_u32 s10, s4, s8
	s_mul_i32 s4, s4, s8
	s_add_i32 s5, s10, s5
	s_lshl_b64 s[4:5], s[4:5], 1
	v_add3_u32 v22, v22, v24, v23
	s_add_u32 s0, s0, s4
	s_addc_u32 s1, s1, s5
	v_mad_u64_u32 v[23:24], null, v17, s12, 0
	v_lshlrev_b64 v[21:22], 1, v[21:22]
	v_add3_u32 v24, v24, v20, v19
	v_add_co_u32 v25, vcc_lo, s0, v21
	v_add_co_ci_u32_e64 v26, null, s1, v22, vcc_lo
	v_lshlrev_b64 v[19:20], 1, v[23:24]
	v_add_co_u32 v21, vcc_lo, v25, v0
	v_add_co_ci_u32_e64 v22, null, v26, v1, vcc_lo
	s_lshl_b64 s[0:1], s[2:3], 5
	v_add_co_u32 v23, vcc_lo, s6, v19
	global_load_ushort v27, v[21:22], off
	v_add_co_ci_u32_e64 v24, null, s7, v20, vcc_lo
	v_add_co_u32 v19, vcc_lo, v23, v0
	s_lshl_b64 s[2:3], s[12:13], 5
	v_add_co_ci_u32_e64 v20, null, v24, v1, vcc_lo
	s_waitcnt vmcnt(0)
	v_mul_f16_e32 v17, s16, v27
	v_fmac_f16_e32 v17, s9, v18
	global_store_short v[19:20], v17, off
	global_load_ushort v17, v[21:22], off offset:32
	s_waitcnt vmcnt(0)
	v_mul_f16_e32 v17, s16, v17
	v_fmac_f16_e32 v17, s9, v3
	global_store_short v[19:20], v17, off offset:32
	global_load_ushort v3, v[21:22], off offset:64
	s_waitcnt vmcnt(0)
	v_mul_f16_e32 v3, s16, v3
	v_fmac_f16_e32 v3, s9, v16
	global_store_short v[19:20], v3, off offset:64
	global_load_ushort v3, v[21:22], off offset:96
	v_add_co_u32 v21, vcc_lo, v25, s0
	v_add_co_ci_u32_e64 v22, null, s1, v26, vcc_lo
	v_add_co_u32 v16, vcc_lo, v21, v0
	v_add_co_ci_u32_e64 v17, null, v22, v1, vcc_lo
	s_waitcnt vmcnt(0)
	v_mul_f16_e32 v3, s16, v3
	v_fmac_f16_e32 v3, s9, v13
	v_add_co_u32 v13, vcc_lo, v23, s2
	global_store_short v[19:20], v3, off offset:96
	global_load_ushort v3, v[16:17], off
	v_add_co_ci_u32_e64 v20, null, s3, v24, vcc_lo
	v_add_co_u32 v18, vcc_lo, v13, v0
	v_add_co_ci_u32_e64 v19, null, v20, v1, vcc_lo
	s_waitcnt vmcnt(0)
	v_mul_f16_e32 v3, s16, v3
	v_fmac_f16_e32 v3, s9, v15
	v_add_co_u32 v15, vcc_lo, v21, s0
	global_store_short v[18:19], v3, off
	global_load_ushort v3, v[16:17], off offset:32
	s_waitcnt vmcnt(0)
	v_mul_f16_e32 v3, s16, v3
	v_fmac_f16_e32 v3, s9, v12
	global_store_short v[18:19], v3, off offset:32
	global_load_ushort v3, v[16:17], off offset:64
	s_waitcnt vmcnt(0)
	v_mul_f16_e32 v3, s16, v3
	v_fmac_f16_e32 v3, s9, v14
	global_store_short v[18:19], v3, off offset:64
	global_load_ushort v3, v[16:17], off offset:96
	v_add_co_ci_u32_e64 v16, null, s1, v22, vcc_lo
	s_waitcnt vmcnt(0)
	v_mul_f16_e32 v3, s16, v3
	v_fmac_f16_e32 v3, s9, v11
	v_add_co_u32 v11, vcc_lo, v15, v0
	v_add_co_ci_u32_e64 v12, null, v16, v1, vcc_lo
	global_store_short v[18:19], v3, off offset:96
	v_add_co_u32 v17, vcc_lo, v13, s2
	global_load_ushort v3, v[11:12], off
	v_add_co_ci_u32_e64 v18, null, s3, v20, vcc_lo
	v_add_co_u32 v13, vcc_lo, v17, v0
	v_add_co_ci_u32_e64 v14, null, v18, v1, vcc_lo
	s_waitcnt vmcnt(0)
	v_mul_f16_e32 v3, s16, v3
	v_fmac_f16_e32 v3, s9, v7
	global_store_short v[13:14], v3, off
	global_load_ushort v3, v[11:12], off offset:32
	s_waitcnt vmcnt(0)
	v_mul_f16_e32 v3, s16, v3
	v_fmac_f16_e32 v3, s9, v10
	global_store_short v[13:14], v3, off offset:32
	global_load_ushort v3, v[11:12], off offset:64
	s_waitcnt vmcnt(0)
	v_mul_f16_e32 v3, s16, v3
	v_fmac_f16_e32 v3, s9, v6
	v_add_co_u32 v6, vcc_lo, v15, s0
	v_add_co_ci_u32_e64 v7, null, s1, v16, vcc_lo
	global_store_short v[13:14], v3, off offset:64
	global_load_ushort v3, v[11:12], off offset:96
	v_add_co_u32 v6, vcc_lo, v6, v0
	v_add_co_ci_u32_e64 v7, null, v7, v1, vcc_lo
	s_waitcnt vmcnt(0)
	v_mul_f16_e32 v3, s16, v3
	v_fmac_f16_e32 v3, s9, v9
	v_add_co_u32 v9, vcc_lo, v17, s2
	v_add_co_ci_u32_e64 v10, null, s3, v18, vcc_lo
	global_store_short v[13:14], v3, off offset:96
	global_load_ushort v3, v[6:7], off
	v_add_co_u32 v0, vcc_lo, v9, v0
	v_add_co_ci_u32_e64 v1, null, v10, v1, vcc_lo
	s_waitcnt vmcnt(0)
	v_mul_f16_e32 v3, s16, v3
	v_fmac_f16_e32 v3, s9, v5
	global_store_short v[0:1], v3, off
	global_load_ushort v3, v[6:7], off offset:32
	s_waitcnt vmcnt(0)
	v_mul_f16_e32 v3, s16, v3
	v_fmac_f16_e32 v3, s9, v8
	global_store_short v[0:1], v3, off offset:32
	global_load_ushort v3, v[6:7], off offset:64
	s_waitcnt vmcnt(0)
	v_mul_f16_e32 v3, s16, v3
	v_fmac_f16_e32 v3, s9, v4
	global_store_short v[0:1], v3, off offset:64
	;; [unrolled: 5-line block ×3, first 2 shown]
.LBB5_7:
	s_endpgm
.LBB5_8:
	s_branch .LBB5_6
	.section	.rodata,"a",@progbits
	.p2align	6, 0x0
	.amdhsa_kernel _ZN12_GLOBAL__N_127rocblas_gemm_batched_kernelIDF16_Li16ELi16ELi64ELi64ELi4ELi64ELi4ELi4ELi64ELc84ELc84EKDF16_S1_DF16_EEvlllT_PT11_llS4_llS2_PT12_llPT13_lli
		.amdhsa_group_segment_fixed_size 1024
		.amdhsa_private_segment_fixed_size 0
		.amdhsa_kernarg_size 140
		.amdhsa_user_sgpr_count 6
		.amdhsa_user_sgpr_private_segment_buffer 1
		.amdhsa_user_sgpr_dispatch_ptr 0
		.amdhsa_user_sgpr_queue_ptr 0
		.amdhsa_user_sgpr_kernarg_segment_ptr 1
		.amdhsa_user_sgpr_dispatch_id 0
		.amdhsa_user_sgpr_flat_scratch_init 0
		.amdhsa_user_sgpr_private_segment_size 0
		.amdhsa_wavefront_size32 1
		.amdhsa_uses_dynamic_stack 0
		.amdhsa_system_sgpr_private_segment_wavefront_offset 0
		.amdhsa_system_sgpr_workgroup_id_x 1
		.amdhsa_system_sgpr_workgroup_id_y 1
		.amdhsa_system_sgpr_workgroup_id_z 1
		.amdhsa_system_sgpr_workgroup_info 0
		.amdhsa_system_vgpr_workitem_id 1
		.amdhsa_next_free_vgpr 36
		.amdhsa_next_free_sgpr 24
		.amdhsa_reserve_vcc 1
		.amdhsa_reserve_flat_scratch 0
		.amdhsa_float_round_mode_32 0
		.amdhsa_float_round_mode_16_64 0
		.amdhsa_float_denorm_mode_32 3
		.amdhsa_float_denorm_mode_16_64 3
		.amdhsa_dx10_clamp 1
		.amdhsa_ieee_mode 1
		.amdhsa_fp16_overflow 0
		.amdhsa_workgroup_processor_mode 1
		.amdhsa_memory_ordered 1
		.amdhsa_forward_progress 1
		.amdhsa_shared_vgpr_count 0
		.amdhsa_exception_fp_ieee_invalid_op 0
		.amdhsa_exception_fp_denorm_src 0
		.amdhsa_exception_fp_ieee_div_zero 0
		.amdhsa_exception_fp_ieee_overflow 0
		.amdhsa_exception_fp_ieee_underflow 0
		.amdhsa_exception_fp_ieee_inexact 0
		.amdhsa_exception_int_div_zero 0
	.end_amdhsa_kernel
	.section	.text._ZN12_GLOBAL__N_127rocblas_gemm_batched_kernelIDF16_Li16ELi16ELi64ELi64ELi4ELi64ELi4ELi4ELi64ELc84ELc84EKDF16_S1_DF16_EEvlllT_PT11_llS4_llS2_PT12_llPT13_lli,"axG",@progbits,_ZN12_GLOBAL__N_127rocblas_gemm_batched_kernelIDF16_Li16ELi16ELi64ELi64ELi4ELi64ELi4ELi4ELi64ELc84ELc84EKDF16_S1_DF16_EEvlllT_PT11_llS4_llS2_PT12_llPT13_lli,comdat
.Lfunc_end5:
	.size	_ZN12_GLOBAL__N_127rocblas_gemm_batched_kernelIDF16_Li16ELi16ELi64ELi64ELi4ELi64ELi4ELi4ELi64ELc84ELc84EKDF16_S1_DF16_EEvlllT_PT11_llS4_llS2_PT12_llPT13_lli, .Lfunc_end5-_ZN12_GLOBAL__N_127rocblas_gemm_batched_kernelIDF16_Li16ELi16ELi64ELi64ELi4ELi64ELi4ELi4ELi64ELc84ELc84EKDF16_S1_DF16_EEvlllT_PT11_llS4_llS2_PT12_llPT13_lli
                                        ; -- End function
	.set _ZN12_GLOBAL__N_127rocblas_gemm_batched_kernelIDF16_Li16ELi16ELi64ELi64ELi4ELi64ELi4ELi4ELi64ELc84ELc84EKDF16_S1_DF16_EEvlllT_PT11_llS4_llS2_PT12_llPT13_lli.num_vgpr, 36
	.set _ZN12_GLOBAL__N_127rocblas_gemm_batched_kernelIDF16_Li16ELi16ELi64ELi64ELi4ELi64ELi4ELi4ELi64ELc84ELc84EKDF16_S1_DF16_EEvlllT_PT11_llS4_llS2_PT12_llPT13_lli.num_agpr, 0
	.set _ZN12_GLOBAL__N_127rocblas_gemm_batched_kernelIDF16_Li16ELi16ELi64ELi64ELi4ELi64ELi4ELi4ELi64ELc84ELc84EKDF16_S1_DF16_EEvlllT_PT11_llS4_llS2_PT12_llPT13_lli.numbered_sgpr, 24
	.set _ZN12_GLOBAL__N_127rocblas_gemm_batched_kernelIDF16_Li16ELi16ELi64ELi64ELi4ELi64ELi4ELi4ELi64ELc84ELc84EKDF16_S1_DF16_EEvlllT_PT11_llS4_llS2_PT12_llPT13_lli.num_named_barrier, 0
	.set _ZN12_GLOBAL__N_127rocblas_gemm_batched_kernelIDF16_Li16ELi16ELi64ELi64ELi4ELi64ELi4ELi4ELi64ELc84ELc84EKDF16_S1_DF16_EEvlllT_PT11_llS4_llS2_PT12_llPT13_lli.private_seg_size, 0
	.set _ZN12_GLOBAL__N_127rocblas_gemm_batched_kernelIDF16_Li16ELi16ELi64ELi64ELi4ELi64ELi4ELi4ELi64ELc84ELc84EKDF16_S1_DF16_EEvlllT_PT11_llS4_llS2_PT12_llPT13_lli.uses_vcc, 1
	.set _ZN12_GLOBAL__N_127rocblas_gemm_batched_kernelIDF16_Li16ELi16ELi64ELi64ELi4ELi64ELi4ELi4ELi64ELc84ELc84EKDF16_S1_DF16_EEvlllT_PT11_llS4_llS2_PT12_llPT13_lli.uses_flat_scratch, 0
	.set _ZN12_GLOBAL__N_127rocblas_gemm_batched_kernelIDF16_Li16ELi16ELi64ELi64ELi4ELi64ELi4ELi4ELi64ELc84ELc84EKDF16_S1_DF16_EEvlllT_PT11_llS4_llS2_PT12_llPT13_lli.has_dyn_sized_stack, 0
	.set _ZN12_GLOBAL__N_127rocblas_gemm_batched_kernelIDF16_Li16ELi16ELi64ELi64ELi4ELi64ELi4ELi4ELi64ELc84ELc84EKDF16_S1_DF16_EEvlllT_PT11_llS4_llS2_PT12_llPT13_lli.has_recursion, 0
	.set _ZN12_GLOBAL__N_127rocblas_gemm_batched_kernelIDF16_Li16ELi16ELi64ELi64ELi4ELi64ELi4ELi4ELi64ELc84ELc84EKDF16_S1_DF16_EEvlllT_PT11_llS4_llS2_PT12_llPT13_lli.has_indirect_call, 0
	.section	.AMDGPU.csdata,"",@progbits
; Kernel info:
; codeLenInByte = 2368
; TotalNumSgprs: 26
; NumVgprs: 36
; ScratchSize: 0
; MemoryBound: 0
; FloatMode: 240
; IeeeMode: 1
; LDSByteSize: 1024 bytes/workgroup (compile time only)
; SGPRBlocks: 0
; VGPRBlocks: 4
; NumSGPRsForWavesPerEU: 26
; NumVGPRsForWavesPerEU: 36
; Occupancy: 16
; WaveLimiterHint : 0
; COMPUTE_PGM_RSRC2:SCRATCH_EN: 0
; COMPUTE_PGM_RSRC2:USER_SGPR: 6
; COMPUTE_PGM_RSRC2:TRAP_HANDLER: 0
; COMPUTE_PGM_RSRC2:TGID_X_EN: 1
; COMPUTE_PGM_RSRC2:TGID_Y_EN: 1
; COMPUTE_PGM_RSRC2:TGID_Z_EN: 1
; COMPUTE_PGM_RSRC2:TIDIG_COMP_CNT: 1
	.section	.text._ZN12_GLOBAL__N_127rocblas_gemm_batched_kernelIDF16_Li16ELi16ELi64ELi64ELi4ELi64ELi4ELi4ELi64ELc67ELc67EKDF16_S1_DF16_EEvlllT_PT11_llS4_llS2_PT12_llPT13_lli,"axG",@progbits,_ZN12_GLOBAL__N_127rocblas_gemm_batched_kernelIDF16_Li16ELi16ELi64ELi64ELi4ELi64ELi4ELi4ELi64ELc67ELc67EKDF16_S1_DF16_EEvlllT_PT11_llS4_llS2_PT12_llPT13_lli,comdat
	.globl	_ZN12_GLOBAL__N_127rocblas_gemm_batched_kernelIDF16_Li16ELi16ELi64ELi64ELi4ELi64ELi4ELi4ELi64ELc67ELc67EKDF16_S1_DF16_EEvlllT_PT11_llS4_llS2_PT12_llPT13_lli ; -- Begin function _ZN12_GLOBAL__N_127rocblas_gemm_batched_kernelIDF16_Li16ELi16ELi64ELi64ELi4ELi64ELi4ELi4ELi64ELc67ELc67EKDF16_S1_DF16_EEvlllT_PT11_llS4_llS2_PT12_llPT13_lli
	.p2align	8
	.type	_ZN12_GLOBAL__N_127rocblas_gemm_batched_kernelIDF16_Li16ELi16ELi64ELi64ELi4ELi64ELi4ELi4ELi64ELc67ELc67EKDF16_S1_DF16_EEvlllT_PT11_llS4_llS2_PT12_llPT13_lli,@function
_ZN12_GLOBAL__N_127rocblas_gemm_batched_kernelIDF16_Li16ELi16ELi64ELi64ELi4ELi64ELi4ELi4ELi64ELc67ELc67EKDF16_S1_DF16_EEvlllT_PT11_llS4_llS2_PT12_llPT13_lli: ; @_ZN12_GLOBAL__N_127rocblas_gemm_batched_kernelIDF16_Li16ELi16ELi64ELi64ELi4ELi64ELi4ELi4ELi64ELc67ELc67EKDF16_S1_DF16_EEvlllT_PT11_llS4_llS2_PT12_llPT13_lli
; %bb.0:
	s_load_dwordx2 s[22:23], s[4:5], 0x10
	s_mov_b32 s0, s7
	v_mov_b32_e32 v3, 0
	s_ashr_i32 s7, s6, 31
	s_ashr_i32 s1, s0, 31
	s_lshl_b64 s[10:11], s[6:7], 6
	s_lshl_b64 s[20:21], s[0:1], 6
	s_waitcnt lgkmcnt(0)
	v_cmp_lt_i64_e64 s2, s[22:23], 1
	s_and_b32 vcc_lo, exec_lo, s2
	s_cbranch_vccnz .LBB6_3
; %bb.1:
	s_clause 0x1
	s_load_dwordx4 s[0:3], s[4:5], 0x40
	s_load_dwordx8 s[12:19], s[4:5], 0x20
	v_lshl_add_u32 v4, v1, 4, v0
	v_and_b32_e32 v8, 3, v0
	v_lshlrev_b32_e32 v14, 1, v0
	v_lshl_add_u32 v15, v1, 3, 0x200
	v_lshrrev_b32_e32 v2, 2, v4
	v_and_b32_e32 v5, 63, v4
	v_lshlrev_b32_e32 v6, 1, v8
	v_lshrrev_b32_e32 v10, 6, v4
	v_lshlrev_b32_e32 v9, 1, v5
	v_lshl_or_b32 v11, v2, 3, v6
	v_add_co_u32 v6, s6, s10, v5
	v_add_co_ci_u32_e64 v7, null, s11, 0, s6
	v_lshl_or_b32 v16, v10, 7, v9
	s_waitcnt lgkmcnt(0)
	v_mad_u64_u32 v[4:5], null, s0, v8, v[2:3]
	v_mul_lo_u32 v12, s15, v6
	v_mul_lo_u32 v13, s14, v7
	v_mad_u64_u32 v[6:7], null, s14, v6, 0
	s_mul_i32 s3, s3, s8
	s_mul_hi_u32 s6, s2, s8
	v_mov_b32_e32 v2, v5
	s_mul_i32 s2, s2, s8
	s_add_i32 s3, s6, s3
	v_add_nc_u32_e32 v17, 0x200, v11
	v_add3_u32 v7, v7, v13, v12
	v_mad_u64_u32 v[8:9], null, s1, v8, v[2:3]
	s_lshl_b64 s[2:3], s[2:3], 1
	v_lshlrev_b32_e32 v2, 1, v10
	s_add_u32 s6, s18, s2
	s_addc_u32 s7, s19, s3
	s_mul_i32 s2, s17, s8
	s_mul_hi_u32 s3, s16, s8
	v_lshlrev_b64 v[5:6], 1, v[6:7]
	v_add_co_u32 v7, vcc_lo, v4, s20
	s_add_i32 s3, s3, s2
	s_mul_i32 s2, s16, s8
	v_add_co_ci_u32_e64 v8, null, s21, v8, vcc_lo
	s_lshl_b64 s[2:3], s[2:3], 1
	v_mov_b32_e32 v10, 0
	v_add_co_u32 v9, vcc_lo, v5, s2
	v_add_co_ci_u32_e64 v6, null, s3, v6, vcc_lo
	v_lshlrev_b64 v[4:5], 1, v[7:8]
	v_add_co_u32 v2, vcc_lo, v9, v2
	v_add_co_ci_u32_e64 v7, null, 0, v6, vcc_lo
	v_mov_b32_e32 v8, 0
	v_add_co_u32 v4, vcc_lo, s6, v4
	v_add_co_ci_u32_e64 v5, null, s7, v5, vcc_lo
	v_add_co_u32 v6, vcc_lo, s12, v2
	v_add_co_ci_u32_e64 v7, null, s13, v7, vcc_lo
	v_mov_b32_e32 v2, 0
	v_mov_b32_e32 v9, 0
	;; [unrolled: 1-line block ×5, first 2 shown]
	s_lshl_b64 s[0:1], s[0:1], 3
	s_mov_b64 s[2:3], 0
.LBB6_2:                                ; =>This Inner Loop Header: Depth=1
	global_load_ushort v18, v[6:7], off
	global_load_ushort v19, v[4:5], off
	s_add_u32 s2, s2, 4
	s_addc_u32 s3, s3, 0
	v_add_co_u32 v4, vcc_lo, v4, s0
	v_cmp_lt_i64_e64 s6, s[2:3], s[22:23]
	v_add_co_ci_u32_e64 v5, null, s1, v5, vcc_lo
	v_add_co_u32 v6, vcc_lo, v6, 8
	v_add_co_ci_u32_e64 v7, null, 0, v7, vcc_lo
	s_and_b32 vcc_lo, exec_lo, s6
	s_waitcnt vmcnt(1)
	ds_write_b16 v16, v18
	s_waitcnt vmcnt(0)
	ds_write_b16 v17, v19
	s_waitcnt lgkmcnt(0)
	s_barrier
	buffer_gl0_inv
	ds_read_u16 v26, v14 offset:32
	ds_read_u16 v27, v14 offset:96
	;; [unrolled: 1-line block ×8, first 2 shown]
	ds_read2_b64 v[18:21], v15 offset1:16
	ds_read2_b64 v[22:25], v15 offset0:32 offset1:48
	s_waitcnt lgkmcnt(9)
	ds_read_u16_d16_hi v26, v14
	s_waitcnt lgkmcnt(9)
	ds_read_u16_d16_hi v27, v14 offset:64
	s_waitcnt lgkmcnt(9)
	ds_read_u16_d16_hi v28, v14 offset:128
	;; [unrolled: 2-line block ×7, first 2 shown]
	s_waitcnt lgkmcnt(0)
	s_barrier
	buffer_gl0_inv
	v_pk_fma_f16 v3, v26, v18, v3 op_sel_hi:[1,0,1]
	v_pk_fma_f16 v13, v27, v18, v13 op_sel_hi:[1,0,1]
	;; [unrolled: 1-line block ×8, first 2 shown]
	v_pk_fma_f16 v3, v28, v18, v3 op_sel:[0,1,0]
	v_pk_fma_f16 v13, v29, v18, v13 op_sel:[0,1,0]
	;; [unrolled: 1-line block ×8, first 2 shown]
	v_pk_fma_f16 v3, v30, v19, v3 op_sel_hi:[1,0,1]
	v_pk_fma_f16 v13, v31, v19, v13 op_sel_hi:[1,0,1]
	;; [unrolled: 1-line block ×8, first 2 shown]
	v_pk_fma_f16 v3, v32, v19, v3 op_sel:[0,1,0]
	v_pk_fma_f16 v13, v33, v19, v13 op_sel:[0,1,0]
	;; [unrolled: 1-line block ×8, first 2 shown]
	s_cbranch_vccnz .LBB6_2
	s_branch .LBB6_4
.LBB6_3:
	v_mov_b32_e32 v13, 0
	v_mov_b32_e32 v12, 0
	;; [unrolled: 1-line block ×7, first 2 shown]
.LBB6_4:
	s_clause 0x3
	s_load_dwordx4 s[12:15], s[4:5], 0x78
	s_load_dword s16, s[4:5], 0x50
	s_load_dword s9, s[4:5], 0x18
	s_load_dwordx8 s[0:7], s[4:5], 0x58
	v_add_co_u32 v17, s17, s20, v1
	v_add_co_ci_u32_e64 v21, null, s21, 0, s17
	v_add_co_u32 v0, s10, s10, v0
	v_add_co_ci_u32_e64 v1, null, s11, 0, s10
	v_lshrrev_b32_e32 v18, 16, v3
	v_lshrrev_b32_e32 v16, 16, v13
	;; [unrolled: 1-line block ×3, first 2 shown]
	v_lshlrev_b64 v[0:1], 1, v[0:1]
	v_lshrrev_b32_e32 v14, 16, v11
	v_lshrrev_b32_e32 v7, 16, v10
	;; [unrolled: 1-line block ×4, first 2 shown]
	s_waitcnt lgkmcnt(0)
	s_mul_i32 s11, s15, s8
	s_mul_hi_u32 s15, s14, s8
	v_mul_lo_u32 v19, v21, s12
	v_mul_lo_u32 v20, v17, s13
	s_mul_i32 s10, s14, s8
	v_cmp_neq_f16_e64 s14, s16, 0
	s_add_i32 s11, s15, s11
	v_lshrrev_b32_e32 v4, 16, v2
	s_lshl_b64 s[10:11], s[10:11], 1
	s_add_u32 s6, s6, s10
	s_addc_u32 s7, s7, s11
	s_and_b32 vcc_lo, exec_lo, s14
	s_mov_b32 s10, 0
	s_cbranch_vccnz .LBB6_8
; %bb.5:
	v_mad_u64_u32 v[22:23], null, v17, s12, 0
	s_lshl_b64 s[14:15], s[12:13], 5
	v_mul_f16_sdwa v26, s9, v3 dst_sel:DWORD dst_unused:UNUSED_PAD src0_sel:DWORD src1_sel:WORD_1
	v_mul_f16_e32 v27, s9, v3
	v_mul_f16_sdwa v28, s9, v13 dst_sel:DWORD dst_unused:UNUSED_PAD src0_sel:DWORD src1_sel:WORD_1
	v_mul_f16_e32 v29, s9, v13
	v_mul_f16_sdwa v30, s9, v12 dst_sel:DWORD dst_unused:UNUSED_PAD src0_sel:DWORD src1_sel:WORD_1
	v_add3_u32 v23, v23, v20, v19
	v_mul_f16_e32 v31, s9, v12
	v_mul_f16_sdwa v32, s9, v11 dst_sel:DWORD dst_unused:UNUSED_PAD src0_sel:DWORD src1_sel:WORD_1
	v_mul_f16_e32 v33, s9, v11
	v_lshlrev_b64 v[22:23], 1, v[22:23]
	v_add_co_u32 v22, vcc_lo, s6, v22
	v_add_co_ci_u32_e64 v23, null, s7, v23, vcc_lo
	v_add_co_u32 v34, vcc_lo, v22, s14
	v_add_co_ci_u32_e64 v35, null, s15, v23, vcc_lo
	;; [unrolled: 2-line block ×4, first 2 shown]
	global_store_short v[22:23], v26, off
	global_store_short v[22:23], v27, off offset:32
	global_store_short v[22:23], v28, off offset:64
	;; [unrolled: 1-line block ×3, first 2 shown]
	global_store_short v[24:25], v30, off
	global_store_short v[24:25], v31, off offset:32
	v_add_co_u32 v26, vcc_lo, v34, s14
	v_add_co_ci_u32_e64 v27, null, s15, v35, vcc_lo
	v_mul_f16_sdwa v28, s9, v10 dst_sel:DWORD dst_unused:UNUSED_PAD src0_sel:DWORD src1_sel:WORD_1
	v_add_co_u32 v22, vcc_lo, v26, v0
	v_add_co_ci_u32_e64 v23, null, v27, v1, vcc_lo
	v_mul_f16_e32 v29, s9, v10
	v_mul_f16_sdwa v30, s9, v9 dst_sel:DWORD dst_unused:UNUSED_PAD src0_sel:DWORD src1_sel:WORD_1
	global_store_short v[24:25], v32, off offset:64
	global_store_short v[24:25], v33, off offset:96
	global_store_short v[22:23], v28, off
	global_store_short v[22:23], v29, off offset:32
	global_store_short v[22:23], v30, off offset:64
	v_add_co_u32 v24, vcc_lo, v26, s14
	v_add_co_ci_u32_e64 v25, null, s15, v27, vcc_lo
	v_mul_f16_e32 v28, s9, v9
	v_add_co_u32 v24, vcc_lo, v24, v0
	v_mul_f16_sdwa v26, s9, v8 dst_sel:DWORD dst_unused:UNUSED_PAD src0_sel:DWORD src1_sel:WORD_1
	v_add_co_ci_u32_e64 v25, null, v25, v1, vcc_lo
	v_mul_f16_e32 v27, s9, v8
	v_mul_f16_sdwa v29, s9, v2 dst_sel:DWORD dst_unused:UNUSED_PAD src0_sel:DWORD src1_sel:WORD_1
	v_mul_f16_e32 v30, s9, v2
	global_store_short v[22:23], v28, off offset:96
	global_store_short v[24:25], v26, off
	global_store_short v[24:25], v27, off offset:32
	global_store_short v[24:25], v29, off offset:64
	;; [unrolled: 1-line block ×3, first 2 shown]
	s_andn2_b32 vcc_lo, exec_lo, s10
	s_cbranch_vccnz .LBB6_7
.LBB6_6:
	v_mul_lo_u32 v23, v21, s2
	v_mul_lo_u32 v24, v17, s3
	v_mad_u64_u32 v[21:22], null, v17, s2, 0
	s_mul_i32 s5, s5, s8
	s_mul_hi_u32 s10, s4, s8
	s_mul_i32 s4, s4, s8
	s_add_i32 s5, s10, s5
	s_lshl_b64 s[4:5], s[4:5], 1
	v_add3_u32 v22, v22, v24, v23
	s_add_u32 s0, s0, s4
	s_addc_u32 s1, s1, s5
	v_mad_u64_u32 v[23:24], null, v17, s12, 0
	v_lshlrev_b64 v[21:22], 1, v[21:22]
	v_add3_u32 v24, v24, v20, v19
	v_add_co_u32 v25, vcc_lo, s0, v21
	v_add_co_ci_u32_e64 v26, null, s1, v22, vcc_lo
	v_lshlrev_b64 v[19:20], 1, v[23:24]
	v_add_co_u32 v21, vcc_lo, v25, v0
	v_add_co_ci_u32_e64 v22, null, v26, v1, vcc_lo
	s_lshl_b64 s[0:1], s[2:3], 5
	v_add_co_u32 v23, vcc_lo, s6, v19
	global_load_ushort v27, v[21:22], off
	v_add_co_ci_u32_e64 v24, null, s7, v20, vcc_lo
	v_add_co_u32 v19, vcc_lo, v23, v0
	s_lshl_b64 s[2:3], s[12:13], 5
	v_add_co_ci_u32_e64 v20, null, v24, v1, vcc_lo
	s_waitcnt vmcnt(0)
	v_mul_f16_e32 v17, s16, v27
	v_fmac_f16_e32 v17, s9, v18
	global_store_short v[19:20], v17, off
	global_load_ushort v17, v[21:22], off offset:32
	s_waitcnt vmcnt(0)
	v_mul_f16_e32 v17, s16, v17
	v_fmac_f16_e32 v17, s9, v3
	global_store_short v[19:20], v17, off offset:32
	global_load_ushort v3, v[21:22], off offset:64
	s_waitcnt vmcnt(0)
	v_mul_f16_e32 v3, s16, v3
	v_fmac_f16_e32 v3, s9, v16
	global_store_short v[19:20], v3, off offset:64
	global_load_ushort v3, v[21:22], off offset:96
	v_add_co_u32 v21, vcc_lo, v25, s0
	v_add_co_ci_u32_e64 v22, null, s1, v26, vcc_lo
	v_add_co_u32 v16, vcc_lo, v21, v0
	v_add_co_ci_u32_e64 v17, null, v22, v1, vcc_lo
	s_waitcnt vmcnt(0)
	v_mul_f16_e32 v3, s16, v3
	v_fmac_f16_e32 v3, s9, v13
	v_add_co_u32 v13, vcc_lo, v23, s2
	global_store_short v[19:20], v3, off offset:96
	global_load_ushort v3, v[16:17], off
	v_add_co_ci_u32_e64 v20, null, s3, v24, vcc_lo
	v_add_co_u32 v18, vcc_lo, v13, v0
	v_add_co_ci_u32_e64 v19, null, v20, v1, vcc_lo
	s_waitcnt vmcnt(0)
	v_mul_f16_e32 v3, s16, v3
	v_fmac_f16_e32 v3, s9, v15
	v_add_co_u32 v15, vcc_lo, v21, s0
	global_store_short v[18:19], v3, off
	global_load_ushort v3, v[16:17], off offset:32
	s_waitcnt vmcnt(0)
	v_mul_f16_e32 v3, s16, v3
	v_fmac_f16_e32 v3, s9, v12
	global_store_short v[18:19], v3, off offset:32
	global_load_ushort v3, v[16:17], off offset:64
	s_waitcnt vmcnt(0)
	v_mul_f16_e32 v3, s16, v3
	v_fmac_f16_e32 v3, s9, v14
	global_store_short v[18:19], v3, off offset:64
	global_load_ushort v3, v[16:17], off offset:96
	v_add_co_ci_u32_e64 v16, null, s1, v22, vcc_lo
	s_waitcnt vmcnt(0)
	v_mul_f16_e32 v3, s16, v3
	v_fmac_f16_e32 v3, s9, v11
	v_add_co_u32 v11, vcc_lo, v15, v0
	v_add_co_ci_u32_e64 v12, null, v16, v1, vcc_lo
	global_store_short v[18:19], v3, off offset:96
	v_add_co_u32 v17, vcc_lo, v13, s2
	global_load_ushort v3, v[11:12], off
	v_add_co_ci_u32_e64 v18, null, s3, v20, vcc_lo
	v_add_co_u32 v13, vcc_lo, v17, v0
	v_add_co_ci_u32_e64 v14, null, v18, v1, vcc_lo
	s_waitcnt vmcnt(0)
	v_mul_f16_e32 v3, s16, v3
	v_fmac_f16_e32 v3, s9, v7
	global_store_short v[13:14], v3, off
	global_load_ushort v3, v[11:12], off offset:32
	s_waitcnt vmcnt(0)
	v_mul_f16_e32 v3, s16, v3
	v_fmac_f16_e32 v3, s9, v10
	global_store_short v[13:14], v3, off offset:32
	global_load_ushort v3, v[11:12], off offset:64
	s_waitcnt vmcnt(0)
	v_mul_f16_e32 v3, s16, v3
	v_fmac_f16_e32 v3, s9, v6
	v_add_co_u32 v6, vcc_lo, v15, s0
	v_add_co_ci_u32_e64 v7, null, s1, v16, vcc_lo
	global_store_short v[13:14], v3, off offset:64
	global_load_ushort v3, v[11:12], off offset:96
	v_add_co_u32 v6, vcc_lo, v6, v0
	v_add_co_ci_u32_e64 v7, null, v7, v1, vcc_lo
	s_waitcnt vmcnt(0)
	v_mul_f16_e32 v3, s16, v3
	v_fmac_f16_e32 v3, s9, v9
	v_add_co_u32 v9, vcc_lo, v17, s2
	v_add_co_ci_u32_e64 v10, null, s3, v18, vcc_lo
	global_store_short v[13:14], v3, off offset:96
	global_load_ushort v3, v[6:7], off
	v_add_co_u32 v0, vcc_lo, v9, v0
	v_add_co_ci_u32_e64 v1, null, v10, v1, vcc_lo
	s_waitcnt vmcnt(0)
	v_mul_f16_e32 v3, s16, v3
	v_fmac_f16_e32 v3, s9, v5
	global_store_short v[0:1], v3, off
	global_load_ushort v3, v[6:7], off offset:32
	s_waitcnt vmcnt(0)
	v_mul_f16_e32 v3, s16, v3
	v_fmac_f16_e32 v3, s9, v8
	global_store_short v[0:1], v3, off offset:32
	global_load_ushort v3, v[6:7], off offset:64
	s_waitcnt vmcnt(0)
	v_mul_f16_e32 v3, s16, v3
	v_fmac_f16_e32 v3, s9, v4
	global_store_short v[0:1], v3, off offset:64
	;; [unrolled: 5-line block ×3, first 2 shown]
.LBB6_7:
	s_endpgm
.LBB6_8:
	s_branch .LBB6_6
	.section	.rodata,"a",@progbits
	.p2align	6, 0x0
	.amdhsa_kernel _ZN12_GLOBAL__N_127rocblas_gemm_batched_kernelIDF16_Li16ELi16ELi64ELi64ELi4ELi64ELi4ELi4ELi64ELc67ELc67EKDF16_S1_DF16_EEvlllT_PT11_llS4_llS2_PT12_llPT13_lli
		.amdhsa_group_segment_fixed_size 1024
		.amdhsa_private_segment_fixed_size 0
		.amdhsa_kernarg_size 140
		.amdhsa_user_sgpr_count 6
		.amdhsa_user_sgpr_private_segment_buffer 1
		.amdhsa_user_sgpr_dispatch_ptr 0
		.amdhsa_user_sgpr_queue_ptr 0
		.amdhsa_user_sgpr_kernarg_segment_ptr 1
		.amdhsa_user_sgpr_dispatch_id 0
		.amdhsa_user_sgpr_flat_scratch_init 0
		.amdhsa_user_sgpr_private_segment_size 0
		.amdhsa_wavefront_size32 1
		.amdhsa_uses_dynamic_stack 0
		.amdhsa_system_sgpr_private_segment_wavefront_offset 0
		.amdhsa_system_sgpr_workgroup_id_x 1
		.amdhsa_system_sgpr_workgroup_id_y 1
		.amdhsa_system_sgpr_workgroup_id_z 1
		.amdhsa_system_sgpr_workgroup_info 0
		.amdhsa_system_vgpr_workitem_id 1
		.amdhsa_next_free_vgpr 36
		.amdhsa_next_free_sgpr 24
		.amdhsa_reserve_vcc 1
		.amdhsa_reserve_flat_scratch 0
		.amdhsa_float_round_mode_32 0
		.amdhsa_float_round_mode_16_64 0
		.amdhsa_float_denorm_mode_32 3
		.amdhsa_float_denorm_mode_16_64 3
		.amdhsa_dx10_clamp 1
		.amdhsa_ieee_mode 1
		.amdhsa_fp16_overflow 0
		.amdhsa_workgroup_processor_mode 1
		.amdhsa_memory_ordered 1
		.amdhsa_forward_progress 1
		.amdhsa_shared_vgpr_count 0
		.amdhsa_exception_fp_ieee_invalid_op 0
		.amdhsa_exception_fp_denorm_src 0
		.amdhsa_exception_fp_ieee_div_zero 0
		.amdhsa_exception_fp_ieee_overflow 0
		.amdhsa_exception_fp_ieee_underflow 0
		.amdhsa_exception_fp_ieee_inexact 0
		.amdhsa_exception_int_div_zero 0
	.end_amdhsa_kernel
	.section	.text._ZN12_GLOBAL__N_127rocblas_gemm_batched_kernelIDF16_Li16ELi16ELi64ELi64ELi4ELi64ELi4ELi4ELi64ELc67ELc67EKDF16_S1_DF16_EEvlllT_PT11_llS4_llS2_PT12_llPT13_lli,"axG",@progbits,_ZN12_GLOBAL__N_127rocblas_gemm_batched_kernelIDF16_Li16ELi16ELi64ELi64ELi4ELi64ELi4ELi4ELi64ELc67ELc67EKDF16_S1_DF16_EEvlllT_PT11_llS4_llS2_PT12_llPT13_lli,comdat
.Lfunc_end6:
	.size	_ZN12_GLOBAL__N_127rocblas_gemm_batched_kernelIDF16_Li16ELi16ELi64ELi64ELi4ELi64ELi4ELi4ELi64ELc67ELc67EKDF16_S1_DF16_EEvlllT_PT11_llS4_llS2_PT12_llPT13_lli, .Lfunc_end6-_ZN12_GLOBAL__N_127rocblas_gemm_batched_kernelIDF16_Li16ELi16ELi64ELi64ELi4ELi64ELi4ELi4ELi64ELc67ELc67EKDF16_S1_DF16_EEvlllT_PT11_llS4_llS2_PT12_llPT13_lli
                                        ; -- End function
	.set _ZN12_GLOBAL__N_127rocblas_gemm_batched_kernelIDF16_Li16ELi16ELi64ELi64ELi4ELi64ELi4ELi4ELi64ELc67ELc67EKDF16_S1_DF16_EEvlllT_PT11_llS4_llS2_PT12_llPT13_lli.num_vgpr, 36
	.set _ZN12_GLOBAL__N_127rocblas_gemm_batched_kernelIDF16_Li16ELi16ELi64ELi64ELi4ELi64ELi4ELi4ELi64ELc67ELc67EKDF16_S1_DF16_EEvlllT_PT11_llS4_llS2_PT12_llPT13_lli.num_agpr, 0
	.set _ZN12_GLOBAL__N_127rocblas_gemm_batched_kernelIDF16_Li16ELi16ELi64ELi64ELi4ELi64ELi4ELi4ELi64ELc67ELc67EKDF16_S1_DF16_EEvlllT_PT11_llS4_llS2_PT12_llPT13_lli.numbered_sgpr, 24
	.set _ZN12_GLOBAL__N_127rocblas_gemm_batched_kernelIDF16_Li16ELi16ELi64ELi64ELi4ELi64ELi4ELi4ELi64ELc67ELc67EKDF16_S1_DF16_EEvlllT_PT11_llS4_llS2_PT12_llPT13_lli.num_named_barrier, 0
	.set _ZN12_GLOBAL__N_127rocblas_gemm_batched_kernelIDF16_Li16ELi16ELi64ELi64ELi4ELi64ELi4ELi4ELi64ELc67ELc67EKDF16_S1_DF16_EEvlllT_PT11_llS4_llS2_PT12_llPT13_lli.private_seg_size, 0
	.set _ZN12_GLOBAL__N_127rocblas_gemm_batched_kernelIDF16_Li16ELi16ELi64ELi64ELi4ELi64ELi4ELi4ELi64ELc67ELc67EKDF16_S1_DF16_EEvlllT_PT11_llS4_llS2_PT12_llPT13_lli.uses_vcc, 1
	.set _ZN12_GLOBAL__N_127rocblas_gemm_batched_kernelIDF16_Li16ELi16ELi64ELi64ELi4ELi64ELi4ELi4ELi64ELc67ELc67EKDF16_S1_DF16_EEvlllT_PT11_llS4_llS2_PT12_llPT13_lli.uses_flat_scratch, 0
	.set _ZN12_GLOBAL__N_127rocblas_gemm_batched_kernelIDF16_Li16ELi16ELi64ELi64ELi4ELi64ELi4ELi4ELi64ELc67ELc67EKDF16_S1_DF16_EEvlllT_PT11_llS4_llS2_PT12_llPT13_lli.has_dyn_sized_stack, 0
	.set _ZN12_GLOBAL__N_127rocblas_gemm_batched_kernelIDF16_Li16ELi16ELi64ELi64ELi4ELi64ELi4ELi4ELi64ELc67ELc67EKDF16_S1_DF16_EEvlllT_PT11_llS4_llS2_PT12_llPT13_lli.has_recursion, 0
	.set _ZN12_GLOBAL__N_127rocblas_gemm_batched_kernelIDF16_Li16ELi16ELi64ELi64ELi4ELi64ELi4ELi4ELi64ELc67ELc67EKDF16_S1_DF16_EEvlllT_PT11_llS4_llS2_PT12_llPT13_lli.has_indirect_call, 0
	.section	.AMDGPU.csdata,"",@progbits
; Kernel info:
; codeLenInByte = 2368
; TotalNumSgprs: 26
; NumVgprs: 36
; ScratchSize: 0
; MemoryBound: 0
; FloatMode: 240
; IeeeMode: 1
; LDSByteSize: 1024 bytes/workgroup (compile time only)
; SGPRBlocks: 0
; VGPRBlocks: 4
; NumSGPRsForWavesPerEU: 26
; NumVGPRsForWavesPerEU: 36
; Occupancy: 16
; WaveLimiterHint : 0
; COMPUTE_PGM_RSRC2:SCRATCH_EN: 0
; COMPUTE_PGM_RSRC2:USER_SGPR: 6
; COMPUTE_PGM_RSRC2:TRAP_HANDLER: 0
; COMPUTE_PGM_RSRC2:TGID_X_EN: 1
; COMPUTE_PGM_RSRC2:TGID_Y_EN: 1
; COMPUTE_PGM_RSRC2:TGID_Z_EN: 1
; COMPUTE_PGM_RSRC2:TIDIG_COMP_CNT: 1
	.section	.text._ZN12_GLOBAL__N_127rocblas_gemm_batched_kernelIDF16_Li16ELi16ELi64ELi64ELi4ELi64ELi4ELi4ELi64ELc67ELc78EKDF16_S1_DF16_EEvlllT_PT11_llS4_llS2_PT12_llPT13_lli,"axG",@progbits,_ZN12_GLOBAL__N_127rocblas_gemm_batched_kernelIDF16_Li16ELi16ELi64ELi64ELi4ELi64ELi4ELi4ELi64ELc67ELc78EKDF16_S1_DF16_EEvlllT_PT11_llS4_llS2_PT12_llPT13_lli,comdat
	.globl	_ZN12_GLOBAL__N_127rocblas_gemm_batched_kernelIDF16_Li16ELi16ELi64ELi64ELi4ELi64ELi4ELi4ELi64ELc67ELc78EKDF16_S1_DF16_EEvlllT_PT11_llS4_llS2_PT12_llPT13_lli ; -- Begin function _ZN12_GLOBAL__N_127rocblas_gemm_batched_kernelIDF16_Li16ELi16ELi64ELi64ELi4ELi64ELi4ELi4ELi64ELc67ELc78EKDF16_S1_DF16_EEvlllT_PT11_llS4_llS2_PT12_llPT13_lli
	.p2align	8
	.type	_ZN12_GLOBAL__N_127rocblas_gemm_batched_kernelIDF16_Li16ELi16ELi64ELi64ELi4ELi64ELi4ELi4ELi64ELc67ELc78EKDF16_S1_DF16_EEvlllT_PT11_llS4_llS2_PT12_llPT13_lli,@function
_ZN12_GLOBAL__N_127rocblas_gemm_batched_kernelIDF16_Li16ELi16ELi64ELi64ELi4ELi64ELi4ELi4ELi64ELc67ELc78EKDF16_S1_DF16_EEvlllT_PT11_llS4_llS2_PT12_llPT13_lli: ; @_ZN12_GLOBAL__N_127rocblas_gemm_batched_kernelIDF16_Li16ELi16ELi64ELi64ELi4ELi64ELi4ELi4ELi64ELc67ELc78EKDF16_S1_DF16_EEvlllT_PT11_llS4_llS2_PT12_llPT13_lli
; %bb.0:
	s_load_dwordx2 s[22:23], s[4:5], 0x10
	s_mov_b32 s0, s7
	s_ashr_i32 s7, s6, 31
	s_ashr_i32 s1, s0, 31
	s_lshl_b64 s[10:11], s[6:7], 6
	s_lshl_b64 s[20:21], s[0:1], 6
	s_waitcnt lgkmcnt(0)
	v_cmp_lt_i64_e64 s2, s[22:23], 1
	s_and_b32 vcc_lo, exec_lo, s2
	s_cbranch_vccnz .LBB7_3
; %bb.1:
	s_load_dwordx4 s[0:3], s[4:5], 0x40
	v_lshl_add_u32 v2, v1, 4, v0
	s_load_dwordx8 s[12:19], s[4:5], 0x20
	v_and_b32_e32 v3, 3, v0
	v_lshlrev_b32_e32 v16, 1, v0
	v_lshl_add_u32 v17, v1, 3, 0x200
	v_lshrrev_b32_e32 v4, 2, v2
	v_and_b32_e32 v5, 63, v2
	v_lshrrev_b32_e32 v6, 6, v2
	v_lshlrev_b32_e32 v7, 1, v3
	v_mov_b32_e32 v12, 0
	v_add_co_u32 v2, s6, v4, s20
	v_add_co_ci_u32_e64 v3, null, 0, s21, s6
	v_lshlrev_b32_e32 v8, 1, v5
	v_add_co_u32 v5, s6, s10, v5
	v_lshl_or_b32 v4, v4, 3, v7
	v_add_co_ci_u32_e64 v9, null, s11, 0, s6
	s_waitcnt lgkmcnt(0)
	v_mul_lo_u32 v10, s1, v2
	v_mul_lo_u32 v11, s0, v3
	v_mad_u64_u32 v[2:3], null, s0, v2, 0
	v_lshl_or_b32 v14, v6, 7, v8
	v_add_nc_u32_e32 v15, 0x200, v4
	v_mul_lo_u32 v8, s15, v5
	v_mul_lo_u32 v9, s14, v9
	v_mad_u64_u32 v[4:5], null, s14, v5, 0
	v_add3_u32 v3, v3, v11, v10
	s_mul_i32 s0, s3, s8
	s_mul_hi_u32 s1, s2, s8
	s_mul_hi_u32 s3, s16, s8
	s_add_i32 s1, s1, s0
	v_lshlrev_b64 v[2:3], 1, v[2:3]
	v_add3_u32 v5, v5, v9, v8
	s_mul_i32 s0, s2, s8
	s_mul_i32 s2, s17, s8
	s_lshl_b64 s[0:1], s[0:1], 1
	s_add_i32 s3, s3, s2
	v_lshlrev_b64 v[4:5], 1, v[4:5]
	s_mul_i32 s2, s16, s8
	v_add_co_u32 v2, vcc_lo, v2, s0
	v_add_co_ci_u32_e64 v3, null, s1, v3, vcc_lo
	s_lshl_b64 s[0:1], s[2:3], 1
	v_lshlrev_b32_e32 v6, 1, v6
	v_add_co_u32 v4, vcc_lo, v4, s0
	v_add_co_ci_u32_e64 v5, null, s1, v5, vcc_lo
	v_add_co_u32 v2, vcc_lo, v2, v7
	v_add_co_ci_u32_e64 v3, null, 0, v3, vcc_lo
	v_add_co_u32 v4, vcc_lo, v4, v6
	v_add_co_ci_u32_e64 v5, null, 0, v5, vcc_lo
	v_add_co_u32 v2, vcc_lo, s18, v2
	v_add_co_ci_u32_e64 v3, null, s19, v3, vcc_lo
	v_add_co_u32 v4, vcc_lo, s12, v4
	v_add_co_ci_u32_e64 v5, null, s13, v5, vcc_lo
	v_mov_b32_e32 v6, 0
	v_mov_b32_e32 v7, 0
	;; [unrolled: 1-line block ×7, first 2 shown]
	s_mov_b64 s[0:1], 0
.LBB7_2:                                ; =>This Inner Loop Header: Depth=1
	global_load_ushort v18, v[4:5], off
	global_load_ushort v19, v[2:3], off
	s_add_u32 s0, s0, 4
	s_addc_u32 s1, s1, 0
	v_add_co_u32 v2, vcc_lo, v2, 8
	v_cmp_lt_i64_e64 s2, s[0:1], s[22:23]
	v_add_co_ci_u32_e64 v3, null, 0, v3, vcc_lo
	v_add_co_u32 v4, vcc_lo, v4, 8
	v_add_co_ci_u32_e64 v5, null, 0, v5, vcc_lo
	s_and_b32 vcc_lo, exec_lo, s2
	s_waitcnt vmcnt(1)
	ds_write_b16 v14, v18
	s_waitcnt vmcnt(0)
	ds_write_b16 v15, v19
	s_waitcnt lgkmcnt(0)
	s_barrier
	buffer_gl0_inv
	ds_read_u16 v26, v16 offset:32
	ds_read_u16 v27, v16 offset:96
	;; [unrolled: 1-line block ×8, first 2 shown]
	ds_read2_b64 v[18:21], v17 offset1:16
	ds_read2_b64 v[22:25], v17 offset0:32 offset1:48
	s_waitcnt lgkmcnt(9)
	ds_read_u16_d16_hi v26, v16
	s_waitcnt lgkmcnt(9)
	ds_read_u16_d16_hi v27, v16 offset:64
	s_waitcnt lgkmcnt(9)
	ds_read_u16_d16_hi v28, v16 offset:128
	;; [unrolled: 2-line block ×7, first 2 shown]
	s_waitcnt lgkmcnt(0)
	s_barrier
	buffer_gl0_inv
	v_pk_fma_f16 v13, v26, v18, v13 op_sel_hi:[1,0,1]
	v_pk_fma_f16 v12, v27, v18, v12 op_sel_hi:[1,0,1]
	;; [unrolled: 1-line block ×8, first 2 shown]
	v_pk_fma_f16 v13, v28, v18, v13 op_sel:[0,1,0]
	v_pk_fma_f16 v12, v29, v18, v12 op_sel:[0,1,0]
	;; [unrolled: 1-line block ×8, first 2 shown]
	v_pk_fma_f16 v13, v30, v19, v13 op_sel_hi:[1,0,1]
	v_pk_fma_f16 v12, v31, v19, v12 op_sel_hi:[1,0,1]
	;; [unrolled: 1-line block ×8, first 2 shown]
	v_pk_fma_f16 v13, v32, v19, v13 op_sel:[0,1,0]
	v_pk_fma_f16 v12, v33, v19, v12 op_sel:[0,1,0]
	;; [unrolled: 1-line block ×8, first 2 shown]
	s_cbranch_vccnz .LBB7_2
	s_branch .LBB7_4
.LBB7_3:
	v_mov_b32_e32 v13, 0
	v_mov_b32_e32 v12, 0
	v_mov_b32_e32 v11, 0
	v_mov_b32_e32 v10, 0
	v_mov_b32_e32 v9, 0
	v_mov_b32_e32 v8, 0
	v_mov_b32_e32 v7, 0
	v_mov_b32_e32 v6, 0
.LBB7_4:
	s_clause 0x3
	s_load_dwordx4 s[12:15], s[4:5], 0x78
	s_load_dword s16, s[4:5], 0x50
	s_load_dword s9, s[4:5], 0x18
	s_load_dwordx8 s[0:7], s[4:5], 0x58
	v_add_co_u32 v17, s17, s20, v1
	v_add_co_ci_u32_e64 v21, null, s21, 0, s17
	v_add_co_u32 v0, s10, s10, v0
	v_add_co_ci_u32_e64 v1, null, s11, 0, s10
	v_lshrrev_b32_e32 v18, 16, v13
	v_lshrrev_b32_e32 v16, 16, v12
	;; [unrolled: 1-line block ×3, first 2 shown]
	v_lshlrev_b64 v[0:1], 1, v[0:1]
	v_lshrrev_b32_e32 v14, 16, v10
	v_lshrrev_b32_e32 v5, 16, v9
	;; [unrolled: 1-line block ×4, first 2 shown]
	s_waitcnt lgkmcnt(0)
	s_mul_i32 s11, s15, s8
	s_mul_hi_u32 s15, s14, s8
	v_mul_lo_u32 v19, v21, s12
	v_mul_lo_u32 v20, v17, s13
	s_mul_i32 s10, s14, s8
	v_cmp_neq_f16_e64 s14, s16, 0
	s_add_i32 s11, s15, s11
	v_lshrrev_b32_e32 v2, 16, v6
	s_lshl_b64 s[10:11], s[10:11], 1
	s_add_u32 s6, s6, s10
	s_addc_u32 s7, s7, s11
	s_and_b32 vcc_lo, exec_lo, s14
	s_mov_b32 s10, 0
	s_cbranch_vccnz .LBB7_8
; %bb.5:
	v_mad_u64_u32 v[22:23], null, v17, s12, 0
	s_lshl_b64 s[14:15], s[12:13], 5
	v_mul_f16_sdwa v26, s9, v13 dst_sel:DWORD dst_unused:UNUSED_PAD src0_sel:DWORD src1_sel:WORD_1
	v_mul_f16_e32 v27, s9, v13
	v_mul_f16_sdwa v28, s9, v12 dst_sel:DWORD dst_unused:UNUSED_PAD src0_sel:DWORD src1_sel:WORD_1
	v_mul_f16_e32 v29, s9, v12
	v_mul_f16_sdwa v30, s9, v11 dst_sel:DWORD dst_unused:UNUSED_PAD src0_sel:DWORD src1_sel:WORD_1
	v_add3_u32 v23, v23, v20, v19
	v_mul_f16_e32 v31, s9, v11
	v_mul_f16_sdwa v32, s9, v10 dst_sel:DWORD dst_unused:UNUSED_PAD src0_sel:DWORD src1_sel:WORD_1
	v_mul_f16_e32 v33, s9, v10
	v_lshlrev_b64 v[22:23], 1, v[22:23]
	v_add_co_u32 v22, vcc_lo, s6, v22
	v_add_co_ci_u32_e64 v23, null, s7, v23, vcc_lo
	v_add_co_u32 v34, vcc_lo, v22, s14
	v_add_co_ci_u32_e64 v35, null, s15, v23, vcc_lo
	;; [unrolled: 2-line block ×4, first 2 shown]
	global_store_short v[22:23], v26, off
	global_store_short v[22:23], v27, off offset:32
	global_store_short v[22:23], v28, off offset:64
	;; [unrolled: 1-line block ×3, first 2 shown]
	global_store_short v[24:25], v30, off
	global_store_short v[24:25], v31, off offset:32
	v_add_co_u32 v26, vcc_lo, v34, s14
	v_add_co_ci_u32_e64 v27, null, s15, v35, vcc_lo
	v_mul_f16_sdwa v28, s9, v9 dst_sel:DWORD dst_unused:UNUSED_PAD src0_sel:DWORD src1_sel:WORD_1
	v_add_co_u32 v22, vcc_lo, v26, v0
	v_add_co_ci_u32_e64 v23, null, v27, v1, vcc_lo
	v_mul_f16_e32 v29, s9, v9
	v_mul_f16_sdwa v30, s9, v8 dst_sel:DWORD dst_unused:UNUSED_PAD src0_sel:DWORD src1_sel:WORD_1
	global_store_short v[24:25], v32, off offset:64
	global_store_short v[24:25], v33, off offset:96
	global_store_short v[22:23], v28, off
	global_store_short v[22:23], v29, off offset:32
	global_store_short v[22:23], v30, off offset:64
	v_add_co_u32 v24, vcc_lo, v26, s14
	v_add_co_ci_u32_e64 v25, null, s15, v27, vcc_lo
	v_mul_f16_e32 v28, s9, v8
	v_add_co_u32 v24, vcc_lo, v24, v0
	v_mul_f16_sdwa v26, s9, v7 dst_sel:DWORD dst_unused:UNUSED_PAD src0_sel:DWORD src1_sel:WORD_1
	v_add_co_ci_u32_e64 v25, null, v25, v1, vcc_lo
	v_mul_f16_e32 v27, s9, v7
	v_mul_f16_sdwa v29, s9, v6 dst_sel:DWORD dst_unused:UNUSED_PAD src0_sel:DWORD src1_sel:WORD_1
	v_mul_f16_e32 v30, s9, v6
	global_store_short v[22:23], v28, off offset:96
	global_store_short v[24:25], v26, off
	global_store_short v[24:25], v27, off offset:32
	global_store_short v[24:25], v29, off offset:64
	global_store_short v[24:25], v30, off offset:96
	s_andn2_b32 vcc_lo, exec_lo, s10
	s_cbranch_vccnz .LBB7_7
.LBB7_6:
	v_mul_lo_u32 v23, v21, s2
	v_mul_lo_u32 v24, v17, s3
	v_mad_u64_u32 v[21:22], null, v17, s2, 0
	s_mul_i32 s5, s5, s8
	s_mul_hi_u32 s10, s4, s8
	s_mul_i32 s4, s4, s8
	s_add_i32 s5, s10, s5
	s_lshl_b64 s[4:5], s[4:5], 1
	v_add3_u32 v22, v22, v24, v23
	s_add_u32 s0, s0, s4
	s_addc_u32 s1, s1, s5
	v_mad_u64_u32 v[23:24], null, v17, s12, 0
	v_lshlrev_b64 v[21:22], 1, v[21:22]
	v_add3_u32 v24, v24, v20, v19
	v_add_co_u32 v25, vcc_lo, s0, v21
	v_add_co_ci_u32_e64 v26, null, s1, v22, vcc_lo
	v_lshlrev_b64 v[19:20], 1, v[23:24]
	v_add_co_u32 v21, vcc_lo, v25, v0
	v_add_co_ci_u32_e64 v22, null, v26, v1, vcc_lo
	s_lshl_b64 s[0:1], s[2:3], 5
	v_add_co_u32 v17, vcc_lo, s6, v19
	global_load_ushort v27, v[21:22], off
	v_add_co_ci_u32_e64 v23, null, s7, v20, vcc_lo
	v_add_co_u32 v19, vcc_lo, v17, v0
	s_lshl_b64 s[2:3], s[12:13], 5
	v_add_co_ci_u32_e64 v20, null, v23, v1, vcc_lo
	s_waitcnt vmcnt(0)
	v_mul_f16_e32 v24, s16, v27
	v_fmac_f16_e32 v24, s9, v18
	global_store_short v[19:20], v24, off
	global_load_ushort v18, v[21:22], off offset:32
	s_waitcnt vmcnt(0)
	v_mul_f16_e32 v18, s16, v18
	v_fmac_f16_e32 v18, s9, v13
	global_store_short v[19:20], v18, off offset:32
	global_load_ushort v13, v[21:22], off offset:64
	v_add_co_u32 v18, vcc_lo, v25, s0
	s_waitcnt vmcnt(0)
	v_mul_f16_e32 v13, s16, v13
	v_fmac_f16_e32 v13, s9, v16
	global_store_short v[19:20], v13, off offset:64
	global_load_ushort v13, v[21:22], off offset:96
	v_add_co_ci_u32_e64 v21, null, s1, v26, vcc_lo
	s_waitcnt vmcnt(0)
	v_mul_f16_e32 v16, s16, v13
	v_fmac_f16_e32 v16, s9, v12
	v_add_co_u32 v12, vcc_lo, v18, v0
	v_add_co_ci_u32_e64 v13, null, v21, v1, vcc_lo
	global_store_short v[19:20], v16, off offset:96
	v_add_co_u32 v19, vcc_lo, v17, s2
	global_load_ushort v16, v[12:13], off
	v_add_co_ci_u32_e64 v20, null, s3, v23, vcc_lo
	s_waitcnt vmcnt(0)
	v_mul_f16_e32 v22, s16, v16
	v_add_co_u32 v16, vcc_lo, v19, v0
	v_add_co_ci_u32_e64 v17, null, v20, v1, vcc_lo
	v_fmac_f16_e32 v22, s9, v15
	global_store_short v[16:17], v22, off
	global_load_ushort v15, v[12:13], off offset:32
	s_waitcnt vmcnt(0)
	v_mul_f16_e32 v15, s16, v15
	v_fmac_f16_e32 v15, s9, v11
	global_store_short v[16:17], v15, off offset:32
	global_load_ushort v11, v[12:13], off offset:64
	s_waitcnt vmcnt(0)
	v_mul_f16_e32 v11, s16, v11
	v_fmac_f16_e32 v11, s9, v14
	v_add_co_u32 v14, vcc_lo, v18, s0
	v_add_co_ci_u32_e64 v15, null, s1, v21, vcc_lo
	global_store_short v[16:17], v11, off offset:64
	global_load_ushort v11, v[12:13], off offset:96
	s_waitcnt vmcnt(0)
	v_mul_f16_e32 v12, s16, v11
	v_fmac_f16_e32 v12, s9, v10
	v_add_co_u32 v10, vcc_lo, v14, v0
	v_add_co_ci_u32_e64 v11, null, v15, v1, vcc_lo
	global_store_short v[16:17], v12, off offset:96
	v_add_co_u32 v16, vcc_lo, v19, s2
	global_load_ushort v12, v[10:11], off
	v_add_co_ci_u32_e64 v17, null, s3, v20, vcc_lo
	s_waitcnt vmcnt(0)
	v_mul_f16_e32 v18, s16, v12
	v_add_co_u32 v12, vcc_lo, v16, v0
	v_add_co_ci_u32_e64 v13, null, v17, v1, vcc_lo
	v_fmac_f16_e32 v18, s9, v5
	global_store_short v[12:13], v18, off
	global_load_ushort v5, v[10:11], off offset:32
	s_waitcnt vmcnt(0)
	v_mul_f16_e32 v5, s16, v5
	v_fmac_f16_e32 v5, s9, v9
	global_store_short v[12:13], v5, off offset:32
	global_load_ushort v5, v[10:11], off offset:64
	s_waitcnt vmcnt(0)
	v_mul_f16_e32 v5, s16, v5
	v_fmac_f16_e32 v5, s9, v4
	global_store_short v[12:13], v5, off offset:64
	global_load_ushort v4, v[10:11], off offset:96
	s_waitcnt vmcnt(0)
	v_mul_f16_e32 v9, s16, v4
	v_add_co_u32 v4, vcc_lo, v14, s0
	v_add_co_ci_u32_e64 v5, null, s1, v15, vcc_lo
	v_fmac_f16_e32 v9, s9, v8
	v_add_co_u32 v4, vcc_lo, v4, v0
	v_add_co_ci_u32_e64 v5, null, v5, v1, vcc_lo
	global_store_short v[12:13], v9, off offset:96
	v_add_co_u32 v9, vcc_lo, v16, s2
	global_load_ushort v8, v[4:5], off
	v_add_co_ci_u32_e64 v10, null, s3, v17, vcc_lo
	v_add_co_u32 v0, vcc_lo, v9, v0
	v_add_co_ci_u32_e64 v1, null, v10, v1, vcc_lo
	s_waitcnt vmcnt(0)
	v_mul_f16_e32 v8, s16, v8
	v_fmac_f16_e32 v8, s9, v3
	global_store_short v[0:1], v8, off
	global_load_ushort v3, v[4:5], off offset:32
	s_waitcnt vmcnt(0)
	v_mul_f16_e32 v3, s16, v3
	v_fmac_f16_e32 v3, s9, v7
	global_store_short v[0:1], v3, off offset:32
	global_load_ushort v3, v[4:5], off offset:64
	s_waitcnt vmcnt(0)
	v_mul_f16_e32 v3, s16, v3
	v_fmac_f16_e32 v3, s9, v2
	global_store_short v[0:1], v3, off offset:64
	;; [unrolled: 5-line block ×3, first 2 shown]
.LBB7_7:
	s_endpgm
.LBB7_8:
	s_branch .LBB7_6
	.section	.rodata,"a",@progbits
	.p2align	6, 0x0
	.amdhsa_kernel _ZN12_GLOBAL__N_127rocblas_gemm_batched_kernelIDF16_Li16ELi16ELi64ELi64ELi4ELi64ELi4ELi4ELi64ELc67ELc78EKDF16_S1_DF16_EEvlllT_PT11_llS4_llS2_PT12_llPT13_lli
		.amdhsa_group_segment_fixed_size 1024
		.amdhsa_private_segment_fixed_size 0
		.amdhsa_kernarg_size 140
		.amdhsa_user_sgpr_count 6
		.amdhsa_user_sgpr_private_segment_buffer 1
		.amdhsa_user_sgpr_dispatch_ptr 0
		.amdhsa_user_sgpr_queue_ptr 0
		.amdhsa_user_sgpr_kernarg_segment_ptr 1
		.amdhsa_user_sgpr_dispatch_id 0
		.amdhsa_user_sgpr_flat_scratch_init 0
		.amdhsa_user_sgpr_private_segment_size 0
		.amdhsa_wavefront_size32 1
		.amdhsa_uses_dynamic_stack 0
		.amdhsa_system_sgpr_private_segment_wavefront_offset 0
		.amdhsa_system_sgpr_workgroup_id_x 1
		.amdhsa_system_sgpr_workgroup_id_y 1
		.amdhsa_system_sgpr_workgroup_id_z 1
		.amdhsa_system_sgpr_workgroup_info 0
		.amdhsa_system_vgpr_workitem_id 1
		.amdhsa_next_free_vgpr 36
		.amdhsa_next_free_sgpr 24
		.amdhsa_reserve_vcc 1
		.amdhsa_reserve_flat_scratch 0
		.amdhsa_float_round_mode_32 0
		.amdhsa_float_round_mode_16_64 0
		.amdhsa_float_denorm_mode_32 3
		.amdhsa_float_denorm_mode_16_64 3
		.amdhsa_dx10_clamp 1
		.amdhsa_ieee_mode 1
		.amdhsa_fp16_overflow 0
		.amdhsa_workgroup_processor_mode 1
		.amdhsa_memory_ordered 1
		.amdhsa_forward_progress 1
		.amdhsa_shared_vgpr_count 0
		.amdhsa_exception_fp_ieee_invalid_op 0
		.amdhsa_exception_fp_denorm_src 0
		.amdhsa_exception_fp_ieee_div_zero 0
		.amdhsa_exception_fp_ieee_overflow 0
		.amdhsa_exception_fp_ieee_underflow 0
		.amdhsa_exception_fp_ieee_inexact 0
		.amdhsa_exception_int_div_zero 0
	.end_amdhsa_kernel
	.section	.text._ZN12_GLOBAL__N_127rocblas_gemm_batched_kernelIDF16_Li16ELi16ELi64ELi64ELi4ELi64ELi4ELi4ELi64ELc67ELc78EKDF16_S1_DF16_EEvlllT_PT11_llS4_llS2_PT12_llPT13_lli,"axG",@progbits,_ZN12_GLOBAL__N_127rocblas_gemm_batched_kernelIDF16_Li16ELi16ELi64ELi64ELi4ELi64ELi4ELi4ELi64ELc67ELc78EKDF16_S1_DF16_EEvlllT_PT11_llS4_llS2_PT12_llPT13_lli,comdat
.Lfunc_end7:
	.size	_ZN12_GLOBAL__N_127rocblas_gemm_batched_kernelIDF16_Li16ELi16ELi64ELi64ELi4ELi64ELi4ELi4ELi64ELc67ELc78EKDF16_S1_DF16_EEvlllT_PT11_llS4_llS2_PT12_llPT13_lli, .Lfunc_end7-_ZN12_GLOBAL__N_127rocblas_gemm_batched_kernelIDF16_Li16ELi16ELi64ELi64ELi4ELi64ELi4ELi4ELi64ELc67ELc78EKDF16_S1_DF16_EEvlllT_PT11_llS4_llS2_PT12_llPT13_lli
                                        ; -- End function
	.set _ZN12_GLOBAL__N_127rocblas_gemm_batched_kernelIDF16_Li16ELi16ELi64ELi64ELi4ELi64ELi4ELi4ELi64ELc67ELc78EKDF16_S1_DF16_EEvlllT_PT11_llS4_llS2_PT12_llPT13_lli.num_vgpr, 36
	.set _ZN12_GLOBAL__N_127rocblas_gemm_batched_kernelIDF16_Li16ELi16ELi64ELi64ELi4ELi64ELi4ELi4ELi64ELc67ELc78EKDF16_S1_DF16_EEvlllT_PT11_llS4_llS2_PT12_llPT13_lli.num_agpr, 0
	.set _ZN12_GLOBAL__N_127rocblas_gemm_batched_kernelIDF16_Li16ELi16ELi64ELi64ELi4ELi64ELi4ELi4ELi64ELc67ELc78EKDF16_S1_DF16_EEvlllT_PT11_llS4_llS2_PT12_llPT13_lli.numbered_sgpr, 24
	.set _ZN12_GLOBAL__N_127rocblas_gemm_batched_kernelIDF16_Li16ELi16ELi64ELi64ELi4ELi64ELi4ELi4ELi64ELc67ELc78EKDF16_S1_DF16_EEvlllT_PT11_llS4_llS2_PT12_llPT13_lli.num_named_barrier, 0
	.set _ZN12_GLOBAL__N_127rocblas_gemm_batched_kernelIDF16_Li16ELi16ELi64ELi64ELi4ELi64ELi4ELi4ELi64ELc67ELc78EKDF16_S1_DF16_EEvlllT_PT11_llS4_llS2_PT12_llPT13_lli.private_seg_size, 0
	.set _ZN12_GLOBAL__N_127rocblas_gemm_batched_kernelIDF16_Li16ELi16ELi64ELi64ELi4ELi64ELi4ELi4ELi64ELc67ELc78EKDF16_S1_DF16_EEvlllT_PT11_llS4_llS2_PT12_llPT13_lli.uses_vcc, 1
	.set _ZN12_GLOBAL__N_127rocblas_gemm_batched_kernelIDF16_Li16ELi16ELi64ELi64ELi4ELi64ELi4ELi4ELi64ELc67ELc78EKDF16_S1_DF16_EEvlllT_PT11_llS4_llS2_PT12_llPT13_lli.uses_flat_scratch, 0
	.set _ZN12_GLOBAL__N_127rocblas_gemm_batched_kernelIDF16_Li16ELi16ELi64ELi64ELi4ELi64ELi4ELi4ELi64ELc67ELc78EKDF16_S1_DF16_EEvlllT_PT11_llS4_llS2_PT12_llPT13_lli.has_dyn_sized_stack, 0
	.set _ZN12_GLOBAL__N_127rocblas_gemm_batched_kernelIDF16_Li16ELi16ELi64ELi64ELi4ELi64ELi4ELi4ELi64ELc67ELc78EKDF16_S1_DF16_EEvlllT_PT11_llS4_llS2_PT12_llPT13_lli.has_recursion, 0
	.set _ZN12_GLOBAL__N_127rocblas_gemm_batched_kernelIDF16_Li16ELi16ELi64ELi64ELi4ELi64ELi4ELi4ELi64ELc67ELc78EKDF16_S1_DF16_EEvlllT_PT11_llS4_llS2_PT12_llPT13_lli.has_indirect_call, 0
	.section	.AMDGPU.csdata,"",@progbits
; Kernel info:
; codeLenInByte = 2400
; TotalNumSgprs: 26
; NumVgprs: 36
; ScratchSize: 0
; MemoryBound: 0
; FloatMode: 240
; IeeeMode: 1
; LDSByteSize: 1024 bytes/workgroup (compile time only)
; SGPRBlocks: 0
; VGPRBlocks: 4
; NumSGPRsForWavesPerEU: 26
; NumVGPRsForWavesPerEU: 36
; Occupancy: 16
; WaveLimiterHint : 0
; COMPUTE_PGM_RSRC2:SCRATCH_EN: 0
; COMPUTE_PGM_RSRC2:USER_SGPR: 6
; COMPUTE_PGM_RSRC2:TRAP_HANDLER: 0
; COMPUTE_PGM_RSRC2:TGID_X_EN: 1
; COMPUTE_PGM_RSRC2:TGID_Y_EN: 1
; COMPUTE_PGM_RSRC2:TGID_Z_EN: 1
; COMPUTE_PGM_RSRC2:TIDIG_COMP_CNT: 1
	.section	.text._ZN12_GLOBAL__N_127rocblas_gemm_batched_kernelIDF16_Li16ELi16ELi64ELi64ELi4ELi64ELi4ELi4ELi64ELc67ELc84EKDF16_S1_DF16_EEvlllT_PT11_llS4_llS2_PT12_llPT13_lli,"axG",@progbits,_ZN12_GLOBAL__N_127rocblas_gemm_batched_kernelIDF16_Li16ELi16ELi64ELi64ELi4ELi64ELi4ELi4ELi64ELc67ELc84EKDF16_S1_DF16_EEvlllT_PT11_llS4_llS2_PT12_llPT13_lli,comdat
	.globl	_ZN12_GLOBAL__N_127rocblas_gemm_batched_kernelIDF16_Li16ELi16ELi64ELi64ELi4ELi64ELi4ELi4ELi64ELc67ELc84EKDF16_S1_DF16_EEvlllT_PT11_llS4_llS2_PT12_llPT13_lli ; -- Begin function _ZN12_GLOBAL__N_127rocblas_gemm_batched_kernelIDF16_Li16ELi16ELi64ELi64ELi4ELi64ELi4ELi4ELi64ELc67ELc84EKDF16_S1_DF16_EEvlllT_PT11_llS4_llS2_PT12_llPT13_lli
	.p2align	8
	.type	_ZN12_GLOBAL__N_127rocblas_gemm_batched_kernelIDF16_Li16ELi16ELi64ELi64ELi4ELi64ELi4ELi4ELi64ELc67ELc84EKDF16_S1_DF16_EEvlllT_PT11_llS4_llS2_PT12_llPT13_lli,@function
_ZN12_GLOBAL__N_127rocblas_gemm_batched_kernelIDF16_Li16ELi16ELi64ELi64ELi4ELi64ELi4ELi4ELi64ELc67ELc84EKDF16_S1_DF16_EEvlllT_PT11_llS4_llS2_PT12_llPT13_lli: ; @_ZN12_GLOBAL__N_127rocblas_gemm_batched_kernelIDF16_Li16ELi16ELi64ELi64ELi4ELi64ELi4ELi4ELi64ELc67ELc84EKDF16_S1_DF16_EEvlllT_PT11_llS4_llS2_PT12_llPT13_lli
; %bb.0:
	s_load_dwordx2 s[22:23], s[4:5], 0x10
	s_mov_b32 s0, s7
	v_mov_b32_e32 v3, 0
	s_ashr_i32 s7, s6, 31
	s_ashr_i32 s1, s0, 31
	s_lshl_b64 s[10:11], s[6:7], 6
	s_lshl_b64 s[20:21], s[0:1], 6
	s_waitcnt lgkmcnt(0)
	v_cmp_lt_i64_e64 s2, s[22:23], 1
	s_and_b32 vcc_lo, exec_lo, s2
	s_cbranch_vccnz .LBB8_3
; %bb.1:
	s_clause 0x1
	s_load_dwordx4 s[0:3], s[4:5], 0x40
	s_load_dwordx8 s[12:19], s[4:5], 0x20
	v_lshl_add_u32 v4, v1, 4, v0
	v_and_b32_e32 v8, 3, v0
	v_lshlrev_b32_e32 v14, 1, v0
	v_lshl_add_u32 v15, v1, 3, 0x200
	v_lshrrev_b32_e32 v2, 2, v4
	v_and_b32_e32 v5, 63, v4
	v_lshlrev_b32_e32 v6, 1, v8
	v_lshrrev_b32_e32 v10, 6, v4
	v_lshlrev_b32_e32 v9, 1, v5
	v_lshl_or_b32 v11, v2, 3, v6
	v_add_co_u32 v6, s6, s10, v5
	v_add_co_ci_u32_e64 v7, null, s11, 0, s6
	v_lshl_or_b32 v16, v10, 7, v9
	s_waitcnt lgkmcnt(0)
	v_mad_u64_u32 v[4:5], null, s0, v8, v[2:3]
	v_mul_lo_u32 v12, s15, v6
	v_mul_lo_u32 v13, s14, v7
	v_mad_u64_u32 v[6:7], null, s14, v6, 0
	s_mul_i32 s3, s3, s8
	s_mul_hi_u32 s6, s2, s8
	v_mov_b32_e32 v2, v5
	s_mul_i32 s2, s2, s8
	s_add_i32 s3, s6, s3
	v_add_nc_u32_e32 v17, 0x200, v11
	v_add3_u32 v7, v7, v13, v12
	v_mad_u64_u32 v[8:9], null, s1, v8, v[2:3]
	s_lshl_b64 s[2:3], s[2:3], 1
	v_lshlrev_b32_e32 v2, 1, v10
	s_add_u32 s6, s18, s2
	s_addc_u32 s7, s19, s3
	s_mul_i32 s2, s17, s8
	s_mul_hi_u32 s3, s16, s8
	v_lshlrev_b64 v[5:6], 1, v[6:7]
	v_add_co_u32 v7, vcc_lo, v4, s20
	s_add_i32 s3, s3, s2
	s_mul_i32 s2, s16, s8
	v_add_co_ci_u32_e64 v8, null, s21, v8, vcc_lo
	s_lshl_b64 s[2:3], s[2:3], 1
	v_mov_b32_e32 v10, 0
	v_add_co_u32 v9, vcc_lo, v5, s2
	v_add_co_ci_u32_e64 v6, null, s3, v6, vcc_lo
	v_lshlrev_b64 v[4:5], 1, v[7:8]
	v_add_co_u32 v2, vcc_lo, v9, v2
	v_add_co_ci_u32_e64 v7, null, 0, v6, vcc_lo
	v_mov_b32_e32 v8, 0
	v_add_co_u32 v4, vcc_lo, s6, v4
	v_add_co_ci_u32_e64 v5, null, s7, v5, vcc_lo
	v_add_co_u32 v6, vcc_lo, s12, v2
	v_add_co_ci_u32_e64 v7, null, s13, v7, vcc_lo
	v_mov_b32_e32 v2, 0
	v_mov_b32_e32 v9, 0
	;; [unrolled: 1-line block ×5, first 2 shown]
	s_lshl_b64 s[0:1], s[0:1], 3
	s_mov_b64 s[2:3], 0
.LBB8_2:                                ; =>This Inner Loop Header: Depth=1
	global_load_ushort v18, v[6:7], off
	global_load_ushort v19, v[4:5], off
	s_add_u32 s2, s2, 4
	s_addc_u32 s3, s3, 0
	v_add_co_u32 v4, vcc_lo, v4, s0
	v_cmp_lt_i64_e64 s6, s[2:3], s[22:23]
	v_add_co_ci_u32_e64 v5, null, s1, v5, vcc_lo
	v_add_co_u32 v6, vcc_lo, v6, 8
	v_add_co_ci_u32_e64 v7, null, 0, v7, vcc_lo
	s_and_b32 vcc_lo, exec_lo, s6
	s_waitcnt vmcnt(1)
	ds_write_b16 v16, v18
	s_waitcnt vmcnt(0)
	ds_write_b16 v17, v19
	s_waitcnt lgkmcnt(0)
	s_barrier
	buffer_gl0_inv
	ds_read_u16 v26, v14 offset:32
	ds_read_u16 v27, v14 offset:96
	;; [unrolled: 1-line block ×8, first 2 shown]
	ds_read2_b64 v[18:21], v15 offset1:16
	ds_read2_b64 v[22:25], v15 offset0:32 offset1:48
	s_waitcnt lgkmcnt(9)
	ds_read_u16_d16_hi v26, v14
	s_waitcnt lgkmcnt(9)
	ds_read_u16_d16_hi v27, v14 offset:64
	s_waitcnt lgkmcnt(9)
	ds_read_u16_d16_hi v28, v14 offset:128
	;; [unrolled: 2-line block ×7, first 2 shown]
	s_waitcnt lgkmcnt(0)
	s_barrier
	buffer_gl0_inv
	v_pk_fma_f16 v3, v26, v18, v3 op_sel_hi:[1,0,1]
	v_pk_fma_f16 v13, v27, v18, v13 op_sel_hi:[1,0,1]
	;; [unrolled: 1-line block ×8, first 2 shown]
	v_pk_fma_f16 v3, v28, v18, v3 op_sel:[0,1,0]
	v_pk_fma_f16 v13, v29, v18, v13 op_sel:[0,1,0]
	;; [unrolled: 1-line block ×8, first 2 shown]
	v_pk_fma_f16 v3, v30, v19, v3 op_sel_hi:[1,0,1]
	v_pk_fma_f16 v13, v31, v19, v13 op_sel_hi:[1,0,1]
	;; [unrolled: 1-line block ×8, first 2 shown]
	v_pk_fma_f16 v3, v32, v19, v3 op_sel:[0,1,0]
	v_pk_fma_f16 v13, v33, v19, v13 op_sel:[0,1,0]
	v_pk_fma_f16 v12, v32, v21, v12 op_sel:[0,1,0]
	v_pk_fma_f16 v11, v33, v21, v11 op_sel:[0,1,0]
	v_pk_fma_f16 v10, v32, v23, v10 op_sel:[0,1,0]
	v_pk_fma_f16 v9, v33, v23, v9 op_sel:[0,1,0]
	v_pk_fma_f16 v8, v32, v25, v8 op_sel:[0,1,0]
	v_pk_fma_f16 v2, v33, v25, v2 op_sel:[0,1,0]
	s_cbranch_vccnz .LBB8_2
	s_branch .LBB8_4
.LBB8_3:
	v_mov_b32_e32 v13, 0
	v_mov_b32_e32 v12, 0
	;; [unrolled: 1-line block ×7, first 2 shown]
.LBB8_4:
	s_clause 0x3
	s_load_dwordx4 s[12:15], s[4:5], 0x78
	s_load_dword s16, s[4:5], 0x50
	s_load_dword s9, s[4:5], 0x18
	s_load_dwordx8 s[0:7], s[4:5], 0x58
	v_add_co_u32 v17, s17, s20, v1
	v_add_co_ci_u32_e64 v21, null, s21, 0, s17
	v_add_co_u32 v0, s10, s10, v0
	v_add_co_ci_u32_e64 v1, null, s11, 0, s10
	v_lshrrev_b32_e32 v18, 16, v3
	v_lshrrev_b32_e32 v16, 16, v13
	;; [unrolled: 1-line block ×3, first 2 shown]
	v_lshlrev_b64 v[0:1], 1, v[0:1]
	v_lshrrev_b32_e32 v14, 16, v11
	v_lshrrev_b32_e32 v7, 16, v10
	;; [unrolled: 1-line block ×4, first 2 shown]
	s_waitcnt lgkmcnt(0)
	s_mul_i32 s11, s15, s8
	s_mul_hi_u32 s15, s14, s8
	v_mul_lo_u32 v19, v21, s12
	v_mul_lo_u32 v20, v17, s13
	s_mul_i32 s10, s14, s8
	v_cmp_neq_f16_e64 s14, s16, 0
	s_add_i32 s11, s15, s11
	v_lshrrev_b32_e32 v4, 16, v2
	s_lshl_b64 s[10:11], s[10:11], 1
	s_add_u32 s6, s6, s10
	s_addc_u32 s7, s7, s11
	s_and_b32 vcc_lo, exec_lo, s14
	s_mov_b32 s10, 0
	s_cbranch_vccnz .LBB8_8
; %bb.5:
	v_mad_u64_u32 v[22:23], null, v17, s12, 0
	s_lshl_b64 s[14:15], s[12:13], 5
	v_mul_f16_sdwa v26, s9, v3 dst_sel:DWORD dst_unused:UNUSED_PAD src0_sel:DWORD src1_sel:WORD_1
	v_mul_f16_e32 v27, s9, v3
	v_mul_f16_sdwa v28, s9, v13 dst_sel:DWORD dst_unused:UNUSED_PAD src0_sel:DWORD src1_sel:WORD_1
	v_mul_f16_e32 v29, s9, v13
	v_mul_f16_sdwa v30, s9, v12 dst_sel:DWORD dst_unused:UNUSED_PAD src0_sel:DWORD src1_sel:WORD_1
	v_add3_u32 v23, v23, v20, v19
	v_mul_f16_e32 v31, s9, v12
	v_mul_f16_sdwa v32, s9, v11 dst_sel:DWORD dst_unused:UNUSED_PAD src0_sel:DWORD src1_sel:WORD_1
	v_mul_f16_e32 v33, s9, v11
	v_lshlrev_b64 v[22:23], 1, v[22:23]
	v_add_co_u32 v22, vcc_lo, s6, v22
	v_add_co_ci_u32_e64 v23, null, s7, v23, vcc_lo
	v_add_co_u32 v34, vcc_lo, v22, s14
	v_add_co_ci_u32_e64 v35, null, s15, v23, vcc_lo
	;; [unrolled: 2-line block ×4, first 2 shown]
	global_store_short v[22:23], v26, off
	global_store_short v[22:23], v27, off offset:32
	global_store_short v[22:23], v28, off offset:64
	;; [unrolled: 1-line block ×3, first 2 shown]
	global_store_short v[24:25], v30, off
	global_store_short v[24:25], v31, off offset:32
	v_add_co_u32 v26, vcc_lo, v34, s14
	v_add_co_ci_u32_e64 v27, null, s15, v35, vcc_lo
	v_mul_f16_sdwa v28, s9, v10 dst_sel:DWORD dst_unused:UNUSED_PAD src0_sel:DWORD src1_sel:WORD_1
	v_add_co_u32 v22, vcc_lo, v26, v0
	v_add_co_ci_u32_e64 v23, null, v27, v1, vcc_lo
	v_mul_f16_e32 v29, s9, v10
	v_mul_f16_sdwa v30, s9, v9 dst_sel:DWORD dst_unused:UNUSED_PAD src0_sel:DWORD src1_sel:WORD_1
	global_store_short v[24:25], v32, off offset:64
	global_store_short v[24:25], v33, off offset:96
	global_store_short v[22:23], v28, off
	global_store_short v[22:23], v29, off offset:32
	global_store_short v[22:23], v30, off offset:64
	v_add_co_u32 v24, vcc_lo, v26, s14
	v_add_co_ci_u32_e64 v25, null, s15, v27, vcc_lo
	v_mul_f16_e32 v28, s9, v9
	v_add_co_u32 v24, vcc_lo, v24, v0
	v_mul_f16_sdwa v26, s9, v8 dst_sel:DWORD dst_unused:UNUSED_PAD src0_sel:DWORD src1_sel:WORD_1
	v_add_co_ci_u32_e64 v25, null, v25, v1, vcc_lo
	v_mul_f16_e32 v27, s9, v8
	v_mul_f16_sdwa v29, s9, v2 dst_sel:DWORD dst_unused:UNUSED_PAD src0_sel:DWORD src1_sel:WORD_1
	v_mul_f16_e32 v30, s9, v2
	global_store_short v[22:23], v28, off offset:96
	global_store_short v[24:25], v26, off
	global_store_short v[24:25], v27, off offset:32
	global_store_short v[24:25], v29, off offset:64
	;; [unrolled: 1-line block ×3, first 2 shown]
	s_andn2_b32 vcc_lo, exec_lo, s10
	s_cbranch_vccnz .LBB8_7
.LBB8_6:
	v_mul_lo_u32 v23, v21, s2
	v_mul_lo_u32 v24, v17, s3
	v_mad_u64_u32 v[21:22], null, v17, s2, 0
	s_mul_i32 s5, s5, s8
	s_mul_hi_u32 s10, s4, s8
	s_mul_i32 s4, s4, s8
	s_add_i32 s5, s10, s5
	s_lshl_b64 s[4:5], s[4:5], 1
	v_add3_u32 v22, v22, v24, v23
	s_add_u32 s0, s0, s4
	s_addc_u32 s1, s1, s5
	v_mad_u64_u32 v[23:24], null, v17, s12, 0
	v_lshlrev_b64 v[21:22], 1, v[21:22]
	v_add3_u32 v24, v24, v20, v19
	v_add_co_u32 v25, vcc_lo, s0, v21
	v_add_co_ci_u32_e64 v26, null, s1, v22, vcc_lo
	v_lshlrev_b64 v[19:20], 1, v[23:24]
	v_add_co_u32 v21, vcc_lo, v25, v0
	v_add_co_ci_u32_e64 v22, null, v26, v1, vcc_lo
	s_lshl_b64 s[0:1], s[2:3], 5
	v_add_co_u32 v23, vcc_lo, s6, v19
	global_load_ushort v27, v[21:22], off
	v_add_co_ci_u32_e64 v24, null, s7, v20, vcc_lo
	v_add_co_u32 v19, vcc_lo, v23, v0
	s_lshl_b64 s[2:3], s[12:13], 5
	v_add_co_ci_u32_e64 v20, null, v24, v1, vcc_lo
	s_waitcnt vmcnt(0)
	v_mul_f16_e32 v17, s16, v27
	v_fmac_f16_e32 v17, s9, v18
	global_store_short v[19:20], v17, off
	global_load_ushort v17, v[21:22], off offset:32
	s_waitcnt vmcnt(0)
	v_mul_f16_e32 v17, s16, v17
	v_fmac_f16_e32 v17, s9, v3
	global_store_short v[19:20], v17, off offset:32
	global_load_ushort v3, v[21:22], off offset:64
	s_waitcnt vmcnt(0)
	v_mul_f16_e32 v3, s16, v3
	v_fmac_f16_e32 v3, s9, v16
	global_store_short v[19:20], v3, off offset:64
	global_load_ushort v3, v[21:22], off offset:96
	v_add_co_u32 v21, vcc_lo, v25, s0
	v_add_co_ci_u32_e64 v22, null, s1, v26, vcc_lo
	v_add_co_u32 v16, vcc_lo, v21, v0
	v_add_co_ci_u32_e64 v17, null, v22, v1, vcc_lo
	s_waitcnt vmcnt(0)
	v_mul_f16_e32 v3, s16, v3
	v_fmac_f16_e32 v3, s9, v13
	v_add_co_u32 v13, vcc_lo, v23, s2
	global_store_short v[19:20], v3, off offset:96
	global_load_ushort v3, v[16:17], off
	v_add_co_ci_u32_e64 v20, null, s3, v24, vcc_lo
	v_add_co_u32 v18, vcc_lo, v13, v0
	v_add_co_ci_u32_e64 v19, null, v20, v1, vcc_lo
	s_waitcnt vmcnt(0)
	v_mul_f16_e32 v3, s16, v3
	v_fmac_f16_e32 v3, s9, v15
	v_add_co_u32 v15, vcc_lo, v21, s0
	global_store_short v[18:19], v3, off
	global_load_ushort v3, v[16:17], off offset:32
	s_waitcnt vmcnt(0)
	v_mul_f16_e32 v3, s16, v3
	v_fmac_f16_e32 v3, s9, v12
	global_store_short v[18:19], v3, off offset:32
	global_load_ushort v3, v[16:17], off offset:64
	s_waitcnt vmcnt(0)
	v_mul_f16_e32 v3, s16, v3
	v_fmac_f16_e32 v3, s9, v14
	global_store_short v[18:19], v3, off offset:64
	global_load_ushort v3, v[16:17], off offset:96
	v_add_co_ci_u32_e64 v16, null, s1, v22, vcc_lo
	s_waitcnt vmcnt(0)
	v_mul_f16_e32 v3, s16, v3
	v_fmac_f16_e32 v3, s9, v11
	v_add_co_u32 v11, vcc_lo, v15, v0
	v_add_co_ci_u32_e64 v12, null, v16, v1, vcc_lo
	global_store_short v[18:19], v3, off offset:96
	v_add_co_u32 v17, vcc_lo, v13, s2
	global_load_ushort v3, v[11:12], off
	v_add_co_ci_u32_e64 v18, null, s3, v20, vcc_lo
	v_add_co_u32 v13, vcc_lo, v17, v0
	v_add_co_ci_u32_e64 v14, null, v18, v1, vcc_lo
	s_waitcnt vmcnt(0)
	v_mul_f16_e32 v3, s16, v3
	v_fmac_f16_e32 v3, s9, v7
	global_store_short v[13:14], v3, off
	global_load_ushort v3, v[11:12], off offset:32
	s_waitcnt vmcnt(0)
	v_mul_f16_e32 v3, s16, v3
	v_fmac_f16_e32 v3, s9, v10
	global_store_short v[13:14], v3, off offset:32
	global_load_ushort v3, v[11:12], off offset:64
	s_waitcnt vmcnt(0)
	v_mul_f16_e32 v3, s16, v3
	v_fmac_f16_e32 v3, s9, v6
	v_add_co_u32 v6, vcc_lo, v15, s0
	v_add_co_ci_u32_e64 v7, null, s1, v16, vcc_lo
	global_store_short v[13:14], v3, off offset:64
	global_load_ushort v3, v[11:12], off offset:96
	v_add_co_u32 v6, vcc_lo, v6, v0
	v_add_co_ci_u32_e64 v7, null, v7, v1, vcc_lo
	s_waitcnt vmcnt(0)
	v_mul_f16_e32 v3, s16, v3
	v_fmac_f16_e32 v3, s9, v9
	v_add_co_u32 v9, vcc_lo, v17, s2
	v_add_co_ci_u32_e64 v10, null, s3, v18, vcc_lo
	global_store_short v[13:14], v3, off offset:96
	global_load_ushort v3, v[6:7], off
	v_add_co_u32 v0, vcc_lo, v9, v0
	v_add_co_ci_u32_e64 v1, null, v10, v1, vcc_lo
	s_waitcnt vmcnt(0)
	v_mul_f16_e32 v3, s16, v3
	v_fmac_f16_e32 v3, s9, v5
	global_store_short v[0:1], v3, off
	global_load_ushort v3, v[6:7], off offset:32
	s_waitcnt vmcnt(0)
	v_mul_f16_e32 v3, s16, v3
	v_fmac_f16_e32 v3, s9, v8
	global_store_short v[0:1], v3, off offset:32
	global_load_ushort v3, v[6:7], off offset:64
	s_waitcnt vmcnt(0)
	v_mul_f16_e32 v3, s16, v3
	v_fmac_f16_e32 v3, s9, v4
	global_store_short v[0:1], v3, off offset:64
	;; [unrolled: 5-line block ×3, first 2 shown]
.LBB8_7:
	s_endpgm
.LBB8_8:
	s_branch .LBB8_6
	.section	.rodata,"a",@progbits
	.p2align	6, 0x0
	.amdhsa_kernel _ZN12_GLOBAL__N_127rocblas_gemm_batched_kernelIDF16_Li16ELi16ELi64ELi64ELi4ELi64ELi4ELi4ELi64ELc67ELc84EKDF16_S1_DF16_EEvlllT_PT11_llS4_llS2_PT12_llPT13_lli
		.amdhsa_group_segment_fixed_size 1024
		.amdhsa_private_segment_fixed_size 0
		.amdhsa_kernarg_size 140
		.amdhsa_user_sgpr_count 6
		.amdhsa_user_sgpr_private_segment_buffer 1
		.amdhsa_user_sgpr_dispatch_ptr 0
		.amdhsa_user_sgpr_queue_ptr 0
		.amdhsa_user_sgpr_kernarg_segment_ptr 1
		.amdhsa_user_sgpr_dispatch_id 0
		.amdhsa_user_sgpr_flat_scratch_init 0
		.amdhsa_user_sgpr_private_segment_size 0
		.amdhsa_wavefront_size32 1
		.amdhsa_uses_dynamic_stack 0
		.amdhsa_system_sgpr_private_segment_wavefront_offset 0
		.amdhsa_system_sgpr_workgroup_id_x 1
		.amdhsa_system_sgpr_workgroup_id_y 1
		.amdhsa_system_sgpr_workgroup_id_z 1
		.amdhsa_system_sgpr_workgroup_info 0
		.amdhsa_system_vgpr_workitem_id 1
		.amdhsa_next_free_vgpr 36
		.amdhsa_next_free_sgpr 24
		.amdhsa_reserve_vcc 1
		.amdhsa_reserve_flat_scratch 0
		.amdhsa_float_round_mode_32 0
		.amdhsa_float_round_mode_16_64 0
		.amdhsa_float_denorm_mode_32 3
		.amdhsa_float_denorm_mode_16_64 3
		.amdhsa_dx10_clamp 1
		.amdhsa_ieee_mode 1
		.amdhsa_fp16_overflow 0
		.amdhsa_workgroup_processor_mode 1
		.amdhsa_memory_ordered 1
		.amdhsa_forward_progress 1
		.amdhsa_shared_vgpr_count 0
		.amdhsa_exception_fp_ieee_invalid_op 0
		.amdhsa_exception_fp_denorm_src 0
		.amdhsa_exception_fp_ieee_div_zero 0
		.amdhsa_exception_fp_ieee_overflow 0
		.amdhsa_exception_fp_ieee_underflow 0
		.amdhsa_exception_fp_ieee_inexact 0
		.amdhsa_exception_int_div_zero 0
	.end_amdhsa_kernel
	.section	.text._ZN12_GLOBAL__N_127rocblas_gemm_batched_kernelIDF16_Li16ELi16ELi64ELi64ELi4ELi64ELi4ELi4ELi64ELc67ELc84EKDF16_S1_DF16_EEvlllT_PT11_llS4_llS2_PT12_llPT13_lli,"axG",@progbits,_ZN12_GLOBAL__N_127rocblas_gemm_batched_kernelIDF16_Li16ELi16ELi64ELi64ELi4ELi64ELi4ELi4ELi64ELc67ELc84EKDF16_S1_DF16_EEvlllT_PT11_llS4_llS2_PT12_llPT13_lli,comdat
.Lfunc_end8:
	.size	_ZN12_GLOBAL__N_127rocblas_gemm_batched_kernelIDF16_Li16ELi16ELi64ELi64ELi4ELi64ELi4ELi4ELi64ELc67ELc84EKDF16_S1_DF16_EEvlllT_PT11_llS4_llS2_PT12_llPT13_lli, .Lfunc_end8-_ZN12_GLOBAL__N_127rocblas_gemm_batched_kernelIDF16_Li16ELi16ELi64ELi64ELi4ELi64ELi4ELi4ELi64ELc67ELc84EKDF16_S1_DF16_EEvlllT_PT11_llS4_llS2_PT12_llPT13_lli
                                        ; -- End function
	.set _ZN12_GLOBAL__N_127rocblas_gemm_batched_kernelIDF16_Li16ELi16ELi64ELi64ELi4ELi64ELi4ELi4ELi64ELc67ELc84EKDF16_S1_DF16_EEvlllT_PT11_llS4_llS2_PT12_llPT13_lli.num_vgpr, 36
	.set _ZN12_GLOBAL__N_127rocblas_gemm_batched_kernelIDF16_Li16ELi16ELi64ELi64ELi4ELi64ELi4ELi4ELi64ELc67ELc84EKDF16_S1_DF16_EEvlllT_PT11_llS4_llS2_PT12_llPT13_lli.num_agpr, 0
	.set _ZN12_GLOBAL__N_127rocblas_gemm_batched_kernelIDF16_Li16ELi16ELi64ELi64ELi4ELi64ELi4ELi4ELi64ELc67ELc84EKDF16_S1_DF16_EEvlllT_PT11_llS4_llS2_PT12_llPT13_lli.numbered_sgpr, 24
	.set _ZN12_GLOBAL__N_127rocblas_gemm_batched_kernelIDF16_Li16ELi16ELi64ELi64ELi4ELi64ELi4ELi4ELi64ELc67ELc84EKDF16_S1_DF16_EEvlllT_PT11_llS4_llS2_PT12_llPT13_lli.num_named_barrier, 0
	.set _ZN12_GLOBAL__N_127rocblas_gemm_batched_kernelIDF16_Li16ELi16ELi64ELi64ELi4ELi64ELi4ELi4ELi64ELc67ELc84EKDF16_S1_DF16_EEvlllT_PT11_llS4_llS2_PT12_llPT13_lli.private_seg_size, 0
	.set _ZN12_GLOBAL__N_127rocblas_gemm_batched_kernelIDF16_Li16ELi16ELi64ELi64ELi4ELi64ELi4ELi4ELi64ELc67ELc84EKDF16_S1_DF16_EEvlllT_PT11_llS4_llS2_PT12_llPT13_lli.uses_vcc, 1
	.set _ZN12_GLOBAL__N_127rocblas_gemm_batched_kernelIDF16_Li16ELi16ELi64ELi64ELi4ELi64ELi4ELi4ELi64ELc67ELc84EKDF16_S1_DF16_EEvlllT_PT11_llS4_llS2_PT12_llPT13_lli.uses_flat_scratch, 0
	.set _ZN12_GLOBAL__N_127rocblas_gemm_batched_kernelIDF16_Li16ELi16ELi64ELi64ELi4ELi64ELi4ELi4ELi64ELc67ELc84EKDF16_S1_DF16_EEvlllT_PT11_llS4_llS2_PT12_llPT13_lli.has_dyn_sized_stack, 0
	.set _ZN12_GLOBAL__N_127rocblas_gemm_batched_kernelIDF16_Li16ELi16ELi64ELi64ELi4ELi64ELi4ELi4ELi64ELc67ELc84EKDF16_S1_DF16_EEvlllT_PT11_llS4_llS2_PT12_llPT13_lli.has_recursion, 0
	.set _ZN12_GLOBAL__N_127rocblas_gemm_batched_kernelIDF16_Li16ELi16ELi64ELi64ELi4ELi64ELi4ELi4ELi64ELc67ELc84EKDF16_S1_DF16_EEvlllT_PT11_llS4_llS2_PT12_llPT13_lli.has_indirect_call, 0
	.section	.AMDGPU.csdata,"",@progbits
; Kernel info:
; codeLenInByte = 2368
; TotalNumSgprs: 26
; NumVgprs: 36
; ScratchSize: 0
; MemoryBound: 0
; FloatMode: 240
; IeeeMode: 1
; LDSByteSize: 1024 bytes/workgroup (compile time only)
; SGPRBlocks: 0
; VGPRBlocks: 4
; NumSGPRsForWavesPerEU: 26
; NumVGPRsForWavesPerEU: 36
; Occupancy: 16
; WaveLimiterHint : 0
; COMPUTE_PGM_RSRC2:SCRATCH_EN: 0
; COMPUTE_PGM_RSRC2:USER_SGPR: 6
; COMPUTE_PGM_RSRC2:TRAP_HANDLER: 0
; COMPUTE_PGM_RSRC2:TGID_X_EN: 1
; COMPUTE_PGM_RSRC2:TGID_Y_EN: 1
; COMPUTE_PGM_RSRC2:TGID_Z_EN: 1
; COMPUTE_PGM_RSRC2:TIDIG_COMP_CNT: 1
	.section	.text._ZN12_GLOBAL__N_127rocblas_gemm_batched_kernelIDF16_Li16ELi16ELi64ELi64ELi4ELi64ELi4ELi4ELi64ELc78ELc67EKDF16_S1_DF16_EEvlllT_PT11_llS4_llS2_PT12_llPT13_lli,"axG",@progbits,_ZN12_GLOBAL__N_127rocblas_gemm_batched_kernelIDF16_Li16ELi16ELi64ELi64ELi4ELi64ELi4ELi4ELi64ELc78ELc67EKDF16_S1_DF16_EEvlllT_PT11_llS4_llS2_PT12_llPT13_lli,comdat
	.globl	_ZN12_GLOBAL__N_127rocblas_gemm_batched_kernelIDF16_Li16ELi16ELi64ELi64ELi4ELi64ELi4ELi4ELi64ELc78ELc67EKDF16_S1_DF16_EEvlllT_PT11_llS4_llS2_PT12_llPT13_lli ; -- Begin function _ZN12_GLOBAL__N_127rocblas_gemm_batched_kernelIDF16_Li16ELi16ELi64ELi64ELi4ELi64ELi4ELi4ELi64ELc78ELc67EKDF16_S1_DF16_EEvlllT_PT11_llS4_llS2_PT12_llPT13_lli
	.p2align	8
	.type	_ZN12_GLOBAL__N_127rocblas_gemm_batched_kernelIDF16_Li16ELi16ELi64ELi64ELi4ELi64ELi4ELi4ELi64ELc78ELc67EKDF16_S1_DF16_EEvlllT_PT11_llS4_llS2_PT12_llPT13_lli,@function
_ZN12_GLOBAL__N_127rocblas_gemm_batched_kernelIDF16_Li16ELi16ELi64ELi64ELi4ELi64ELi4ELi4ELi64ELc78ELc67EKDF16_S1_DF16_EEvlllT_PT11_llS4_llS2_PT12_llPT13_lli: ; @_ZN12_GLOBAL__N_127rocblas_gemm_batched_kernelIDF16_Li16ELi16ELi64ELi64ELi4ELi64ELi4ELi4ELi64ELc78ELc67EKDF16_S1_DF16_EEvlllT_PT11_llS4_llS2_PT12_llPT13_lli
; %bb.0:
	s_load_dwordx2 s[22:23], s[4:5], 0x10
	s_mov_b32 s0, s7
	v_mov_b32_e32 v3, 0
	s_ashr_i32 s7, s6, 31
	s_ashr_i32 s1, s0, 31
	s_lshl_b64 s[10:11], s[6:7], 6
	s_lshl_b64 s[20:21], s[0:1], 6
	s_waitcnt lgkmcnt(0)
	v_cmp_lt_i64_e64 s2, s[22:23], 1
	s_and_b32 vcc_lo, exec_lo, s2
	s_cbranch_vccnz .LBB9_3
; %bb.1:
	s_clause 0x1
	s_load_dwordx4 s[0:3], s[4:5], 0x40
	s_load_dwordx8 s[12:19], s[4:5], 0x20
	v_lshl_add_u32 v4, v1, 4, v0
	v_and_b32_e32 v8, 3, v0
	v_lshlrev_b32_e32 v14, 1, v0
	v_lshl_add_u32 v15, v1, 3, 0x200
	v_mov_b32_e32 v12, 0
	v_and_b32_e32 v10, 63, v4
	v_lshrrev_b32_e32 v2, 2, v4
	v_lshrrev_b32_e32 v9, 6, v4
	v_lshlrev_b32_e32 v4, 1, v8
	v_mov_b32_e32 v13, 0
	v_lshlrev_b32_e32 v5, 1, v10
	v_lshl_or_b32 v11, v2, 3, v4
	v_lshl_or_b32 v16, v9, 7, v5
	v_add_nc_u32_e32 v17, 0x200, v11
	s_waitcnt lgkmcnt(0)
	v_mad_u64_u32 v[4:5], null, s0, v8, v[2:3]
	v_mad_u64_u32 v[6:7], null, s14, v9, s[10:11]
	s_mul_i32 s3, s3, s8
	s_mul_hi_u32 s6, s2, s8
	s_mul_i32 s2, s2, s8
	s_add_i32 s3, s6, s3
	v_mov_b32_e32 v2, v5
	v_add_co_u32 v4, vcc_lo, v4, s20
	v_mov_b32_e32 v5, v7
	s_lshl_b64 s[2:3], s[2:3], 1
	v_mad_u64_u32 v[7:8], null, s1, v8, v[2:3]
	s_mul_i32 s7, s17, s8
	v_mad_u64_u32 v[8:9], null, s15, v9, v[5:6]
	s_mul_hi_u32 s9, s16, s8
	s_mul_i32 s6, s16, s8
	s_add_u32 s16, s18, s2
	v_add_co_ci_u32_e64 v5, null, s21, v7, vcc_lo
	v_add_co_u32 v6, vcc_lo, v6, v10
	v_add_co_ci_u32_e64 v7, null, 0, v8, vcc_lo
	v_lshlrev_b64 v[4:5], 1, v[4:5]
	s_addc_u32 s17, s19, s3
	s_add_i32 s7, s9, s7
	v_lshlrev_b64 v[6:7], 1, v[6:7]
	s_lshl_b64 s[2:3], s[6:7], 1
	s_lshl_b64 s[0:1], s[0:1], 3
	s_add_u32 s2, s12, s2
	v_add_co_u32 v4, vcc_lo, s16, v4
	s_addc_u32 s3, s13, s3
	v_add_co_ci_u32_e64 v5, null, s17, v5, vcc_lo
	v_add_co_u32 v6, vcc_lo, s2, v6
	v_add_co_ci_u32_e64 v7, null, s3, v7, vcc_lo
	v_mov_b32_e32 v2, 0
	v_mov_b32_e32 v8, 0
	v_mov_b32_e32 v9, 0
	v_mov_b32_e32 v10, 0
	v_mov_b32_e32 v11, 0
	s_lshl_b64 s[2:3], s[14:15], 3
	s_mov_b64 s[6:7], 0
.LBB9_2:                                ; =>This Inner Loop Header: Depth=1
	global_load_ushort v18, v[6:7], off
	global_load_ushort v19, v[4:5], off
	s_add_u32 s6, s6, 4
	s_addc_u32 s7, s7, 0
	v_add_co_u32 v4, vcc_lo, v4, s0
	v_cmp_lt_i64_e64 s9, s[6:7], s[22:23]
	v_add_co_ci_u32_e64 v5, null, s1, v5, vcc_lo
	v_add_co_u32 v6, vcc_lo, v6, s2
	v_add_co_ci_u32_e64 v7, null, s3, v7, vcc_lo
	s_and_b32 vcc_lo, exec_lo, s9
	s_waitcnt vmcnt(1)
	ds_write_b16 v16, v18
	s_waitcnt vmcnt(0)
	ds_write_b16 v17, v19
	s_waitcnt lgkmcnt(0)
	s_barrier
	buffer_gl0_inv
	ds_read_u16 v26, v14 offset:32
	ds_read_u16 v27, v14 offset:96
	;; [unrolled: 1-line block ×8, first 2 shown]
	ds_read2_b64 v[18:21], v15 offset1:16
	ds_read2_b64 v[22:25], v15 offset0:32 offset1:48
	s_waitcnt lgkmcnt(9)
	ds_read_u16_d16_hi v26, v14
	s_waitcnt lgkmcnt(9)
	ds_read_u16_d16_hi v27, v14 offset:64
	s_waitcnt lgkmcnt(9)
	ds_read_u16_d16_hi v28, v14 offset:128
	;; [unrolled: 2-line block ×7, first 2 shown]
	s_waitcnt lgkmcnt(0)
	s_barrier
	buffer_gl0_inv
	v_pk_fma_f16 v3, v26, v18, v3 op_sel_hi:[1,0,1]
	v_pk_fma_f16 v13, v27, v18, v13 op_sel_hi:[1,0,1]
	;; [unrolled: 1-line block ×8, first 2 shown]
	v_pk_fma_f16 v3, v28, v18, v3 op_sel:[0,1,0]
	v_pk_fma_f16 v13, v29, v18, v13 op_sel:[0,1,0]
	;; [unrolled: 1-line block ×8, first 2 shown]
	v_pk_fma_f16 v3, v30, v19, v3 op_sel_hi:[1,0,1]
	v_pk_fma_f16 v13, v31, v19, v13 op_sel_hi:[1,0,1]
	;; [unrolled: 1-line block ×8, first 2 shown]
	v_pk_fma_f16 v3, v32, v19, v3 op_sel:[0,1,0]
	v_pk_fma_f16 v13, v33, v19, v13 op_sel:[0,1,0]
	v_pk_fma_f16 v12, v32, v21, v12 op_sel:[0,1,0]
	v_pk_fma_f16 v11, v33, v21, v11 op_sel:[0,1,0]
	v_pk_fma_f16 v10, v32, v23, v10 op_sel:[0,1,0]
	v_pk_fma_f16 v9, v33, v23, v9 op_sel:[0,1,0]
	v_pk_fma_f16 v8, v32, v25, v8 op_sel:[0,1,0]
	v_pk_fma_f16 v2, v33, v25, v2 op_sel:[0,1,0]
	s_cbranch_vccnz .LBB9_2
	s_branch .LBB9_4
.LBB9_3:
	v_mov_b32_e32 v13, 0
	v_mov_b32_e32 v12, 0
	;; [unrolled: 1-line block ×7, first 2 shown]
.LBB9_4:
	s_clause 0x3
	s_load_dwordx4 s[12:15], s[4:5], 0x78
	s_load_dword s16, s[4:5], 0x50
	s_load_dword s9, s[4:5], 0x18
	s_load_dwordx8 s[0:7], s[4:5], 0x58
	v_add_co_u32 v17, s17, s20, v1
	v_add_co_ci_u32_e64 v21, null, s21, 0, s17
	v_add_co_u32 v0, s10, s10, v0
	v_add_co_ci_u32_e64 v1, null, s11, 0, s10
	v_lshrrev_b32_e32 v18, 16, v3
	v_lshrrev_b32_e32 v16, 16, v13
	;; [unrolled: 1-line block ×3, first 2 shown]
	v_lshlrev_b64 v[0:1], 1, v[0:1]
	v_lshrrev_b32_e32 v14, 16, v11
	v_lshrrev_b32_e32 v7, 16, v10
	;; [unrolled: 1-line block ×4, first 2 shown]
	s_waitcnt lgkmcnt(0)
	s_mul_i32 s11, s15, s8
	s_mul_hi_u32 s15, s14, s8
	v_mul_lo_u32 v19, v21, s12
	v_mul_lo_u32 v20, v17, s13
	s_mul_i32 s10, s14, s8
	v_cmp_neq_f16_e64 s14, s16, 0
	s_add_i32 s11, s15, s11
	v_lshrrev_b32_e32 v4, 16, v2
	s_lshl_b64 s[10:11], s[10:11], 1
	s_add_u32 s6, s6, s10
	s_addc_u32 s7, s7, s11
	s_and_b32 vcc_lo, exec_lo, s14
	s_mov_b32 s10, 0
	s_cbranch_vccnz .LBB9_8
; %bb.5:
	v_mad_u64_u32 v[22:23], null, v17, s12, 0
	s_lshl_b64 s[14:15], s[12:13], 5
	v_mul_f16_sdwa v26, s9, v3 dst_sel:DWORD dst_unused:UNUSED_PAD src0_sel:DWORD src1_sel:WORD_1
	v_mul_f16_e32 v27, s9, v3
	v_mul_f16_sdwa v28, s9, v13 dst_sel:DWORD dst_unused:UNUSED_PAD src0_sel:DWORD src1_sel:WORD_1
	v_mul_f16_e32 v29, s9, v13
	v_mul_f16_sdwa v30, s9, v12 dst_sel:DWORD dst_unused:UNUSED_PAD src0_sel:DWORD src1_sel:WORD_1
	v_add3_u32 v23, v23, v20, v19
	v_mul_f16_e32 v31, s9, v12
	v_mul_f16_sdwa v32, s9, v11 dst_sel:DWORD dst_unused:UNUSED_PAD src0_sel:DWORD src1_sel:WORD_1
	v_mul_f16_e32 v33, s9, v11
	v_lshlrev_b64 v[22:23], 1, v[22:23]
	v_add_co_u32 v22, vcc_lo, s6, v22
	v_add_co_ci_u32_e64 v23, null, s7, v23, vcc_lo
	v_add_co_u32 v34, vcc_lo, v22, s14
	v_add_co_ci_u32_e64 v35, null, s15, v23, vcc_lo
	v_add_co_u32 v22, vcc_lo, v22, v0
	v_add_co_ci_u32_e64 v23, null, v23, v1, vcc_lo
	v_add_co_u32 v24, vcc_lo, v34, v0
	v_add_co_ci_u32_e64 v25, null, v35, v1, vcc_lo
	global_store_short v[22:23], v26, off
	global_store_short v[22:23], v27, off offset:32
	global_store_short v[22:23], v28, off offset:64
	;; [unrolled: 1-line block ×3, first 2 shown]
	global_store_short v[24:25], v30, off
	global_store_short v[24:25], v31, off offset:32
	v_add_co_u32 v26, vcc_lo, v34, s14
	v_add_co_ci_u32_e64 v27, null, s15, v35, vcc_lo
	v_mul_f16_sdwa v28, s9, v10 dst_sel:DWORD dst_unused:UNUSED_PAD src0_sel:DWORD src1_sel:WORD_1
	v_add_co_u32 v22, vcc_lo, v26, v0
	v_add_co_ci_u32_e64 v23, null, v27, v1, vcc_lo
	v_mul_f16_e32 v29, s9, v10
	v_mul_f16_sdwa v30, s9, v9 dst_sel:DWORD dst_unused:UNUSED_PAD src0_sel:DWORD src1_sel:WORD_1
	global_store_short v[24:25], v32, off offset:64
	global_store_short v[24:25], v33, off offset:96
	global_store_short v[22:23], v28, off
	global_store_short v[22:23], v29, off offset:32
	global_store_short v[22:23], v30, off offset:64
	v_add_co_u32 v24, vcc_lo, v26, s14
	v_add_co_ci_u32_e64 v25, null, s15, v27, vcc_lo
	v_mul_f16_e32 v28, s9, v9
	v_add_co_u32 v24, vcc_lo, v24, v0
	v_mul_f16_sdwa v26, s9, v8 dst_sel:DWORD dst_unused:UNUSED_PAD src0_sel:DWORD src1_sel:WORD_1
	v_add_co_ci_u32_e64 v25, null, v25, v1, vcc_lo
	v_mul_f16_e32 v27, s9, v8
	v_mul_f16_sdwa v29, s9, v2 dst_sel:DWORD dst_unused:UNUSED_PAD src0_sel:DWORD src1_sel:WORD_1
	v_mul_f16_e32 v30, s9, v2
	global_store_short v[22:23], v28, off offset:96
	global_store_short v[24:25], v26, off
	global_store_short v[24:25], v27, off offset:32
	global_store_short v[24:25], v29, off offset:64
	;; [unrolled: 1-line block ×3, first 2 shown]
	s_andn2_b32 vcc_lo, exec_lo, s10
	s_cbranch_vccnz .LBB9_7
.LBB9_6:
	v_mul_lo_u32 v23, v21, s2
	v_mul_lo_u32 v24, v17, s3
	v_mad_u64_u32 v[21:22], null, v17, s2, 0
	s_mul_i32 s5, s5, s8
	s_mul_hi_u32 s10, s4, s8
	s_mul_i32 s4, s4, s8
	s_add_i32 s5, s10, s5
	s_lshl_b64 s[4:5], s[4:5], 1
	v_add3_u32 v22, v22, v24, v23
	s_add_u32 s0, s0, s4
	s_addc_u32 s1, s1, s5
	v_mad_u64_u32 v[23:24], null, v17, s12, 0
	v_lshlrev_b64 v[21:22], 1, v[21:22]
	v_add3_u32 v24, v24, v20, v19
	v_add_co_u32 v25, vcc_lo, s0, v21
	v_add_co_ci_u32_e64 v26, null, s1, v22, vcc_lo
	v_lshlrev_b64 v[19:20], 1, v[23:24]
	v_add_co_u32 v21, vcc_lo, v25, v0
	v_add_co_ci_u32_e64 v22, null, v26, v1, vcc_lo
	s_lshl_b64 s[0:1], s[2:3], 5
	v_add_co_u32 v23, vcc_lo, s6, v19
	global_load_ushort v27, v[21:22], off
	v_add_co_ci_u32_e64 v24, null, s7, v20, vcc_lo
	v_add_co_u32 v19, vcc_lo, v23, v0
	s_lshl_b64 s[2:3], s[12:13], 5
	v_add_co_ci_u32_e64 v20, null, v24, v1, vcc_lo
	s_waitcnt vmcnt(0)
	v_mul_f16_e32 v17, s16, v27
	v_fmac_f16_e32 v17, s9, v18
	global_store_short v[19:20], v17, off
	global_load_ushort v17, v[21:22], off offset:32
	s_waitcnt vmcnt(0)
	v_mul_f16_e32 v17, s16, v17
	v_fmac_f16_e32 v17, s9, v3
	global_store_short v[19:20], v17, off offset:32
	global_load_ushort v3, v[21:22], off offset:64
	s_waitcnt vmcnt(0)
	v_mul_f16_e32 v3, s16, v3
	v_fmac_f16_e32 v3, s9, v16
	global_store_short v[19:20], v3, off offset:64
	global_load_ushort v3, v[21:22], off offset:96
	v_add_co_u32 v21, vcc_lo, v25, s0
	v_add_co_ci_u32_e64 v22, null, s1, v26, vcc_lo
	v_add_co_u32 v16, vcc_lo, v21, v0
	v_add_co_ci_u32_e64 v17, null, v22, v1, vcc_lo
	s_waitcnt vmcnt(0)
	v_mul_f16_e32 v3, s16, v3
	v_fmac_f16_e32 v3, s9, v13
	v_add_co_u32 v13, vcc_lo, v23, s2
	global_store_short v[19:20], v3, off offset:96
	global_load_ushort v3, v[16:17], off
	v_add_co_ci_u32_e64 v20, null, s3, v24, vcc_lo
	v_add_co_u32 v18, vcc_lo, v13, v0
	v_add_co_ci_u32_e64 v19, null, v20, v1, vcc_lo
	s_waitcnt vmcnt(0)
	v_mul_f16_e32 v3, s16, v3
	v_fmac_f16_e32 v3, s9, v15
	v_add_co_u32 v15, vcc_lo, v21, s0
	global_store_short v[18:19], v3, off
	global_load_ushort v3, v[16:17], off offset:32
	s_waitcnt vmcnt(0)
	v_mul_f16_e32 v3, s16, v3
	v_fmac_f16_e32 v3, s9, v12
	global_store_short v[18:19], v3, off offset:32
	global_load_ushort v3, v[16:17], off offset:64
	s_waitcnt vmcnt(0)
	v_mul_f16_e32 v3, s16, v3
	v_fmac_f16_e32 v3, s9, v14
	global_store_short v[18:19], v3, off offset:64
	global_load_ushort v3, v[16:17], off offset:96
	v_add_co_ci_u32_e64 v16, null, s1, v22, vcc_lo
	s_waitcnt vmcnt(0)
	v_mul_f16_e32 v3, s16, v3
	v_fmac_f16_e32 v3, s9, v11
	v_add_co_u32 v11, vcc_lo, v15, v0
	v_add_co_ci_u32_e64 v12, null, v16, v1, vcc_lo
	global_store_short v[18:19], v3, off offset:96
	v_add_co_u32 v17, vcc_lo, v13, s2
	global_load_ushort v3, v[11:12], off
	v_add_co_ci_u32_e64 v18, null, s3, v20, vcc_lo
	v_add_co_u32 v13, vcc_lo, v17, v0
	v_add_co_ci_u32_e64 v14, null, v18, v1, vcc_lo
	s_waitcnt vmcnt(0)
	v_mul_f16_e32 v3, s16, v3
	v_fmac_f16_e32 v3, s9, v7
	global_store_short v[13:14], v3, off
	global_load_ushort v3, v[11:12], off offset:32
	s_waitcnt vmcnt(0)
	v_mul_f16_e32 v3, s16, v3
	v_fmac_f16_e32 v3, s9, v10
	global_store_short v[13:14], v3, off offset:32
	global_load_ushort v3, v[11:12], off offset:64
	s_waitcnt vmcnt(0)
	v_mul_f16_e32 v3, s16, v3
	v_fmac_f16_e32 v3, s9, v6
	v_add_co_u32 v6, vcc_lo, v15, s0
	v_add_co_ci_u32_e64 v7, null, s1, v16, vcc_lo
	global_store_short v[13:14], v3, off offset:64
	global_load_ushort v3, v[11:12], off offset:96
	v_add_co_u32 v6, vcc_lo, v6, v0
	v_add_co_ci_u32_e64 v7, null, v7, v1, vcc_lo
	s_waitcnt vmcnt(0)
	v_mul_f16_e32 v3, s16, v3
	v_fmac_f16_e32 v3, s9, v9
	v_add_co_u32 v9, vcc_lo, v17, s2
	v_add_co_ci_u32_e64 v10, null, s3, v18, vcc_lo
	global_store_short v[13:14], v3, off offset:96
	global_load_ushort v3, v[6:7], off
	v_add_co_u32 v0, vcc_lo, v9, v0
	v_add_co_ci_u32_e64 v1, null, v10, v1, vcc_lo
	s_waitcnt vmcnt(0)
	v_mul_f16_e32 v3, s16, v3
	v_fmac_f16_e32 v3, s9, v5
	global_store_short v[0:1], v3, off
	global_load_ushort v3, v[6:7], off offset:32
	s_waitcnt vmcnt(0)
	v_mul_f16_e32 v3, s16, v3
	v_fmac_f16_e32 v3, s9, v8
	global_store_short v[0:1], v3, off offset:32
	global_load_ushort v3, v[6:7], off offset:64
	s_waitcnt vmcnt(0)
	v_mul_f16_e32 v3, s16, v3
	v_fmac_f16_e32 v3, s9, v4
	global_store_short v[0:1], v3, off offset:64
	;; [unrolled: 5-line block ×3, first 2 shown]
.LBB9_7:
	s_endpgm
.LBB9_8:
	s_branch .LBB9_6
	.section	.rodata,"a",@progbits
	.p2align	6, 0x0
	.amdhsa_kernel _ZN12_GLOBAL__N_127rocblas_gemm_batched_kernelIDF16_Li16ELi16ELi64ELi64ELi4ELi64ELi4ELi4ELi64ELc78ELc67EKDF16_S1_DF16_EEvlllT_PT11_llS4_llS2_PT12_llPT13_lli
		.amdhsa_group_segment_fixed_size 1024
		.amdhsa_private_segment_fixed_size 0
		.amdhsa_kernarg_size 140
		.amdhsa_user_sgpr_count 6
		.amdhsa_user_sgpr_private_segment_buffer 1
		.amdhsa_user_sgpr_dispatch_ptr 0
		.amdhsa_user_sgpr_queue_ptr 0
		.amdhsa_user_sgpr_kernarg_segment_ptr 1
		.amdhsa_user_sgpr_dispatch_id 0
		.amdhsa_user_sgpr_flat_scratch_init 0
		.amdhsa_user_sgpr_private_segment_size 0
		.amdhsa_wavefront_size32 1
		.amdhsa_uses_dynamic_stack 0
		.amdhsa_system_sgpr_private_segment_wavefront_offset 0
		.amdhsa_system_sgpr_workgroup_id_x 1
		.amdhsa_system_sgpr_workgroup_id_y 1
		.amdhsa_system_sgpr_workgroup_id_z 1
		.amdhsa_system_sgpr_workgroup_info 0
		.amdhsa_system_vgpr_workitem_id 1
		.amdhsa_next_free_vgpr 36
		.amdhsa_next_free_sgpr 24
		.amdhsa_reserve_vcc 1
		.amdhsa_reserve_flat_scratch 0
		.amdhsa_float_round_mode_32 0
		.amdhsa_float_round_mode_16_64 0
		.amdhsa_float_denorm_mode_32 3
		.amdhsa_float_denorm_mode_16_64 3
		.amdhsa_dx10_clamp 1
		.amdhsa_ieee_mode 1
		.amdhsa_fp16_overflow 0
		.amdhsa_workgroup_processor_mode 1
		.amdhsa_memory_ordered 1
		.amdhsa_forward_progress 1
		.amdhsa_shared_vgpr_count 0
		.amdhsa_exception_fp_ieee_invalid_op 0
		.amdhsa_exception_fp_denorm_src 0
		.amdhsa_exception_fp_ieee_div_zero 0
		.amdhsa_exception_fp_ieee_overflow 0
		.amdhsa_exception_fp_ieee_underflow 0
		.amdhsa_exception_fp_ieee_inexact 0
		.amdhsa_exception_int_div_zero 0
	.end_amdhsa_kernel
	.section	.text._ZN12_GLOBAL__N_127rocblas_gemm_batched_kernelIDF16_Li16ELi16ELi64ELi64ELi4ELi64ELi4ELi4ELi64ELc78ELc67EKDF16_S1_DF16_EEvlllT_PT11_llS4_llS2_PT12_llPT13_lli,"axG",@progbits,_ZN12_GLOBAL__N_127rocblas_gemm_batched_kernelIDF16_Li16ELi16ELi64ELi64ELi4ELi64ELi4ELi4ELi64ELc78ELc67EKDF16_S1_DF16_EEvlllT_PT11_llS4_llS2_PT12_llPT13_lli,comdat
.Lfunc_end9:
	.size	_ZN12_GLOBAL__N_127rocblas_gemm_batched_kernelIDF16_Li16ELi16ELi64ELi64ELi4ELi64ELi4ELi4ELi64ELc78ELc67EKDF16_S1_DF16_EEvlllT_PT11_llS4_llS2_PT12_llPT13_lli, .Lfunc_end9-_ZN12_GLOBAL__N_127rocblas_gemm_batched_kernelIDF16_Li16ELi16ELi64ELi64ELi4ELi64ELi4ELi4ELi64ELc78ELc67EKDF16_S1_DF16_EEvlllT_PT11_llS4_llS2_PT12_llPT13_lli
                                        ; -- End function
	.set _ZN12_GLOBAL__N_127rocblas_gemm_batched_kernelIDF16_Li16ELi16ELi64ELi64ELi4ELi64ELi4ELi4ELi64ELc78ELc67EKDF16_S1_DF16_EEvlllT_PT11_llS4_llS2_PT12_llPT13_lli.num_vgpr, 36
	.set _ZN12_GLOBAL__N_127rocblas_gemm_batched_kernelIDF16_Li16ELi16ELi64ELi64ELi4ELi64ELi4ELi4ELi64ELc78ELc67EKDF16_S1_DF16_EEvlllT_PT11_llS4_llS2_PT12_llPT13_lli.num_agpr, 0
	.set _ZN12_GLOBAL__N_127rocblas_gemm_batched_kernelIDF16_Li16ELi16ELi64ELi64ELi4ELi64ELi4ELi4ELi64ELc78ELc67EKDF16_S1_DF16_EEvlllT_PT11_llS4_llS2_PT12_llPT13_lli.numbered_sgpr, 24
	.set _ZN12_GLOBAL__N_127rocblas_gemm_batched_kernelIDF16_Li16ELi16ELi64ELi64ELi4ELi64ELi4ELi4ELi64ELc78ELc67EKDF16_S1_DF16_EEvlllT_PT11_llS4_llS2_PT12_llPT13_lli.num_named_barrier, 0
	.set _ZN12_GLOBAL__N_127rocblas_gemm_batched_kernelIDF16_Li16ELi16ELi64ELi64ELi4ELi64ELi4ELi4ELi64ELc78ELc67EKDF16_S1_DF16_EEvlllT_PT11_llS4_llS2_PT12_llPT13_lli.private_seg_size, 0
	.set _ZN12_GLOBAL__N_127rocblas_gemm_batched_kernelIDF16_Li16ELi16ELi64ELi64ELi4ELi64ELi4ELi4ELi64ELc78ELc67EKDF16_S1_DF16_EEvlllT_PT11_llS4_llS2_PT12_llPT13_lli.uses_vcc, 1
	.set _ZN12_GLOBAL__N_127rocblas_gemm_batched_kernelIDF16_Li16ELi16ELi64ELi64ELi4ELi64ELi4ELi4ELi64ELc78ELc67EKDF16_S1_DF16_EEvlllT_PT11_llS4_llS2_PT12_llPT13_lli.uses_flat_scratch, 0
	.set _ZN12_GLOBAL__N_127rocblas_gemm_batched_kernelIDF16_Li16ELi16ELi64ELi64ELi4ELi64ELi4ELi4ELi64ELc78ELc67EKDF16_S1_DF16_EEvlllT_PT11_llS4_llS2_PT12_llPT13_lli.has_dyn_sized_stack, 0
	.set _ZN12_GLOBAL__N_127rocblas_gemm_batched_kernelIDF16_Li16ELi16ELi64ELi64ELi4ELi64ELi4ELi4ELi64ELc78ELc67EKDF16_S1_DF16_EEvlllT_PT11_llS4_llS2_PT12_llPT13_lli.has_recursion, 0
	.set _ZN12_GLOBAL__N_127rocblas_gemm_batched_kernelIDF16_Li16ELi16ELi64ELi64ELi4ELi64ELi4ELi4ELi64ELc78ELc67EKDF16_S1_DF16_EEvlllT_PT11_llS4_llS2_PT12_llPT13_lli.has_indirect_call, 0
	.section	.AMDGPU.csdata,"",@progbits
; Kernel info:
; codeLenInByte = 2332
; TotalNumSgprs: 26
; NumVgprs: 36
; ScratchSize: 0
; MemoryBound: 0
; FloatMode: 240
; IeeeMode: 1
; LDSByteSize: 1024 bytes/workgroup (compile time only)
; SGPRBlocks: 0
; VGPRBlocks: 4
; NumSGPRsForWavesPerEU: 26
; NumVGPRsForWavesPerEU: 36
; Occupancy: 16
; WaveLimiterHint : 0
; COMPUTE_PGM_RSRC2:SCRATCH_EN: 0
; COMPUTE_PGM_RSRC2:USER_SGPR: 6
; COMPUTE_PGM_RSRC2:TRAP_HANDLER: 0
; COMPUTE_PGM_RSRC2:TGID_X_EN: 1
; COMPUTE_PGM_RSRC2:TGID_Y_EN: 1
; COMPUTE_PGM_RSRC2:TGID_Z_EN: 1
; COMPUTE_PGM_RSRC2:TIDIG_COMP_CNT: 1
	.section	.text._ZN12_GLOBAL__N_127rocblas_gemm_batched_kernelIDF16_Li16ELi16ELi64ELi64ELi4ELi64ELi4ELi4ELi64ELc84ELc67EKDF16_S1_DF16_EEvlllT_PT11_llS4_llS2_PT12_llPT13_lli,"axG",@progbits,_ZN12_GLOBAL__N_127rocblas_gemm_batched_kernelIDF16_Li16ELi16ELi64ELi64ELi4ELi64ELi4ELi4ELi64ELc84ELc67EKDF16_S1_DF16_EEvlllT_PT11_llS4_llS2_PT12_llPT13_lli,comdat
	.globl	_ZN12_GLOBAL__N_127rocblas_gemm_batched_kernelIDF16_Li16ELi16ELi64ELi64ELi4ELi64ELi4ELi4ELi64ELc84ELc67EKDF16_S1_DF16_EEvlllT_PT11_llS4_llS2_PT12_llPT13_lli ; -- Begin function _ZN12_GLOBAL__N_127rocblas_gemm_batched_kernelIDF16_Li16ELi16ELi64ELi64ELi4ELi64ELi4ELi4ELi64ELc84ELc67EKDF16_S1_DF16_EEvlllT_PT11_llS4_llS2_PT12_llPT13_lli
	.p2align	8
	.type	_ZN12_GLOBAL__N_127rocblas_gemm_batched_kernelIDF16_Li16ELi16ELi64ELi64ELi4ELi64ELi4ELi4ELi64ELc84ELc67EKDF16_S1_DF16_EEvlllT_PT11_llS4_llS2_PT12_llPT13_lli,@function
_ZN12_GLOBAL__N_127rocblas_gemm_batched_kernelIDF16_Li16ELi16ELi64ELi64ELi4ELi64ELi4ELi4ELi64ELc84ELc67EKDF16_S1_DF16_EEvlllT_PT11_llS4_llS2_PT12_llPT13_lli: ; @_ZN12_GLOBAL__N_127rocblas_gemm_batched_kernelIDF16_Li16ELi16ELi64ELi64ELi4ELi64ELi4ELi4ELi64ELc84ELc67EKDF16_S1_DF16_EEvlllT_PT11_llS4_llS2_PT12_llPT13_lli
; %bb.0:
	s_load_dwordx2 s[22:23], s[4:5], 0x10
	s_mov_b32 s0, s7
	v_mov_b32_e32 v3, 0
	s_ashr_i32 s7, s6, 31
	s_ashr_i32 s1, s0, 31
	s_lshl_b64 s[10:11], s[6:7], 6
	s_lshl_b64 s[20:21], s[0:1], 6
	s_waitcnt lgkmcnt(0)
	v_cmp_lt_i64_e64 s2, s[22:23], 1
	s_and_b32 vcc_lo, exec_lo, s2
	s_cbranch_vccnz .LBB10_3
; %bb.1:
	s_clause 0x1
	s_load_dwordx4 s[0:3], s[4:5], 0x40
	s_load_dwordx8 s[12:19], s[4:5], 0x20
	v_lshl_add_u32 v4, v1, 4, v0
	v_and_b32_e32 v8, 3, v0
	v_lshlrev_b32_e32 v14, 1, v0
	v_lshl_add_u32 v15, v1, 3, 0x200
	v_lshrrev_b32_e32 v2, 2, v4
	v_and_b32_e32 v5, 63, v4
	v_lshlrev_b32_e32 v6, 1, v8
	v_lshrrev_b32_e32 v10, 6, v4
	v_lshlrev_b32_e32 v9, 1, v5
	v_lshl_or_b32 v11, v2, 3, v6
	v_add_co_u32 v6, s6, s10, v5
	v_add_co_ci_u32_e64 v7, null, s11, 0, s6
	v_lshl_or_b32 v16, v10, 7, v9
	s_waitcnt lgkmcnt(0)
	v_mad_u64_u32 v[4:5], null, s0, v8, v[2:3]
	v_mul_lo_u32 v12, s15, v6
	v_mul_lo_u32 v13, s14, v7
	v_mad_u64_u32 v[6:7], null, s14, v6, 0
	s_mul_i32 s3, s3, s8
	s_mul_hi_u32 s6, s2, s8
	v_mov_b32_e32 v2, v5
	s_mul_i32 s2, s2, s8
	s_add_i32 s3, s6, s3
	v_add_nc_u32_e32 v17, 0x200, v11
	v_add3_u32 v7, v7, v13, v12
	v_mad_u64_u32 v[8:9], null, s1, v8, v[2:3]
	s_lshl_b64 s[2:3], s[2:3], 1
	v_lshlrev_b32_e32 v2, 1, v10
	s_add_u32 s6, s18, s2
	s_addc_u32 s7, s19, s3
	s_mul_i32 s2, s17, s8
	s_mul_hi_u32 s3, s16, s8
	v_lshlrev_b64 v[5:6], 1, v[6:7]
	v_add_co_u32 v7, vcc_lo, v4, s20
	s_add_i32 s3, s3, s2
	s_mul_i32 s2, s16, s8
	v_add_co_ci_u32_e64 v8, null, s21, v8, vcc_lo
	s_lshl_b64 s[2:3], s[2:3], 1
	v_mov_b32_e32 v10, 0
	v_add_co_u32 v9, vcc_lo, v5, s2
	v_add_co_ci_u32_e64 v6, null, s3, v6, vcc_lo
	v_lshlrev_b64 v[4:5], 1, v[7:8]
	v_add_co_u32 v2, vcc_lo, v9, v2
	v_add_co_ci_u32_e64 v7, null, 0, v6, vcc_lo
	v_mov_b32_e32 v8, 0
	v_add_co_u32 v4, vcc_lo, s6, v4
	v_add_co_ci_u32_e64 v5, null, s7, v5, vcc_lo
	v_add_co_u32 v6, vcc_lo, s12, v2
	v_add_co_ci_u32_e64 v7, null, s13, v7, vcc_lo
	v_mov_b32_e32 v2, 0
	v_mov_b32_e32 v9, 0
	;; [unrolled: 1-line block ×5, first 2 shown]
	s_lshl_b64 s[0:1], s[0:1], 3
	s_mov_b64 s[2:3], 0
.LBB10_2:                               ; =>This Inner Loop Header: Depth=1
	global_load_ushort v18, v[6:7], off
	global_load_ushort v19, v[4:5], off
	s_add_u32 s2, s2, 4
	s_addc_u32 s3, s3, 0
	v_add_co_u32 v4, vcc_lo, v4, s0
	v_cmp_lt_i64_e64 s6, s[2:3], s[22:23]
	v_add_co_ci_u32_e64 v5, null, s1, v5, vcc_lo
	v_add_co_u32 v6, vcc_lo, v6, 8
	v_add_co_ci_u32_e64 v7, null, 0, v7, vcc_lo
	s_and_b32 vcc_lo, exec_lo, s6
	s_waitcnt vmcnt(1)
	ds_write_b16 v16, v18
	s_waitcnt vmcnt(0)
	ds_write_b16 v17, v19
	s_waitcnt lgkmcnt(0)
	s_barrier
	buffer_gl0_inv
	ds_read_u16 v26, v14 offset:32
	ds_read_u16 v27, v14 offset:96
	;; [unrolled: 1-line block ×8, first 2 shown]
	ds_read2_b64 v[18:21], v15 offset1:16
	ds_read2_b64 v[22:25], v15 offset0:32 offset1:48
	s_waitcnt lgkmcnt(9)
	ds_read_u16_d16_hi v26, v14
	s_waitcnt lgkmcnt(9)
	ds_read_u16_d16_hi v27, v14 offset:64
	s_waitcnt lgkmcnt(9)
	ds_read_u16_d16_hi v28, v14 offset:128
	;; [unrolled: 2-line block ×7, first 2 shown]
	s_waitcnt lgkmcnt(0)
	s_barrier
	buffer_gl0_inv
	v_pk_fma_f16 v3, v26, v18, v3 op_sel_hi:[1,0,1]
	v_pk_fma_f16 v13, v27, v18, v13 op_sel_hi:[1,0,1]
	;; [unrolled: 1-line block ×8, first 2 shown]
	v_pk_fma_f16 v3, v28, v18, v3 op_sel:[0,1,0]
	v_pk_fma_f16 v13, v29, v18, v13 op_sel:[0,1,0]
	;; [unrolled: 1-line block ×8, first 2 shown]
	v_pk_fma_f16 v3, v30, v19, v3 op_sel_hi:[1,0,1]
	v_pk_fma_f16 v13, v31, v19, v13 op_sel_hi:[1,0,1]
	;; [unrolled: 1-line block ×8, first 2 shown]
	v_pk_fma_f16 v3, v32, v19, v3 op_sel:[0,1,0]
	v_pk_fma_f16 v13, v33, v19, v13 op_sel:[0,1,0]
	;; [unrolled: 1-line block ×8, first 2 shown]
	s_cbranch_vccnz .LBB10_2
	s_branch .LBB10_4
.LBB10_3:
	v_mov_b32_e32 v13, 0
	v_mov_b32_e32 v12, 0
	;; [unrolled: 1-line block ×7, first 2 shown]
.LBB10_4:
	s_clause 0x3
	s_load_dwordx4 s[12:15], s[4:5], 0x78
	s_load_dword s16, s[4:5], 0x50
	s_load_dword s9, s[4:5], 0x18
	s_load_dwordx8 s[0:7], s[4:5], 0x58
	v_add_co_u32 v17, s17, s20, v1
	v_add_co_ci_u32_e64 v21, null, s21, 0, s17
	v_add_co_u32 v0, s10, s10, v0
	v_add_co_ci_u32_e64 v1, null, s11, 0, s10
	v_lshrrev_b32_e32 v18, 16, v3
	v_lshrrev_b32_e32 v16, 16, v13
	v_lshrrev_b32_e32 v15, 16, v12
	v_lshlrev_b64 v[0:1], 1, v[0:1]
	v_lshrrev_b32_e32 v14, 16, v11
	v_lshrrev_b32_e32 v7, 16, v10
	;; [unrolled: 1-line block ×4, first 2 shown]
	s_waitcnt lgkmcnt(0)
	s_mul_i32 s11, s15, s8
	s_mul_hi_u32 s15, s14, s8
	v_mul_lo_u32 v19, v21, s12
	v_mul_lo_u32 v20, v17, s13
	s_mul_i32 s10, s14, s8
	v_cmp_neq_f16_e64 s14, s16, 0
	s_add_i32 s11, s15, s11
	v_lshrrev_b32_e32 v4, 16, v2
	s_lshl_b64 s[10:11], s[10:11], 1
	s_add_u32 s6, s6, s10
	s_addc_u32 s7, s7, s11
	s_and_b32 vcc_lo, exec_lo, s14
	s_mov_b32 s10, 0
	s_cbranch_vccnz .LBB10_8
; %bb.5:
	v_mad_u64_u32 v[22:23], null, v17, s12, 0
	s_lshl_b64 s[14:15], s[12:13], 5
	v_mul_f16_sdwa v26, s9, v3 dst_sel:DWORD dst_unused:UNUSED_PAD src0_sel:DWORD src1_sel:WORD_1
	v_mul_f16_e32 v27, s9, v3
	v_mul_f16_sdwa v28, s9, v13 dst_sel:DWORD dst_unused:UNUSED_PAD src0_sel:DWORD src1_sel:WORD_1
	v_mul_f16_e32 v29, s9, v13
	v_mul_f16_sdwa v30, s9, v12 dst_sel:DWORD dst_unused:UNUSED_PAD src0_sel:DWORD src1_sel:WORD_1
	v_add3_u32 v23, v23, v20, v19
	v_mul_f16_e32 v31, s9, v12
	v_mul_f16_sdwa v32, s9, v11 dst_sel:DWORD dst_unused:UNUSED_PAD src0_sel:DWORD src1_sel:WORD_1
	v_mul_f16_e32 v33, s9, v11
	v_lshlrev_b64 v[22:23], 1, v[22:23]
	v_add_co_u32 v22, vcc_lo, s6, v22
	v_add_co_ci_u32_e64 v23, null, s7, v23, vcc_lo
	v_add_co_u32 v34, vcc_lo, v22, s14
	v_add_co_ci_u32_e64 v35, null, s15, v23, vcc_lo
	;; [unrolled: 2-line block ×4, first 2 shown]
	global_store_short v[22:23], v26, off
	global_store_short v[22:23], v27, off offset:32
	global_store_short v[22:23], v28, off offset:64
	global_store_short v[22:23], v29, off offset:96
	global_store_short v[24:25], v30, off
	global_store_short v[24:25], v31, off offset:32
	v_add_co_u32 v26, vcc_lo, v34, s14
	v_add_co_ci_u32_e64 v27, null, s15, v35, vcc_lo
	v_mul_f16_sdwa v28, s9, v10 dst_sel:DWORD dst_unused:UNUSED_PAD src0_sel:DWORD src1_sel:WORD_1
	v_add_co_u32 v22, vcc_lo, v26, v0
	v_add_co_ci_u32_e64 v23, null, v27, v1, vcc_lo
	v_mul_f16_e32 v29, s9, v10
	v_mul_f16_sdwa v30, s9, v9 dst_sel:DWORD dst_unused:UNUSED_PAD src0_sel:DWORD src1_sel:WORD_1
	global_store_short v[24:25], v32, off offset:64
	global_store_short v[24:25], v33, off offset:96
	global_store_short v[22:23], v28, off
	global_store_short v[22:23], v29, off offset:32
	global_store_short v[22:23], v30, off offset:64
	v_add_co_u32 v24, vcc_lo, v26, s14
	v_add_co_ci_u32_e64 v25, null, s15, v27, vcc_lo
	v_mul_f16_e32 v28, s9, v9
	v_add_co_u32 v24, vcc_lo, v24, v0
	v_mul_f16_sdwa v26, s9, v8 dst_sel:DWORD dst_unused:UNUSED_PAD src0_sel:DWORD src1_sel:WORD_1
	v_add_co_ci_u32_e64 v25, null, v25, v1, vcc_lo
	v_mul_f16_e32 v27, s9, v8
	v_mul_f16_sdwa v29, s9, v2 dst_sel:DWORD dst_unused:UNUSED_PAD src0_sel:DWORD src1_sel:WORD_1
	v_mul_f16_e32 v30, s9, v2
	global_store_short v[22:23], v28, off offset:96
	global_store_short v[24:25], v26, off
	global_store_short v[24:25], v27, off offset:32
	global_store_short v[24:25], v29, off offset:64
	;; [unrolled: 1-line block ×3, first 2 shown]
	s_andn2_b32 vcc_lo, exec_lo, s10
	s_cbranch_vccnz .LBB10_7
.LBB10_6:
	v_mul_lo_u32 v23, v21, s2
	v_mul_lo_u32 v24, v17, s3
	v_mad_u64_u32 v[21:22], null, v17, s2, 0
	s_mul_i32 s5, s5, s8
	s_mul_hi_u32 s10, s4, s8
	s_mul_i32 s4, s4, s8
	s_add_i32 s5, s10, s5
	s_lshl_b64 s[4:5], s[4:5], 1
	v_add3_u32 v22, v22, v24, v23
	s_add_u32 s0, s0, s4
	s_addc_u32 s1, s1, s5
	v_mad_u64_u32 v[23:24], null, v17, s12, 0
	v_lshlrev_b64 v[21:22], 1, v[21:22]
	v_add3_u32 v24, v24, v20, v19
	v_add_co_u32 v25, vcc_lo, s0, v21
	v_add_co_ci_u32_e64 v26, null, s1, v22, vcc_lo
	v_lshlrev_b64 v[19:20], 1, v[23:24]
	v_add_co_u32 v21, vcc_lo, v25, v0
	v_add_co_ci_u32_e64 v22, null, v26, v1, vcc_lo
	s_lshl_b64 s[0:1], s[2:3], 5
	v_add_co_u32 v23, vcc_lo, s6, v19
	global_load_ushort v27, v[21:22], off
	v_add_co_ci_u32_e64 v24, null, s7, v20, vcc_lo
	v_add_co_u32 v19, vcc_lo, v23, v0
	s_lshl_b64 s[2:3], s[12:13], 5
	v_add_co_ci_u32_e64 v20, null, v24, v1, vcc_lo
	s_waitcnt vmcnt(0)
	v_mul_f16_e32 v17, s16, v27
	v_fmac_f16_e32 v17, s9, v18
	global_store_short v[19:20], v17, off
	global_load_ushort v17, v[21:22], off offset:32
	s_waitcnt vmcnt(0)
	v_mul_f16_e32 v17, s16, v17
	v_fmac_f16_e32 v17, s9, v3
	global_store_short v[19:20], v17, off offset:32
	global_load_ushort v3, v[21:22], off offset:64
	s_waitcnt vmcnt(0)
	v_mul_f16_e32 v3, s16, v3
	v_fmac_f16_e32 v3, s9, v16
	global_store_short v[19:20], v3, off offset:64
	global_load_ushort v3, v[21:22], off offset:96
	v_add_co_u32 v21, vcc_lo, v25, s0
	v_add_co_ci_u32_e64 v22, null, s1, v26, vcc_lo
	v_add_co_u32 v16, vcc_lo, v21, v0
	v_add_co_ci_u32_e64 v17, null, v22, v1, vcc_lo
	s_waitcnt vmcnt(0)
	v_mul_f16_e32 v3, s16, v3
	v_fmac_f16_e32 v3, s9, v13
	v_add_co_u32 v13, vcc_lo, v23, s2
	global_store_short v[19:20], v3, off offset:96
	global_load_ushort v3, v[16:17], off
	v_add_co_ci_u32_e64 v20, null, s3, v24, vcc_lo
	v_add_co_u32 v18, vcc_lo, v13, v0
	v_add_co_ci_u32_e64 v19, null, v20, v1, vcc_lo
	s_waitcnt vmcnt(0)
	v_mul_f16_e32 v3, s16, v3
	v_fmac_f16_e32 v3, s9, v15
	v_add_co_u32 v15, vcc_lo, v21, s0
	global_store_short v[18:19], v3, off
	global_load_ushort v3, v[16:17], off offset:32
	s_waitcnt vmcnt(0)
	v_mul_f16_e32 v3, s16, v3
	v_fmac_f16_e32 v3, s9, v12
	global_store_short v[18:19], v3, off offset:32
	global_load_ushort v3, v[16:17], off offset:64
	s_waitcnt vmcnt(0)
	v_mul_f16_e32 v3, s16, v3
	v_fmac_f16_e32 v3, s9, v14
	global_store_short v[18:19], v3, off offset:64
	global_load_ushort v3, v[16:17], off offset:96
	v_add_co_ci_u32_e64 v16, null, s1, v22, vcc_lo
	s_waitcnt vmcnt(0)
	v_mul_f16_e32 v3, s16, v3
	v_fmac_f16_e32 v3, s9, v11
	v_add_co_u32 v11, vcc_lo, v15, v0
	v_add_co_ci_u32_e64 v12, null, v16, v1, vcc_lo
	global_store_short v[18:19], v3, off offset:96
	v_add_co_u32 v17, vcc_lo, v13, s2
	global_load_ushort v3, v[11:12], off
	v_add_co_ci_u32_e64 v18, null, s3, v20, vcc_lo
	v_add_co_u32 v13, vcc_lo, v17, v0
	v_add_co_ci_u32_e64 v14, null, v18, v1, vcc_lo
	s_waitcnt vmcnt(0)
	v_mul_f16_e32 v3, s16, v3
	v_fmac_f16_e32 v3, s9, v7
	global_store_short v[13:14], v3, off
	global_load_ushort v3, v[11:12], off offset:32
	s_waitcnt vmcnt(0)
	v_mul_f16_e32 v3, s16, v3
	v_fmac_f16_e32 v3, s9, v10
	global_store_short v[13:14], v3, off offset:32
	global_load_ushort v3, v[11:12], off offset:64
	s_waitcnt vmcnt(0)
	v_mul_f16_e32 v3, s16, v3
	v_fmac_f16_e32 v3, s9, v6
	v_add_co_u32 v6, vcc_lo, v15, s0
	v_add_co_ci_u32_e64 v7, null, s1, v16, vcc_lo
	global_store_short v[13:14], v3, off offset:64
	global_load_ushort v3, v[11:12], off offset:96
	v_add_co_u32 v6, vcc_lo, v6, v0
	v_add_co_ci_u32_e64 v7, null, v7, v1, vcc_lo
	s_waitcnt vmcnt(0)
	v_mul_f16_e32 v3, s16, v3
	v_fmac_f16_e32 v3, s9, v9
	v_add_co_u32 v9, vcc_lo, v17, s2
	v_add_co_ci_u32_e64 v10, null, s3, v18, vcc_lo
	global_store_short v[13:14], v3, off offset:96
	global_load_ushort v3, v[6:7], off
	v_add_co_u32 v0, vcc_lo, v9, v0
	v_add_co_ci_u32_e64 v1, null, v10, v1, vcc_lo
	s_waitcnt vmcnt(0)
	v_mul_f16_e32 v3, s16, v3
	v_fmac_f16_e32 v3, s9, v5
	global_store_short v[0:1], v3, off
	global_load_ushort v3, v[6:7], off offset:32
	s_waitcnt vmcnt(0)
	v_mul_f16_e32 v3, s16, v3
	v_fmac_f16_e32 v3, s9, v8
	global_store_short v[0:1], v3, off offset:32
	global_load_ushort v3, v[6:7], off offset:64
	s_waitcnt vmcnt(0)
	v_mul_f16_e32 v3, s16, v3
	v_fmac_f16_e32 v3, s9, v4
	global_store_short v[0:1], v3, off offset:64
	;; [unrolled: 5-line block ×3, first 2 shown]
.LBB10_7:
	s_endpgm
.LBB10_8:
	s_branch .LBB10_6
	.section	.rodata,"a",@progbits
	.p2align	6, 0x0
	.amdhsa_kernel _ZN12_GLOBAL__N_127rocblas_gemm_batched_kernelIDF16_Li16ELi16ELi64ELi64ELi4ELi64ELi4ELi4ELi64ELc84ELc67EKDF16_S1_DF16_EEvlllT_PT11_llS4_llS2_PT12_llPT13_lli
		.amdhsa_group_segment_fixed_size 1024
		.amdhsa_private_segment_fixed_size 0
		.amdhsa_kernarg_size 140
		.amdhsa_user_sgpr_count 6
		.amdhsa_user_sgpr_private_segment_buffer 1
		.amdhsa_user_sgpr_dispatch_ptr 0
		.amdhsa_user_sgpr_queue_ptr 0
		.amdhsa_user_sgpr_kernarg_segment_ptr 1
		.amdhsa_user_sgpr_dispatch_id 0
		.amdhsa_user_sgpr_flat_scratch_init 0
		.amdhsa_user_sgpr_private_segment_size 0
		.amdhsa_wavefront_size32 1
		.amdhsa_uses_dynamic_stack 0
		.amdhsa_system_sgpr_private_segment_wavefront_offset 0
		.amdhsa_system_sgpr_workgroup_id_x 1
		.amdhsa_system_sgpr_workgroup_id_y 1
		.amdhsa_system_sgpr_workgroup_id_z 1
		.amdhsa_system_sgpr_workgroup_info 0
		.amdhsa_system_vgpr_workitem_id 1
		.amdhsa_next_free_vgpr 36
		.amdhsa_next_free_sgpr 24
		.amdhsa_reserve_vcc 1
		.amdhsa_reserve_flat_scratch 0
		.amdhsa_float_round_mode_32 0
		.amdhsa_float_round_mode_16_64 0
		.amdhsa_float_denorm_mode_32 3
		.amdhsa_float_denorm_mode_16_64 3
		.amdhsa_dx10_clamp 1
		.amdhsa_ieee_mode 1
		.amdhsa_fp16_overflow 0
		.amdhsa_workgroup_processor_mode 1
		.amdhsa_memory_ordered 1
		.amdhsa_forward_progress 1
		.amdhsa_shared_vgpr_count 0
		.amdhsa_exception_fp_ieee_invalid_op 0
		.amdhsa_exception_fp_denorm_src 0
		.amdhsa_exception_fp_ieee_div_zero 0
		.amdhsa_exception_fp_ieee_overflow 0
		.amdhsa_exception_fp_ieee_underflow 0
		.amdhsa_exception_fp_ieee_inexact 0
		.amdhsa_exception_int_div_zero 0
	.end_amdhsa_kernel
	.section	.text._ZN12_GLOBAL__N_127rocblas_gemm_batched_kernelIDF16_Li16ELi16ELi64ELi64ELi4ELi64ELi4ELi4ELi64ELc84ELc67EKDF16_S1_DF16_EEvlllT_PT11_llS4_llS2_PT12_llPT13_lli,"axG",@progbits,_ZN12_GLOBAL__N_127rocblas_gemm_batched_kernelIDF16_Li16ELi16ELi64ELi64ELi4ELi64ELi4ELi4ELi64ELc84ELc67EKDF16_S1_DF16_EEvlllT_PT11_llS4_llS2_PT12_llPT13_lli,comdat
.Lfunc_end10:
	.size	_ZN12_GLOBAL__N_127rocblas_gemm_batched_kernelIDF16_Li16ELi16ELi64ELi64ELi4ELi64ELi4ELi4ELi64ELc84ELc67EKDF16_S1_DF16_EEvlllT_PT11_llS4_llS2_PT12_llPT13_lli, .Lfunc_end10-_ZN12_GLOBAL__N_127rocblas_gemm_batched_kernelIDF16_Li16ELi16ELi64ELi64ELi4ELi64ELi4ELi4ELi64ELc84ELc67EKDF16_S1_DF16_EEvlllT_PT11_llS4_llS2_PT12_llPT13_lli
                                        ; -- End function
	.set _ZN12_GLOBAL__N_127rocblas_gemm_batched_kernelIDF16_Li16ELi16ELi64ELi64ELi4ELi64ELi4ELi4ELi64ELc84ELc67EKDF16_S1_DF16_EEvlllT_PT11_llS4_llS2_PT12_llPT13_lli.num_vgpr, 36
	.set _ZN12_GLOBAL__N_127rocblas_gemm_batched_kernelIDF16_Li16ELi16ELi64ELi64ELi4ELi64ELi4ELi4ELi64ELc84ELc67EKDF16_S1_DF16_EEvlllT_PT11_llS4_llS2_PT12_llPT13_lli.num_agpr, 0
	.set _ZN12_GLOBAL__N_127rocblas_gemm_batched_kernelIDF16_Li16ELi16ELi64ELi64ELi4ELi64ELi4ELi4ELi64ELc84ELc67EKDF16_S1_DF16_EEvlllT_PT11_llS4_llS2_PT12_llPT13_lli.numbered_sgpr, 24
	.set _ZN12_GLOBAL__N_127rocblas_gemm_batched_kernelIDF16_Li16ELi16ELi64ELi64ELi4ELi64ELi4ELi4ELi64ELc84ELc67EKDF16_S1_DF16_EEvlllT_PT11_llS4_llS2_PT12_llPT13_lli.num_named_barrier, 0
	.set _ZN12_GLOBAL__N_127rocblas_gemm_batched_kernelIDF16_Li16ELi16ELi64ELi64ELi4ELi64ELi4ELi4ELi64ELc84ELc67EKDF16_S1_DF16_EEvlllT_PT11_llS4_llS2_PT12_llPT13_lli.private_seg_size, 0
	.set _ZN12_GLOBAL__N_127rocblas_gemm_batched_kernelIDF16_Li16ELi16ELi64ELi64ELi4ELi64ELi4ELi4ELi64ELc84ELc67EKDF16_S1_DF16_EEvlllT_PT11_llS4_llS2_PT12_llPT13_lli.uses_vcc, 1
	.set _ZN12_GLOBAL__N_127rocblas_gemm_batched_kernelIDF16_Li16ELi16ELi64ELi64ELi4ELi64ELi4ELi4ELi64ELc84ELc67EKDF16_S1_DF16_EEvlllT_PT11_llS4_llS2_PT12_llPT13_lli.uses_flat_scratch, 0
	.set _ZN12_GLOBAL__N_127rocblas_gemm_batched_kernelIDF16_Li16ELi16ELi64ELi64ELi4ELi64ELi4ELi4ELi64ELc84ELc67EKDF16_S1_DF16_EEvlllT_PT11_llS4_llS2_PT12_llPT13_lli.has_dyn_sized_stack, 0
	.set _ZN12_GLOBAL__N_127rocblas_gemm_batched_kernelIDF16_Li16ELi16ELi64ELi64ELi4ELi64ELi4ELi4ELi64ELc84ELc67EKDF16_S1_DF16_EEvlllT_PT11_llS4_llS2_PT12_llPT13_lli.has_recursion, 0
	.set _ZN12_GLOBAL__N_127rocblas_gemm_batched_kernelIDF16_Li16ELi16ELi64ELi64ELi4ELi64ELi4ELi4ELi64ELc84ELc67EKDF16_S1_DF16_EEvlllT_PT11_llS4_llS2_PT12_llPT13_lli.has_indirect_call, 0
	.section	.AMDGPU.csdata,"",@progbits
; Kernel info:
; codeLenInByte = 2368
; TotalNumSgprs: 26
; NumVgprs: 36
; ScratchSize: 0
; MemoryBound: 0
; FloatMode: 240
; IeeeMode: 1
; LDSByteSize: 1024 bytes/workgroup (compile time only)
; SGPRBlocks: 0
; VGPRBlocks: 4
; NumSGPRsForWavesPerEU: 26
; NumVGPRsForWavesPerEU: 36
; Occupancy: 16
; WaveLimiterHint : 0
; COMPUTE_PGM_RSRC2:SCRATCH_EN: 0
; COMPUTE_PGM_RSRC2:USER_SGPR: 6
; COMPUTE_PGM_RSRC2:TRAP_HANDLER: 0
; COMPUTE_PGM_RSRC2:TGID_X_EN: 1
; COMPUTE_PGM_RSRC2:TGID_Y_EN: 1
; COMPUTE_PGM_RSRC2:TGID_Z_EN: 1
; COMPUTE_PGM_RSRC2:TIDIG_COMP_CNT: 1
	.section	.text._ZN12_GLOBAL__N_127rocblas_gemm_batched_kernelIDF16_Li16ELi16ELi32ELi32ELi8ELi32ELi8ELi8ELi32ELc78ELc78EKDF16_S1_DF16_EEvlllT_PT11_llS4_llS2_PT12_llPT13_lli,"axG",@progbits,_ZN12_GLOBAL__N_127rocblas_gemm_batched_kernelIDF16_Li16ELi16ELi32ELi32ELi8ELi32ELi8ELi8ELi32ELc78ELc78EKDF16_S1_DF16_EEvlllT_PT11_llS4_llS2_PT12_llPT13_lli,comdat
	.globl	_ZN12_GLOBAL__N_127rocblas_gemm_batched_kernelIDF16_Li16ELi16ELi32ELi32ELi8ELi32ELi8ELi8ELi32ELc78ELc78EKDF16_S1_DF16_EEvlllT_PT11_llS4_llS2_PT12_llPT13_lli ; -- Begin function _ZN12_GLOBAL__N_127rocblas_gemm_batched_kernelIDF16_Li16ELi16ELi32ELi32ELi8ELi32ELi8ELi8ELi32ELc78ELc78EKDF16_S1_DF16_EEvlllT_PT11_llS4_llS2_PT12_llPT13_lli
	.p2align	8
	.type	_ZN12_GLOBAL__N_127rocblas_gemm_batched_kernelIDF16_Li16ELi16ELi32ELi32ELi8ELi32ELi8ELi8ELi32ELc78ELc78EKDF16_S1_DF16_EEvlllT_PT11_llS4_llS2_PT12_llPT13_lli,@function
_ZN12_GLOBAL__N_127rocblas_gemm_batched_kernelIDF16_Li16ELi16ELi32ELi32ELi8ELi32ELi8ELi8ELi32ELc78ELc78EKDF16_S1_DF16_EEvlllT_PT11_llS4_llS2_PT12_llPT13_lli: ; @_ZN12_GLOBAL__N_127rocblas_gemm_batched_kernelIDF16_Li16ELi16ELi32ELi32ELi8ELi32ELi8ELi8ELi32ELc78ELc78EKDF16_S1_DF16_EEvlllT_PT11_llS4_llS2_PT12_llPT13_lli
; %bb.0:
	s_load_dwordx2 s[20:21], s[4:5], 0x10
	s_mov_b32 s0, s7
	s_ashr_i32 s7, s6, 31
	s_ashr_i32 s1, s0, 31
	s_lshl_b64 s[6:7], s[6:7], 5
	s_lshl_b64 s[10:11], s[0:1], 5
	s_waitcnt lgkmcnt(0)
	v_cmp_lt_i64_e64 s2, s[20:21], 1
	s_and_b32 vcc_lo, exec_lo, s2
	s_cbranch_vccnz .LBB11_3
; %bb.1:
	v_lshlrev_b32_e32 v4, 4, v1
	s_clause 0x1
	s_load_dwordx4 s[0:3], s[4:5], 0x40
	s_load_dwordx8 s[12:19], s[4:5], 0x20
	v_and_b32_e32 v3, 7, v0
	v_lshlrev_b32_e32 v8, 1, v0
	v_add_nc_u32_e32 v2, v4, v0
	v_add_nc_u32_e32 v9, 0x200, v4
	v_lshlrev_b32_e32 v7, 1, v3
	v_lshrrev_b32_e32 v5, 3, v2
	v_and_b32_e32 v12, 31, v2
	v_lshrrev_b32_e32 v13, 5, v2
	v_add_co_u32 v3, s9, v5, s10
	v_add_co_ci_u32_e64 v6, null, 0, s11, s9
	v_lshl_or_b32 v11, v5, 4, v7
	v_lshlrev_b32_e32 v10, 1, v12
	s_waitcnt lgkmcnt(0)
	v_mul_lo_u32 v14, s1, v3
	v_mul_lo_u32 v6, s0, v6
	v_mad_u64_u32 v[2:3], null, s0, v3, 0
	v_mad_u64_u32 v[4:5], null, s14, v13, s[6:7]
	s_mul_i32 s1, s3, s8
	s_mul_hi_u32 s3, s2, s8
	s_mul_i32 s0, s2, s8
	s_add_i32 s1, s3, s1
	v_add3_u32 v3, v3, v6, v14
	s_lshl_b64 s[0:1], s[0:1], 1
	v_mad_u64_u32 v[5:6], null, s15, v13, v[5:6]
	v_lshl_or_b32 v10, v13, 6, v10
	v_lshlrev_b64 v[2:3], 1, v[2:3]
	s_mul_i32 s2, s17, s8
	s_mul_hi_u32 s3, s16, s8
	v_add_nc_u32_e32 v11, 0x200, v11
	v_add_co_u32 v6, vcc_lo, v2, s0
	v_add_co_ci_u32_e64 v13, null, s1, v3, vcc_lo
	v_add_co_u32 v2, vcc_lo, v4, v12
	v_add_co_ci_u32_e64 v3, null, 0, v5, vcc_lo
	v_add_co_u32 v6, vcc_lo, v6, v7
	s_add_i32 s1, s3, s2
	s_mul_i32 s0, s16, s8
	v_lshlrev_b64 v[4:5], 1, v[2:3]
	v_add_co_ci_u32_e64 v7, null, 0, v13, vcc_lo
	s_lshl_b64 s[0:1], s[0:1], 1
	v_add_co_u32 v2, vcc_lo, s18, v6
	s_add_u32 s0, s12, s0
	v_add_co_ci_u32_e64 v3, null, s19, v7, vcc_lo
	s_addc_u32 s1, s13, s1
	v_add_co_u32 v4, vcc_lo, s0, v4
	v_add_co_ci_u32_e64 v5, null, s1, v5, vcc_lo
	v_mov_b32_e32 v6, 0
	v_mov_b32_e32 v7, 0
	s_lshl_b64 s[0:1], s[14:15], 4
	s_mov_b64 s[2:3], 0
.LBB11_2:                               ; =>This Inner Loop Header: Depth=1
	global_load_ushort v12, v[4:5], off
	global_load_ushort v13, v[2:3], off
	s_add_u32 s2, s2, 8
	s_addc_u32 s3, s3, 0
	v_add_co_u32 v2, vcc_lo, v2, 16
	v_cmp_lt_i64_e64 s9, s[2:3], s[20:21]
	v_add_co_ci_u32_e64 v3, null, 0, v3, vcc_lo
	v_add_co_u32 v4, vcc_lo, v4, s0
	v_add_co_ci_u32_e64 v5, null, s1, v5, vcc_lo
	s_and_b32 vcc_lo, exec_lo, s9
	s_waitcnt vmcnt(1)
	ds_write_b16 v10, v12
	s_waitcnt vmcnt(0)
	ds_write_b16 v11, v13
	s_waitcnt lgkmcnt(0)
	s_barrier
	buffer_gl0_inv
	ds_read_u16 v20, v8 offset:32
	ds_read_u16 v21, v8 offset:96
	;; [unrolled: 1-line block ×3, first 2 shown]
	ds_read_b128 v[12:15], v9
	ds_read_b128 v[16:19], v9 offset:256
	ds_read_u16 v23, v8 offset:224
	ds_read_u16 v24, v8 offset:288
	;; [unrolled: 1-line block ×5, first 2 shown]
	s_waitcnt lgkmcnt(9)
	ds_read_u16_d16_hi v20, v8
	s_waitcnt lgkmcnt(9)
	ds_read_u16_d16_hi v21, v8 offset:64
	s_waitcnt lgkmcnt(9)
	ds_read_u16_d16_hi v22, v8 offset:128
	;; [unrolled: 2-line block ×7, first 2 shown]
	s_waitcnt lgkmcnt(0)
	s_barrier
	buffer_gl0_inv
	v_pk_fma_f16 v7, v20, v12, v7 op_sel_hi:[1,0,1]
	v_pk_fma_f16 v6, v20, v16, v6 op_sel_hi:[1,0,1]
	v_pk_fma_f16 v7, v21, v12, v7 op_sel:[0,1,0]
	v_pk_fma_f16 v6, v21, v16, v6 op_sel:[0,1,0]
	v_pk_fma_f16 v7, v22, v13, v7 op_sel_hi:[1,0,1]
	v_pk_fma_f16 v6, v22, v17, v6 op_sel_hi:[1,0,1]
	v_pk_fma_f16 v7, v23, v13, v7 op_sel:[0,1,0]
	v_pk_fma_f16 v6, v23, v17, v6 op_sel:[0,1,0]
	;; [unrolled: 4-line block ×4, first 2 shown]
	s_cbranch_vccnz .LBB11_2
	s_branch .LBB11_4
.LBB11_3:
	v_mov_b32_e32 v7, 0
	v_mov_b32_e32 v6, 0
.LBB11_4:
	s_clause 0x3
	s_load_dwordx4 s[0:3], s[4:5], 0x78
	s_load_dword s9, s[4:5], 0x50
	s_load_dwordx8 s[12:19], s[4:5], 0x58
	s_load_dword s4, s[4:5], 0x18
	v_add_co_u32 v10, s5, s6, v0
	v_add_co_ci_u32_e64 v11, null, s7, 0, s5
	v_add_co_u32 v4, s5, s10, v1
	v_add_co_ci_u32_e64 v9, null, s11, 0, s5
	v_lshlrev_b64 v[0:1], 1, v[10:11]
	v_lshrrev_b32_e32 v3, 16, v7
	v_lshrrev_b32_e32 v2, 16, v6
	s_waitcnt lgkmcnt(0)
	s_mul_i32 s3, s3, s8
	s_mul_hi_u32 s5, s2, s8
	v_mul_lo_u32 v5, v9, s0
	v_mul_lo_u32 v8, v4, s1
	s_mul_i32 s2, s2, s8
	v_cmp_neq_f16_e64 s6, s9, 0
	s_add_i32 s3, s5, s3
	s_mov_b32 s5, 0
	s_lshl_b64 s[2:3], s[2:3], 1
	s_add_u32 s2, s18, s2
	s_addc_u32 s3, s19, s3
	s_and_b32 vcc_lo, exec_lo, s6
	s_cbranch_vccnz .LBB11_8
; %bb.5:
	v_mad_u64_u32 v[10:11], null, v4, s0, 0
	s_lshl_b64 s[6:7], s[0:1], 5
	v_mul_f16_sdwa v14, s4, v7 dst_sel:DWORD dst_unused:UNUSED_PAD src0_sel:DWORD src1_sel:WORD_1
	v_mul_f16_e32 v15, s4, v7
	v_mul_f16_sdwa v16, s4, v6 dst_sel:DWORD dst_unused:UNUSED_PAD src0_sel:DWORD src1_sel:WORD_1
	v_mul_f16_e32 v17, s4, v6
	v_add3_u32 v11, v11, v8, v5
	v_lshlrev_b64 v[10:11], 1, v[10:11]
	v_add_co_u32 v10, vcc_lo, s2, v10
	v_add_co_ci_u32_e64 v11, null, s3, v11, vcc_lo
	v_add_co_u32 v12, vcc_lo, v10, s6
	v_add_co_ci_u32_e64 v13, null, s7, v11, vcc_lo
	;; [unrolled: 2-line block ×4, first 2 shown]
	global_store_short v[10:11], v14, off
	global_store_short v[10:11], v15, off offset:32
	global_store_short v[12:13], v16, off
	global_store_short v[12:13], v17, off offset:32
	s_andn2_b32 vcc_lo, exec_lo, s5
	s_cbranch_vccnz .LBB11_7
.LBB11_6:
	v_mul_lo_u32 v11, v9, s14
	v_mul_lo_u32 v12, v4, s15
	v_mad_u64_u32 v[9:10], null, v4, s14, 0
	s_mul_i32 s5, s17, s8
	s_mul_hi_u32 s7, s16, s8
	s_mul_i32 s6, s16, s8
	s_add_i32 s7, s7, s5
	s_lshl_b64 s[6:7], s[6:7], 1
	v_add3_u32 v10, v10, v12, v11
	s_add_u32 s5, s12, s6
	s_addc_u32 s6, s13, s7
	v_mad_u64_u32 v[11:12], null, v4, s0, 0
	v_lshlrev_b64 v[9:10], 1, v[9:10]
	s_lshl_b64 s[0:1], s[0:1], 5
	v_add3_u32 v12, v12, v8, v5
	v_add_co_u32 v13, vcc_lo, s5, v9
	v_add_co_ci_u32_e64 v14, null, s6, v10, vcc_lo
	v_lshlrev_b64 v[4:5], 1, v[11:12]
	v_add_co_u32 v9, vcc_lo, v13, v0
	v_add_co_ci_u32_e64 v10, null, v14, v1, vcc_lo
	v_add_co_u32 v11, vcc_lo, s2, v4
	global_load_ushort v15, v[9:10], off
	v_add_co_ci_u32_e64 v12, null, s3, v5, vcc_lo
	v_add_co_u32 v4, vcc_lo, v11, v0
	s_lshl_b64 s[2:3], s[14:15], 5
	v_add_co_ci_u32_e64 v5, null, v12, v1, vcc_lo
	s_waitcnt vmcnt(0)
	v_mul_f16_e32 v8, s9, v15
	v_fmac_f16_e32 v8, s4, v3
	global_store_short v[4:5], v8, off
	global_load_ushort v3, v[9:10], off offset:32
	v_add_co_u32 v8, vcc_lo, v13, s2
	v_add_co_ci_u32_e64 v9, null, s3, v14, vcc_lo
	s_waitcnt vmcnt(0)
	v_mul_f16_e32 v3, s9, v3
	v_fmac_f16_e32 v3, s4, v7
	v_add_co_u32 v7, vcc_lo, v8, v0
	v_add_co_ci_u32_e64 v8, null, v9, v1, vcc_lo
	global_store_short v[4:5], v3, off offset:32
	v_add_co_u32 v4, vcc_lo, v11, s0
	global_load_ushort v3, v[7:8], off
	v_add_co_ci_u32_e64 v5, null, s1, v12, vcc_lo
	v_add_co_u32 v0, vcc_lo, v4, v0
	v_add_co_ci_u32_e64 v1, null, v5, v1, vcc_lo
	s_waitcnt vmcnt(0)
	v_mul_f16_e32 v3, s9, v3
	v_fmac_f16_e32 v3, s4, v2
	global_store_short v[0:1], v3, off
	global_load_ushort v2, v[7:8], off offset:32
	s_waitcnt vmcnt(0)
	v_mul_f16_e32 v2, s9, v2
	v_fmac_f16_e32 v2, s4, v6
	global_store_short v[0:1], v2, off offset:32
.LBB11_7:
	s_endpgm
.LBB11_8:
	s_branch .LBB11_6
	.section	.rodata,"a",@progbits
	.p2align	6, 0x0
	.amdhsa_kernel _ZN12_GLOBAL__N_127rocblas_gemm_batched_kernelIDF16_Li16ELi16ELi32ELi32ELi8ELi32ELi8ELi8ELi32ELc78ELc78EKDF16_S1_DF16_EEvlllT_PT11_llS4_llS2_PT12_llPT13_lli
		.amdhsa_group_segment_fixed_size 1024
		.amdhsa_private_segment_fixed_size 0
		.amdhsa_kernarg_size 140
		.amdhsa_user_sgpr_count 6
		.amdhsa_user_sgpr_private_segment_buffer 1
		.amdhsa_user_sgpr_dispatch_ptr 0
		.amdhsa_user_sgpr_queue_ptr 0
		.amdhsa_user_sgpr_kernarg_segment_ptr 1
		.amdhsa_user_sgpr_dispatch_id 0
		.amdhsa_user_sgpr_flat_scratch_init 0
		.amdhsa_user_sgpr_private_segment_size 0
		.amdhsa_wavefront_size32 1
		.amdhsa_uses_dynamic_stack 0
		.amdhsa_system_sgpr_private_segment_wavefront_offset 0
		.amdhsa_system_sgpr_workgroup_id_x 1
		.amdhsa_system_sgpr_workgroup_id_y 1
		.amdhsa_system_sgpr_workgroup_id_z 1
		.amdhsa_system_sgpr_workgroup_info 0
		.amdhsa_system_vgpr_workitem_id 1
		.amdhsa_next_free_vgpr 28
		.amdhsa_next_free_sgpr 22
		.amdhsa_reserve_vcc 1
		.amdhsa_reserve_flat_scratch 0
		.amdhsa_float_round_mode_32 0
		.amdhsa_float_round_mode_16_64 0
		.amdhsa_float_denorm_mode_32 3
		.amdhsa_float_denorm_mode_16_64 3
		.amdhsa_dx10_clamp 1
		.amdhsa_ieee_mode 1
		.amdhsa_fp16_overflow 0
		.amdhsa_workgroup_processor_mode 1
		.amdhsa_memory_ordered 1
		.amdhsa_forward_progress 1
		.amdhsa_shared_vgpr_count 0
		.amdhsa_exception_fp_ieee_invalid_op 0
		.amdhsa_exception_fp_denorm_src 0
		.amdhsa_exception_fp_ieee_div_zero 0
		.amdhsa_exception_fp_ieee_overflow 0
		.amdhsa_exception_fp_ieee_underflow 0
		.amdhsa_exception_fp_ieee_inexact 0
		.amdhsa_exception_int_div_zero 0
	.end_amdhsa_kernel
	.section	.text._ZN12_GLOBAL__N_127rocblas_gemm_batched_kernelIDF16_Li16ELi16ELi32ELi32ELi8ELi32ELi8ELi8ELi32ELc78ELc78EKDF16_S1_DF16_EEvlllT_PT11_llS4_llS2_PT12_llPT13_lli,"axG",@progbits,_ZN12_GLOBAL__N_127rocblas_gemm_batched_kernelIDF16_Li16ELi16ELi32ELi32ELi8ELi32ELi8ELi8ELi32ELc78ELc78EKDF16_S1_DF16_EEvlllT_PT11_llS4_llS2_PT12_llPT13_lli,comdat
.Lfunc_end11:
	.size	_ZN12_GLOBAL__N_127rocblas_gemm_batched_kernelIDF16_Li16ELi16ELi32ELi32ELi8ELi32ELi8ELi8ELi32ELc78ELc78EKDF16_S1_DF16_EEvlllT_PT11_llS4_llS2_PT12_llPT13_lli, .Lfunc_end11-_ZN12_GLOBAL__N_127rocblas_gemm_batched_kernelIDF16_Li16ELi16ELi32ELi32ELi8ELi32ELi8ELi8ELi32ELc78ELc78EKDF16_S1_DF16_EEvlllT_PT11_llS4_llS2_PT12_llPT13_lli
                                        ; -- End function
	.set _ZN12_GLOBAL__N_127rocblas_gemm_batched_kernelIDF16_Li16ELi16ELi32ELi32ELi8ELi32ELi8ELi8ELi32ELc78ELc78EKDF16_S1_DF16_EEvlllT_PT11_llS4_llS2_PT12_llPT13_lli.num_vgpr, 28
	.set _ZN12_GLOBAL__N_127rocblas_gemm_batched_kernelIDF16_Li16ELi16ELi32ELi32ELi8ELi32ELi8ELi8ELi32ELc78ELc78EKDF16_S1_DF16_EEvlllT_PT11_llS4_llS2_PT12_llPT13_lli.num_agpr, 0
	.set _ZN12_GLOBAL__N_127rocblas_gemm_batched_kernelIDF16_Li16ELi16ELi32ELi32ELi8ELi32ELi8ELi8ELi32ELc78ELc78EKDF16_S1_DF16_EEvlllT_PT11_llS4_llS2_PT12_llPT13_lli.numbered_sgpr, 22
	.set _ZN12_GLOBAL__N_127rocblas_gemm_batched_kernelIDF16_Li16ELi16ELi32ELi32ELi8ELi32ELi8ELi8ELi32ELc78ELc78EKDF16_S1_DF16_EEvlllT_PT11_llS4_llS2_PT12_llPT13_lli.num_named_barrier, 0
	.set _ZN12_GLOBAL__N_127rocblas_gemm_batched_kernelIDF16_Li16ELi16ELi32ELi32ELi8ELi32ELi8ELi8ELi32ELc78ELc78EKDF16_S1_DF16_EEvlllT_PT11_llS4_llS2_PT12_llPT13_lli.private_seg_size, 0
	.set _ZN12_GLOBAL__N_127rocblas_gemm_batched_kernelIDF16_Li16ELi16ELi32ELi32ELi8ELi32ELi8ELi8ELi32ELc78ELc78EKDF16_S1_DF16_EEvlllT_PT11_llS4_llS2_PT12_llPT13_lli.uses_vcc, 1
	.set _ZN12_GLOBAL__N_127rocblas_gemm_batched_kernelIDF16_Li16ELi16ELi32ELi32ELi8ELi32ELi8ELi8ELi32ELc78ELc78EKDF16_S1_DF16_EEvlllT_PT11_llS4_llS2_PT12_llPT13_lli.uses_flat_scratch, 0
	.set _ZN12_GLOBAL__N_127rocblas_gemm_batched_kernelIDF16_Li16ELi16ELi32ELi32ELi8ELi32ELi8ELi8ELi32ELc78ELc78EKDF16_S1_DF16_EEvlllT_PT11_llS4_llS2_PT12_llPT13_lli.has_dyn_sized_stack, 0
	.set _ZN12_GLOBAL__N_127rocblas_gemm_batched_kernelIDF16_Li16ELi16ELi32ELi32ELi8ELi32ELi8ELi8ELi32ELc78ELc78EKDF16_S1_DF16_EEvlllT_PT11_llS4_llS2_PT12_llPT13_lli.has_recursion, 0
	.set _ZN12_GLOBAL__N_127rocblas_gemm_batched_kernelIDF16_Li16ELi16ELi32ELi32ELi8ELi32ELi8ELi8ELi32ELc78ELc78EKDF16_S1_DF16_EEvlllT_PT11_llS4_llS2_PT12_llPT13_lli.has_indirect_call, 0
	.section	.AMDGPU.csdata,"",@progbits
; Kernel info:
; codeLenInByte = 1464
; TotalNumSgprs: 24
; NumVgprs: 28
; ScratchSize: 0
; MemoryBound: 0
; FloatMode: 240
; IeeeMode: 1
; LDSByteSize: 1024 bytes/workgroup (compile time only)
; SGPRBlocks: 0
; VGPRBlocks: 3
; NumSGPRsForWavesPerEU: 24
; NumVGPRsForWavesPerEU: 28
; Occupancy: 16
; WaveLimiterHint : 0
; COMPUTE_PGM_RSRC2:SCRATCH_EN: 0
; COMPUTE_PGM_RSRC2:USER_SGPR: 6
; COMPUTE_PGM_RSRC2:TRAP_HANDLER: 0
; COMPUTE_PGM_RSRC2:TGID_X_EN: 1
; COMPUTE_PGM_RSRC2:TGID_Y_EN: 1
; COMPUTE_PGM_RSRC2:TGID_Z_EN: 1
; COMPUTE_PGM_RSRC2:TIDIG_COMP_CNT: 1
	.section	.text._ZN12_GLOBAL__N_127rocblas_gemm_batched_kernelIDF16_Li16ELi16ELi32ELi32ELi8ELi32ELi8ELi8ELi32ELc84ELc78EKDF16_S1_DF16_EEvlllT_PT11_llS4_llS2_PT12_llPT13_lli,"axG",@progbits,_ZN12_GLOBAL__N_127rocblas_gemm_batched_kernelIDF16_Li16ELi16ELi32ELi32ELi8ELi32ELi8ELi8ELi32ELc84ELc78EKDF16_S1_DF16_EEvlllT_PT11_llS4_llS2_PT12_llPT13_lli,comdat
	.globl	_ZN12_GLOBAL__N_127rocblas_gemm_batched_kernelIDF16_Li16ELi16ELi32ELi32ELi8ELi32ELi8ELi8ELi32ELc84ELc78EKDF16_S1_DF16_EEvlllT_PT11_llS4_llS2_PT12_llPT13_lli ; -- Begin function _ZN12_GLOBAL__N_127rocblas_gemm_batched_kernelIDF16_Li16ELi16ELi32ELi32ELi8ELi32ELi8ELi8ELi32ELc84ELc78EKDF16_S1_DF16_EEvlllT_PT11_llS4_llS2_PT12_llPT13_lli
	.p2align	8
	.type	_ZN12_GLOBAL__N_127rocblas_gemm_batched_kernelIDF16_Li16ELi16ELi32ELi32ELi8ELi32ELi8ELi8ELi32ELc84ELc78EKDF16_S1_DF16_EEvlllT_PT11_llS4_llS2_PT12_llPT13_lli,@function
_ZN12_GLOBAL__N_127rocblas_gemm_batched_kernelIDF16_Li16ELi16ELi32ELi32ELi8ELi32ELi8ELi8ELi32ELc84ELc78EKDF16_S1_DF16_EEvlllT_PT11_llS4_llS2_PT12_llPT13_lli: ; @_ZN12_GLOBAL__N_127rocblas_gemm_batched_kernelIDF16_Li16ELi16ELi32ELi32ELi8ELi32ELi8ELi8ELi32ELc84ELc78EKDF16_S1_DF16_EEvlllT_PT11_llS4_llS2_PT12_llPT13_lli
; %bb.0:
	s_load_dwordx2 s[20:21], s[4:5], 0x10
	s_mov_b32 s0, s7
	s_ashr_i32 s7, s6, 31
	s_ashr_i32 s1, s0, 31
	s_lshl_b64 s[6:7], s[6:7], 5
	s_lshl_b64 s[10:11], s[0:1], 5
	s_waitcnt lgkmcnt(0)
	v_cmp_lt_i64_e64 s2, s[20:21], 1
	s_and_b32 vcc_lo, exec_lo, s2
	s_cbranch_vccnz .LBB12_3
; %bb.1:
	v_lshlrev_b32_e32 v6, 4, v1
	s_clause 0x1
	s_load_dwordx4 s[0:3], s[4:5], 0x40
	s_load_dwordx8 s[12:19], s[4:5], 0x20
	v_and_b32_e32 v3, 7, v0
	v_add_nc_u32_e32 v2, v6, v0
	v_lshlrev_b32_e32 v7, 1, v3
	v_lshrrev_b32_e32 v4, 3, v2
	v_and_b32_e32 v3, 31, v2
	v_lshrrev_b32_e32 v12, 5, v2
	v_add_co_u32 v2, s9, v4, s10
	v_add_co_ci_u32_e64 v5, null, 0, s11, s9
	v_add_co_u32 v10, s9, s6, v3
	v_lshl_or_b32 v4, v4, 4, v7
	v_add_co_ci_u32_e64 v11, null, s7, 0, s9
	v_lshlrev_b32_e32 v8, 1, v3
	s_waitcnt lgkmcnt(0)
	v_mul_lo_u32 v13, s1, v2
	v_mul_lo_u32 v14, s0, v5
	v_mad_u64_u32 v[2:3], null, s0, v2, 0
	v_add_nc_u32_e32 v9, 0x200, v4
	v_mul_lo_u32 v15, s15, v10
	v_mul_lo_u32 v16, s14, v11
	v_mad_u64_u32 v[4:5], null, s14, v10, 0
	s_mul_i32 s0, s3, s8
	v_add3_u32 v3, v3, v14, v13
	s_mul_hi_u32 s1, s2, s8
	s_mul_hi_u32 s3, s16, s8
	s_add_i32 s1, s1, s0
	s_mul_i32 s0, s2, s8
	v_add3_u32 v5, v5, v16, v15
	v_lshlrev_b64 v[2:3], 1, v[2:3]
	s_lshl_b64 s[0:1], s[0:1], 1
	s_mul_i32 s2, s17, s8
	v_add_nc_u32_e32 v11, 0x200, v6
	v_lshlrev_b64 v[4:5], 1, v[4:5]
	s_add_i32 s3, s3, s2
	s_mul_i32 s2, s16, s8
	v_add_co_u32 v2, vcc_lo, v2, s0
	v_add_co_ci_u32_e64 v3, null, s1, v3, vcc_lo
	s_lshl_b64 s[0:1], s[2:3], 1
	v_lshlrev_b32_e32 v6, 1, v12
	v_add_co_u32 v4, vcc_lo, v4, s0
	v_add_co_ci_u32_e64 v5, null, s1, v5, vcc_lo
	v_add_co_u32 v2, vcc_lo, v2, v7
	v_add_co_ci_u32_e64 v3, null, 0, v3, vcc_lo
	;; [unrolled: 2-line block ×4, first 2 shown]
	v_add_co_u32 v4, vcc_lo, s12, v4
	v_lshl_or_b32 v8, v12, 6, v8
	v_lshlrev_b32_e32 v10, 1, v0
	v_add_co_ci_u32_e64 v5, null, s13, v5, vcc_lo
	v_mov_b32_e32 v6, 0
	v_mov_b32_e32 v7, 0
	s_mov_b64 s[0:1], 0
.LBB12_2:                               ; =>This Inner Loop Header: Depth=1
	global_load_ushort v12, v[4:5], off
	global_load_ushort v13, v[2:3], off
	s_add_u32 s0, s0, 8
	s_addc_u32 s1, s1, 0
	v_add_co_u32 v2, vcc_lo, v2, 16
	v_cmp_lt_i64_e64 s2, s[0:1], s[20:21]
	v_add_co_ci_u32_e64 v3, null, 0, v3, vcc_lo
	v_add_co_u32 v4, vcc_lo, v4, 16
	v_add_co_ci_u32_e64 v5, null, 0, v5, vcc_lo
	s_and_b32 vcc_lo, exec_lo, s2
	s_waitcnt vmcnt(1)
	ds_write_b16 v8, v12
	s_waitcnt vmcnt(0)
	ds_write_b16 v9, v13
	s_waitcnt lgkmcnt(0)
	s_barrier
	buffer_gl0_inv
	ds_read_u16 v20, v10 offset:32
	ds_read_u16 v21, v10 offset:96
	;; [unrolled: 1-line block ×3, first 2 shown]
	ds_read_b128 v[12:15], v11
	ds_read_b128 v[16:19], v11 offset:256
	ds_read_u16 v23, v10 offset:224
	ds_read_u16 v24, v10 offset:288
	;; [unrolled: 1-line block ×5, first 2 shown]
	s_waitcnt lgkmcnt(9)
	ds_read_u16_d16_hi v20, v10
	s_waitcnt lgkmcnt(9)
	ds_read_u16_d16_hi v21, v10 offset:64
	s_waitcnt lgkmcnt(9)
	ds_read_u16_d16_hi v22, v10 offset:128
	;; [unrolled: 2-line block ×7, first 2 shown]
	s_waitcnt lgkmcnt(0)
	s_barrier
	buffer_gl0_inv
	v_pk_fma_f16 v7, v20, v12, v7 op_sel_hi:[1,0,1]
	v_pk_fma_f16 v6, v20, v16, v6 op_sel_hi:[1,0,1]
	v_pk_fma_f16 v7, v21, v12, v7 op_sel:[0,1,0]
	v_pk_fma_f16 v6, v21, v16, v6 op_sel:[0,1,0]
	v_pk_fma_f16 v7, v22, v13, v7 op_sel_hi:[1,0,1]
	v_pk_fma_f16 v6, v22, v17, v6 op_sel_hi:[1,0,1]
	v_pk_fma_f16 v7, v23, v13, v7 op_sel:[0,1,0]
	v_pk_fma_f16 v6, v23, v17, v6 op_sel:[0,1,0]
	;; [unrolled: 4-line block ×4, first 2 shown]
	s_cbranch_vccnz .LBB12_2
	s_branch .LBB12_4
.LBB12_3:
	v_mov_b32_e32 v7, 0
	v_mov_b32_e32 v6, 0
.LBB12_4:
	s_clause 0x3
	s_load_dwordx4 s[0:3], s[4:5], 0x78
	s_load_dword s9, s[4:5], 0x50
	s_load_dwordx8 s[12:19], s[4:5], 0x58
	s_load_dword s4, s[4:5], 0x18
	v_add_co_u32 v10, s5, s6, v0
	v_add_co_ci_u32_e64 v11, null, s7, 0, s5
	v_add_co_u32 v4, s5, s10, v1
	v_add_co_ci_u32_e64 v9, null, s11, 0, s5
	v_lshlrev_b64 v[0:1], 1, v[10:11]
	v_lshrrev_b32_e32 v3, 16, v7
	v_lshrrev_b32_e32 v2, 16, v6
	s_waitcnt lgkmcnt(0)
	s_mul_i32 s3, s3, s8
	s_mul_hi_u32 s5, s2, s8
	v_mul_lo_u32 v5, v9, s0
	v_mul_lo_u32 v8, v4, s1
	s_mul_i32 s2, s2, s8
	v_cmp_neq_f16_e64 s6, s9, 0
	s_add_i32 s3, s5, s3
	s_mov_b32 s5, 0
	s_lshl_b64 s[2:3], s[2:3], 1
	s_add_u32 s2, s18, s2
	s_addc_u32 s3, s19, s3
	s_and_b32 vcc_lo, exec_lo, s6
	s_cbranch_vccnz .LBB12_8
; %bb.5:
	v_mad_u64_u32 v[10:11], null, v4, s0, 0
	s_lshl_b64 s[6:7], s[0:1], 5
	v_mul_f16_sdwa v14, s4, v7 dst_sel:DWORD dst_unused:UNUSED_PAD src0_sel:DWORD src1_sel:WORD_1
	v_mul_f16_e32 v15, s4, v7
	v_mul_f16_sdwa v16, s4, v6 dst_sel:DWORD dst_unused:UNUSED_PAD src0_sel:DWORD src1_sel:WORD_1
	v_mul_f16_e32 v17, s4, v6
	v_add3_u32 v11, v11, v8, v5
	v_lshlrev_b64 v[10:11], 1, v[10:11]
	v_add_co_u32 v10, vcc_lo, s2, v10
	v_add_co_ci_u32_e64 v11, null, s3, v11, vcc_lo
	v_add_co_u32 v12, vcc_lo, v10, s6
	v_add_co_ci_u32_e64 v13, null, s7, v11, vcc_lo
	;; [unrolled: 2-line block ×4, first 2 shown]
	global_store_short v[10:11], v14, off
	global_store_short v[10:11], v15, off offset:32
	global_store_short v[12:13], v16, off
	global_store_short v[12:13], v17, off offset:32
	s_andn2_b32 vcc_lo, exec_lo, s5
	s_cbranch_vccnz .LBB12_7
.LBB12_6:
	v_mul_lo_u32 v11, v9, s14
	v_mul_lo_u32 v12, v4, s15
	v_mad_u64_u32 v[9:10], null, v4, s14, 0
	s_mul_i32 s5, s17, s8
	s_mul_hi_u32 s7, s16, s8
	s_mul_i32 s6, s16, s8
	s_add_i32 s7, s7, s5
	s_lshl_b64 s[6:7], s[6:7], 1
	v_add3_u32 v10, v10, v12, v11
	s_add_u32 s5, s12, s6
	s_addc_u32 s6, s13, s7
	v_mad_u64_u32 v[11:12], null, v4, s0, 0
	v_lshlrev_b64 v[9:10], 1, v[9:10]
	s_lshl_b64 s[0:1], s[0:1], 5
	v_add3_u32 v12, v12, v8, v5
	v_add_co_u32 v13, vcc_lo, s5, v9
	v_add_co_ci_u32_e64 v14, null, s6, v10, vcc_lo
	v_lshlrev_b64 v[4:5], 1, v[11:12]
	v_add_co_u32 v9, vcc_lo, v13, v0
	v_add_co_ci_u32_e64 v10, null, v14, v1, vcc_lo
	v_add_co_u32 v11, vcc_lo, s2, v4
	global_load_ushort v15, v[9:10], off
	v_add_co_ci_u32_e64 v12, null, s3, v5, vcc_lo
	v_add_co_u32 v4, vcc_lo, v11, v0
	s_lshl_b64 s[2:3], s[14:15], 5
	v_add_co_ci_u32_e64 v5, null, v12, v1, vcc_lo
	s_waitcnt vmcnt(0)
	v_mul_f16_e32 v8, s9, v15
	v_fmac_f16_e32 v8, s4, v3
	global_store_short v[4:5], v8, off
	global_load_ushort v3, v[9:10], off offset:32
	v_add_co_u32 v8, vcc_lo, v13, s2
	v_add_co_ci_u32_e64 v9, null, s3, v14, vcc_lo
	s_waitcnt vmcnt(0)
	v_mul_f16_e32 v3, s9, v3
	v_fmac_f16_e32 v3, s4, v7
	v_add_co_u32 v7, vcc_lo, v8, v0
	v_add_co_ci_u32_e64 v8, null, v9, v1, vcc_lo
	global_store_short v[4:5], v3, off offset:32
	v_add_co_u32 v4, vcc_lo, v11, s0
	global_load_ushort v3, v[7:8], off
	v_add_co_ci_u32_e64 v5, null, s1, v12, vcc_lo
	v_add_co_u32 v0, vcc_lo, v4, v0
	v_add_co_ci_u32_e64 v1, null, v5, v1, vcc_lo
	s_waitcnt vmcnt(0)
	v_mul_f16_e32 v3, s9, v3
	v_fmac_f16_e32 v3, s4, v2
	global_store_short v[0:1], v3, off
	global_load_ushort v2, v[7:8], off offset:32
	s_waitcnt vmcnt(0)
	v_mul_f16_e32 v2, s9, v2
	v_fmac_f16_e32 v2, s4, v6
	global_store_short v[0:1], v2, off offset:32
.LBB12_7:
	s_endpgm
.LBB12_8:
	s_branch .LBB12_6
	.section	.rodata,"a",@progbits
	.p2align	6, 0x0
	.amdhsa_kernel _ZN12_GLOBAL__N_127rocblas_gemm_batched_kernelIDF16_Li16ELi16ELi32ELi32ELi8ELi32ELi8ELi8ELi32ELc84ELc78EKDF16_S1_DF16_EEvlllT_PT11_llS4_llS2_PT12_llPT13_lli
		.amdhsa_group_segment_fixed_size 1024
		.amdhsa_private_segment_fixed_size 0
		.amdhsa_kernarg_size 140
		.amdhsa_user_sgpr_count 6
		.amdhsa_user_sgpr_private_segment_buffer 1
		.amdhsa_user_sgpr_dispatch_ptr 0
		.amdhsa_user_sgpr_queue_ptr 0
		.amdhsa_user_sgpr_kernarg_segment_ptr 1
		.amdhsa_user_sgpr_dispatch_id 0
		.amdhsa_user_sgpr_flat_scratch_init 0
		.amdhsa_user_sgpr_private_segment_size 0
		.amdhsa_wavefront_size32 1
		.amdhsa_uses_dynamic_stack 0
		.amdhsa_system_sgpr_private_segment_wavefront_offset 0
		.amdhsa_system_sgpr_workgroup_id_x 1
		.amdhsa_system_sgpr_workgroup_id_y 1
		.amdhsa_system_sgpr_workgroup_id_z 1
		.amdhsa_system_sgpr_workgroup_info 0
		.amdhsa_system_vgpr_workitem_id 1
		.amdhsa_next_free_vgpr 28
		.amdhsa_next_free_sgpr 22
		.amdhsa_reserve_vcc 1
		.amdhsa_reserve_flat_scratch 0
		.amdhsa_float_round_mode_32 0
		.amdhsa_float_round_mode_16_64 0
		.amdhsa_float_denorm_mode_32 3
		.amdhsa_float_denorm_mode_16_64 3
		.amdhsa_dx10_clamp 1
		.amdhsa_ieee_mode 1
		.amdhsa_fp16_overflow 0
		.amdhsa_workgroup_processor_mode 1
		.amdhsa_memory_ordered 1
		.amdhsa_forward_progress 1
		.amdhsa_shared_vgpr_count 0
		.amdhsa_exception_fp_ieee_invalid_op 0
		.amdhsa_exception_fp_denorm_src 0
		.amdhsa_exception_fp_ieee_div_zero 0
		.amdhsa_exception_fp_ieee_overflow 0
		.amdhsa_exception_fp_ieee_underflow 0
		.amdhsa_exception_fp_ieee_inexact 0
		.amdhsa_exception_int_div_zero 0
	.end_amdhsa_kernel
	.section	.text._ZN12_GLOBAL__N_127rocblas_gemm_batched_kernelIDF16_Li16ELi16ELi32ELi32ELi8ELi32ELi8ELi8ELi32ELc84ELc78EKDF16_S1_DF16_EEvlllT_PT11_llS4_llS2_PT12_llPT13_lli,"axG",@progbits,_ZN12_GLOBAL__N_127rocblas_gemm_batched_kernelIDF16_Li16ELi16ELi32ELi32ELi8ELi32ELi8ELi8ELi32ELc84ELc78EKDF16_S1_DF16_EEvlllT_PT11_llS4_llS2_PT12_llPT13_lli,comdat
.Lfunc_end12:
	.size	_ZN12_GLOBAL__N_127rocblas_gemm_batched_kernelIDF16_Li16ELi16ELi32ELi32ELi8ELi32ELi8ELi8ELi32ELc84ELc78EKDF16_S1_DF16_EEvlllT_PT11_llS4_llS2_PT12_llPT13_lli, .Lfunc_end12-_ZN12_GLOBAL__N_127rocblas_gemm_batched_kernelIDF16_Li16ELi16ELi32ELi32ELi8ELi32ELi8ELi8ELi32ELc84ELc78EKDF16_S1_DF16_EEvlllT_PT11_llS4_llS2_PT12_llPT13_lli
                                        ; -- End function
	.set _ZN12_GLOBAL__N_127rocblas_gemm_batched_kernelIDF16_Li16ELi16ELi32ELi32ELi8ELi32ELi8ELi8ELi32ELc84ELc78EKDF16_S1_DF16_EEvlllT_PT11_llS4_llS2_PT12_llPT13_lli.num_vgpr, 28
	.set _ZN12_GLOBAL__N_127rocblas_gemm_batched_kernelIDF16_Li16ELi16ELi32ELi32ELi8ELi32ELi8ELi8ELi32ELc84ELc78EKDF16_S1_DF16_EEvlllT_PT11_llS4_llS2_PT12_llPT13_lli.num_agpr, 0
	.set _ZN12_GLOBAL__N_127rocblas_gemm_batched_kernelIDF16_Li16ELi16ELi32ELi32ELi8ELi32ELi8ELi8ELi32ELc84ELc78EKDF16_S1_DF16_EEvlllT_PT11_llS4_llS2_PT12_llPT13_lli.numbered_sgpr, 22
	.set _ZN12_GLOBAL__N_127rocblas_gemm_batched_kernelIDF16_Li16ELi16ELi32ELi32ELi8ELi32ELi8ELi8ELi32ELc84ELc78EKDF16_S1_DF16_EEvlllT_PT11_llS4_llS2_PT12_llPT13_lli.num_named_barrier, 0
	.set _ZN12_GLOBAL__N_127rocblas_gemm_batched_kernelIDF16_Li16ELi16ELi32ELi32ELi8ELi32ELi8ELi8ELi32ELc84ELc78EKDF16_S1_DF16_EEvlllT_PT11_llS4_llS2_PT12_llPT13_lli.private_seg_size, 0
	.set _ZN12_GLOBAL__N_127rocblas_gemm_batched_kernelIDF16_Li16ELi16ELi32ELi32ELi8ELi32ELi8ELi8ELi32ELc84ELc78EKDF16_S1_DF16_EEvlllT_PT11_llS4_llS2_PT12_llPT13_lli.uses_vcc, 1
	.set _ZN12_GLOBAL__N_127rocblas_gemm_batched_kernelIDF16_Li16ELi16ELi32ELi32ELi8ELi32ELi8ELi8ELi32ELc84ELc78EKDF16_S1_DF16_EEvlllT_PT11_llS4_llS2_PT12_llPT13_lli.uses_flat_scratch, 0
	.set _ZN12_GLOBAL__N_127rocblas_gemm_batched_kernelIDF16_Li16ELi16ELi32ELi32ELi8ELi32ELi8ELi8ELi32ELc84ELc78EKDF16_S1_DF16_EEvlllT_PT11_llS4_llS2_PT12_llPT13_lli.has_dyn_sized_stack, 0
	.set _ZN12_GLOBAL__N_127rocblas_gemm_batched_kernelIDF16_Li16ELi16ELi32ELi32ELi8ELi32ELi8ELi8ELi32ELc84ELc78EKDF16_S1_DF16_EEvlllT_PT11_llS4_llS2_PT12_llPT13_lli.has_recursion, 0
	.set _ZN12_GLOBAL__N_127rocblas_gemm_batched_kernelIDF16_Li16ELi16ELi32ELi32ELi8ELi32ELi8ELi8ELi32ELc84ELc78EKDF16_S1_DF16_EEvlllT_PT11_llS4_llS2_PT12_llPT13_lli.has_indirect_call, 0
	.section	.AMDGPU.csdata,"",@progbits
; Kernel info:
; codeLenInByte = 1504
; TotalNumSgprs: 24
; NumVgprs: 28
; ScratchSize: 0
; MemoryBound: 0
; FloatMode: 240
; IeeeMode: 1
; LDSByteSize: 1024 bytes/workgroup (compile time only)
; SGPRBlocks: 0
; VGPRBlocks: 3
; NumSGPRsForWavesPerEU: 24
; NumVGPRsForWavesPerEU: 28
; Occupancy: 16
; WaveLimiterHint : 0
; COMPUTE_PGM_RSRC2:SCRATCH_EN: 0
; COMPUTE_PGM_RSRC2:USER_SGPR: 6
; COMPUTE_PGM_RSRC2:TRAP_HANDLER: 0
; COMPUTE_PGM_RSRC2:TGID_X_EN: 1
; COMPUTE_PGM_RSRC2:TGID_Y_EN: 1
; COMPUTE_PGM_RSRC2:TGID_Z_EN: 1
; COMPUTE_PGM_RSRC2:TIDIG_COMP_CNT: 1
	.section	.text._ZN12_GLOBAL__N_127rocblas_gemm_batched_kernelIDF16_Li16ELi16ELi32ELi32ELi8ELi32ELi8ELi8ELi32ELc78ELc84EKDF16_S1_DF16_EEvlllT_PT11_llS4_llS2_PT12_llPT13_lli,"axG",@progbits,_ZN12_GLOBAL__N_127rocblas_gemm_batched_kernelIDF16_Li16ELi16ELi32ELi32ELi8ELi32ELi8ELi8ELi32ELc78ELc84EKDF16_S1_DF16_EEvlllT_PT11_llS4_llS2_PT12_llPT13_lli,comdat
	.globl	_ZN12_GLOBAL__N_127rocblas_gemm_batched_kernelIDF16_Li16ELi16ELi32ELi32ELi8ELi32ELi8ELi8ELi32ELc78ELc84EKDF16_S1_DF16_EEvlllT_PT11_llS4_llS2_PT12_llPT13_lli ; -- Begin function _ZN12_GLOBAL__N_127rocblas_gemm_batched_kernelIDF16_Li16ELi16ELi32ELi32ELi8ELi32ELi8ELi8ELi32ELc78ELc84EKDF16_S1_DF16_EEvlllT_PT11_llS4_llS2_PT12_llPT13_lli
	.p2align	8
	.type	_ZN12_GLOBAL__N_127rocblas_gemm_batched_kernelIDF16_Li16ELi16ELi32ELi32ELi8ELi32ELi8ELi8ELi32ELc78ELc84EKDF16_S1_DF16_EEvlllT_PT11_llS4_llS2_PT12_llPT13_lli,@function
_ZN12_GLOBAL__N_127rocblas_gemm_batched_kernelIDF16_Li16ELi16ELi32ELi32ELi8ELi32ELi8ELi8ELi32ELc78ELc84EKDF16_S1_DF16_EEvlllT_PT11_llS4_llS2_PT12_llPT13_lli: ; @_ZN12_GLOBAL__N_127rocblas_gemm_batched_kernelIDF16_Li16ELi16ELi32ELi32ELi8ELi32ELi8ELi8ELi32ELc78ELc84EKDF16_S1_DF16_EEvlllT_PT11_llS4_llS2_PT12_llPT13_lli
; %bb.0:
	s_load_dwordx2 s[20:21], s[4:5], 0x10
	s_mov_b32 s0, s7
	v_mov_b32_e32 v3, 0
	s_ashr_i32 s7, s6, 31
	s_ashr_i32 s1, s0, 31
	s_lshl_b64 s[6:7], s[6:7], 5
	s_lshl_b64 s[10:11], s[0:1], 5
	s_waitcnt lgkmcnt(0)
	v_cmp_lt_i64_e64 s2, s[20:21], 1
	s_and_b32 vcc_lo, exec_lo, s2
	s_cbranch_vccnz .LBB13_3
; %bb.1:
	v_lshlrev_b32_e32 v4, 4, v1
	s_clause 0x1
	s_load_dwordx4 s[0:3], s[4:5], 0x40
	s_load_dwordx8 s[12:19], s[4:5], 0x20
	v_and_b32_e32 v12, 7, v0
	v_lshlrev_b32_e32 v8, 1, v0
	v_add_nc_u32_e32 v5, v4, v0
	v_add_nc_u32_e32 v9, 0x200, v4
	v_lshlrev_b32_e32 v6, 1, v12
	v_and_b32_e32 v15, 31, v5
	v_lshrrev_b32_e32 v2, 3, v5
	v_lshrrev_b32_e32 v14, 5, v5
	v_lshlrev_b32_e32 v5, 1, v15
	v_lshl_or_b32 v6, v2, 4, v6
	v_lshl_or_b32 v10, v14, 6, v5
	s_waitcnt lgkmcnt(0)
	v_mad_u64_u32 v[4:5], null, s0, v12, v[2:3]
	v_add_nc_u32_e32 v11, 0x200, v6
	v_mad_u64_u32 v[6:7], null, s14, v14, s[6:7]
	s_mul_i32 s3, s3, s8
	s_mul_hi_u32 s9, s2, s8
	s_mul_i32 s2, s2, s8
	v_mov_b32_e32 v2, v5
	v_add_co_u32 v4, vcc_lo, v4, s10
	v_mov_b32_e32 v5, v7
	s_add_i32 s3, s9, s3
	v_mad_u64_u32 v[12:13], null, s1, v12, v[2:3]
	s_lshl_b64 s[2:3], s[2:3], 1
	v_mad_u64_u32 v[13:14], null, s15, v14, v[5:6]
	s_mul_i32 s17, s17, s8
	s_mul_hi_u32 s9, s16, s8
	s_add_u32 s18, s18, s2
	v_add_co_ci_u32_e64 v5, null, s11, v12, vcc_lo
	v_add_co_u32 v6, vcc_lo, v6, v15
	v_add_co_ci_u32_e64 v7, null, 0, v13, vcc_lo
	v_lshlrev_b64 v[4:5], 1, v[4:5]
	s_mul_i32 s16, s16, s8
	s_addc_u32 s19, s19, s3
	s_add_i32 s17, s9, s17
	v_lshlrev_b64 v[6:7], 1, v[6:7]
	s_lshl_b64 s[2:3], s[16:17], 1
	s_lshl_b64 s[0:1], s[0:1], 4
	s_add_u32 s2, s12, s2
	v_add_co_u32 v4, vcc_lo, s18, v4
	v_add_co_ci_u32_e64 v5, null, s19, v5, vcc_lo
	s_addc_u32 s3, s13, s3
	v_add_co_u32 v6, vcc_lo, s2, v6
	v_add_co_ci_u32_e64 v7, null, s3, v7, vcc_lo
	v_mov_b32_e32 v2, 0
	s_lshl_b64 s[2:3], s[14:15], 4
	s_mov_b64 s[12:13], 0
.LBB13_2:                               ; =>This Inner Loop Header: Depth=1
	global_load_ushort v12, v[6:7], off
	global_load_ushort v13, v[4:5], off
	s_add_u32 s12, s12, 8
	s_addc_u32 s13, s13, 0
	v_add_co_u32 v4, vcc_lo, v4, s0
	v_cmp_lt_i64_e64 s9, s[12:13], s[20:21]
	v_add_co_ci_u32_e64 v5, null, s1, v5, vcc_lo
	v_add_co_u32 v6, vcc_lo, v6, s2
	v_add_co_ci_u32_e64 v7, null, s3, v7, vcc_lo
	s_and_b32 vcc_lo, exec_lo, s9
	s_waitcnt vmcnt(1)
	ds_write_b16 v10, v12
	s_waitcnt vmcnt(0)
	ds_write_b16 v11, v13
	s_waitcnt lgkmcnt(0)
	s_barrier
	buffer_gl0_inv
	ds_read_u16 v20, v8 offset:32
	ds_read_u16 v21, v8 offset:96
	;; [unrolled: 1-line block ×3, first 2 shown]
	ds_read_b128 v[12:15], v9
	ds_read_b128 v[16:19], v9 offset:256
	ds_read_u16 v23, v8 offset:224
	ds_read_u16 v24, v8 offset:288
	;; [unrolled: 1-line block ×5, first 2 shown]
	s_waitcnt lgkmcnt(9)
	ds_read_u16_d16_hi v20, v8
	s_waitcnt lgkmcnt(9)
	ds_read_u16_d16_hi v21, v8 offset:64
	s_waitcnt lgkmcnt(9)
	ds_read_u16_d16_hi v22, v8 offset:128
	;; [unrolled: 2-line block ×7, first 2 shown]
	s_waitcnt lgkmcnt(0)
	s_barrier
	buffer_gl0_inv
	v_pk_fma_f16 v3, v20, v12, v3 op_sel_hi:[1,0,1]
	v_pk_fma_f16 v2, v20, v16, v2 op_sel_hi:[1,0,1]
	v_pk_fma_f16 v3, v21, v12, v3 op_sel:[0,1,0]
	v_pk_fma_f16 v2, v21, v16, v2 op_sel:[0,1,0]
	v_pk_fma_f16 v3, v22, v13, v3 op_sel_hi:[1,0,1]
	v_pk_fma_f16 v2, v22, v17, v2 op_sel_hi:[1,0,1]
	v_pk_fma_f16 v3, v23, v13, v3 op_sel:[0,1,0]
	v_pk_fma_f16 v2, v23, v17, v2 op_sel:[0,1,0]
	;; [unrolled: 4-line block ×4, first 2 shown]
	s_cbranch_vccnz .LBB13_2
	s_branch .LBB13_4
.LBB13_3:
	v_mov_b32_e32 v2, 0
.LBB13_4:
	s_clause 0x3
	s_load_dwordx4 s[0:3], s[4:5], 0x78
	s_load_dword s9, s[4:5], 0x50
	s_load_dwordx8 s[12:19], s[4:5], 0x58
	s_load_dword s4, s[4:5], 0x18
	v_add_co_u32 v7, s5, s6, v0
	v_add_co_ci_u32_e64 v8, null, s7, 0, s5
	v_add_co_u32 v6, s5, s10, v1
	v_add_co_ci_u32_e64 v9, null, s11, 0, s5
	v_lshlrev_b64 v[0:1], 1, v[7:8]
	v_lshrrev_b32_e32 v5, 16, v3
	v_lshrrev_b32_e32 v4, 16, v2
	s_waitcnt lgkmcnt(0)
	s_mul_i32 s3, s3, s8
	s_mul_hi_u32 s5, s2, s8
	v_mul_lo_u32 v7, v9, s0
	v_mul_lo_u32 v8, v6, s1
	s_mul_i32 s2, s2, s8
	v_cmp_neq_f16_e64 s6, s9, 0
	s_add_i32 s3, s5, s3
	s_mov_b32 s5, 0
	s_lshl_b64 s[2:3], s[2:3], 1
	s_add_u32 s2, s18, s2
	s_addc_u32 s3, s19, s3
	s_and_b32 vcc_lo, exec_lo, s6
	s_cbranch_vccnz .LBB13_8
; %bb.5:
	v_mad_u64_u32 v[10:11], null, v6, s0, 0
	s_lshl_b64 s[6:7], s[0:1], 5
	v_mul_f16_sdwa v14, s4, v3 dst_sel:DWORD dst_unused:UNUSED_PAD src0_sel:DWORD src1_sel:WORD_1
	v_mul_f16_e32 v15, s4, v3
	v_mul_f16_sdwa v16, s4, v2 dst_sel:DWORD dst_unused:UNUSED_PAD src0_sel:DWORD src1_sel:WORD_1
	v_mul_f16_e32 v17, s4, v2
	v_add3_u32 v11, v11, v8, v7
	v_lshlrev_b64 v[10:11], 1, v[10:11]
	v_add_co_u32 v10, vcc_lo, s2, v10
	v_add_co_ci_u32_e64 v11, null, s3, v11, vcc_lo
	v_add_co_u32 v12, vcc_lo, v10, s6
	v_add_co_ci_u32_e64 v13, null, s7, v11, vcc_lo
	;; [unrolled: 2-line block ×4, first 2 shown]
	global_store_short v[10:11], v14, off
	global_store_short v[10:11], v15, off offset:32
	global_store_short v[12:13], v16, off
	global_store_short v[12:13], v17, off offset:32
	s_andn2_b32 vcc_lo, exec_lo, s5
	s_cbranch_vccnz .LBB13_7
.LBB13_6:
	v_mul_lo_u32 v11, v9, s14
	v_mul_lo_u32 v12, v6, s15
	v_mad_u64_u32 v[9:10], null, v6, s14, 0
	s_mul_i32 s5, s17, s8
	s_mul_hi_u32 s7, s16, s8
	s_mul_i32 s6, s16, s8
	s_add_i32 s7, s7, s5
	s_lshl_b64 s[6:7], s[6:7], 1
	v_add3_u32 v10, v10, v12, v11
	s_add_u32 s5, s12, s6
	s_addc_u32 s6, s13, s7
	v_mad_u64_u32 v[11:12], null, v6, s0, 0
	v_lshlrev_b64 v[9:10], 1, v[9:10]
	s_lshl_b64 s[0:1], s[0:1], 5
	v_add3_u32 v12, v12, v8, v7
	v_add_co_u32 v13, vcc_lo, s5, v9
	v_add_co_ci_u32_e64 v14, null, s6, v10, vcc_lo
	v_lshlrev_b64 v[6:7], 1, v[11:12]
	v_add_co_u32 v9, vcc_lo, v13, v0
	v_add_co_ci_u32_e64 v10, null, v14, v1, vcc_lo
	v_add_co_u32 v11, vcc_lo, s2, v6
	global_load_ushort v15, v[9:10], off
	v_add_co_ci_u32_e64 v12, null, s3, v7, vcc_lo
	v_add_co_u32 v6, vcc_lo, v11, v0
	s_lshl_b64 s[2:3], s[14:15], 5
	v_add_co_ci_u32_e64 v7, null, v12, v1, vcc_lo
	s_waitcnt vmcnt(0)
	v_mul_f16_e32 v8, s9, v15
	v_fmac_f16_e32 v8, s4, v5
	global_store_short v[6:7], v8, off
	global_load_ushort v5, v[9:10], off offset:32
	v_add_co_u32 v8, vcc_lo, v13, s2
	v_add_co_ci_u32_e64 v9, null, s3, v14, vcc_lo
	v_add_co_u32 v8, vcc_lo, v8, v0
	v_add_co_ci_u32_e64 v9, null, v9, v1, vcc_lo
	s_waitcnt vmcnt(0)
	v_mul_f16_e32 v5, s9, v5
	v_fmac_f16_e32 v5, s4, v3
	global_store_short v[6:7], v5, off offset:32
	global_load_ushort v3, v[8:9], off
	v_add_co_u32 v5, vcc_lo, v11, s0
	v_add_co_ci_u32_e64 v6, null, s1, v12, vcc_lo
	v_add_co_u32 v0, vcc_lo, v5, v0
	v_add_co_ci_u32_e64 v1, null, v6, v1, vcc_lo
	s_waitcnt vmcnt(0)
	v_mul_f16_e32 v3, s9, v3
	v_fmac_f16_e32 v3, s4, v4
	global_store_short v[0:1], v3, off
	global_load_ushort v3, v[8:9], off offset:32
	s_waitcnt vmcnt(0)
	v_mul_f16_e32 v3, s9, v3
	v_fmac_f16_e32 v3, s4, v2
	global_store_short v[0:1], v3, off offset:32
.LBB13_7:
	s_endpgm
.LBB13_8:
	s_branch .LBB13_6
	.section	.rodata,"a",@progbits
	.p2align	6, 0x0
	.amdhsa_kernel _ZN12_GLOBAL__N_127rocblas_gemm_batched_kernelIDF16_Li16ELi16ELi32ELi32ELi8ELi32ELi8ELi8ELi32ELc78ELc84EKDF16_S1_DF16_EEvlllT_PT11_llS4_llS2_PT12_llPT13_lli
		.amdhsa_group_segment_fixed_size 1024
		.amdhsa_private_segment_fixed_size 0
		.amdhsa_kernarg_size 140
		.amdhsa_user_sgpr_count 6
		.amdhsa_user_sgpr_private_segment_buffer 1
		.amdhsa_user_sgpr_dispatch_ptr 0
		.amdhsa_user_sgpr_queue_ptr 0
		.amdhsa_user_sgpr_kernarg_segment_ptr 1
		.amdhsa_user_sgpr_dispatch_id 0
		.amdhsa_user_sgpr_flat_scratch_init 0
		.amdhsa_user_sgpr_private_segment_size 0
		.amdhsa_wavefront_size32 1
		.amdhsa_uses_dynamic_stack 0
		.amdhsa_system_sgpr_private_segment_wavefront_offset 0
		.amdhsa_system_sgpr_workgroup_id_x 1
		.amdhsa_system_sgpr_workgroup_id_y 1
		.amdhsa_system_sgpr_workgroup_id_z 1
		.amdhsa_system_sgpr_workgroup_info 0
		.amdhsa_system_vgpr_workitem_id 1
		.amdhsa_next_free_vgpr 28
		.amdhsa_next_free_sgpr 22
		.amdhsa_reserve_vcc 1
		.amdhsa_reserve_flat_scratch 0
		.amdhsa_float_round_mode_32 0
		.amdhsa_float_round_mode_16_64 0
		.amdhsa_float_denorm_mode_32 3
		.amdhsa_float_denorm_mode_16_64 3
		.amdhsa_dx10_clamp 1
		.amdhsa_ieee_mode 1
		.amdhsa_fp16_overflow 0
		.amdhsa_workgroup_processor_mode 1
		.amdhsa_memory_ordered 1
		.amdhsa_forward_progress 1
		.amdhsa_shared_vgpr_count 0
		.amdhsa_exception_fp_ieee_invalid_op 0
		.amdhsa_exception_fp_denorm_src 0
		.amdhsa_exception_fp_ieee_div_zero 0
		.amdhsa_exception_fp_ieee_overflow 0
		.amdhsa_exception_fp_ieee_underflow 0
		.amdhsa_exception_fp_ieee_inexact 0
		.amdhsa_exception_int_div_zero 0
	.end_amdhsa_kernel
	.section	.text._ZN12_GLOBAL__N_127rocblas_gemm_batched_kernelIDF16_Li16ELi16ELi32ELi32ELi8ELi32ELi8ELi8ELi32ELc78ELc84EKDF16_S1_DF16_EEvlllT_PT11_llS4_llS2_PT12_llPT13_lli,"axG",@progbits,_ZN12_GLOBAL__N_127rocblas_gemm_batched_kernelIDF16_Li16ELi16ELi32ELi32ELi8ELi32ELi8ELi8ELi32ELc78ELc84EKDF16_S1_DF16_EEvlllT_PT11_llS4_llS2_PT12_llPT13_lli,comdat
.Lfunc_end13:
	.size	_ZN12_GLOBAL__N_127rocblas_gemm_batched_kernelIDF16_Li16ELi16ELi32ELi32ELi8ELi32ELi8ELi8ELi32ELc78ELc84EKDF16_S1_DF16_EEvlllT_PT11_llS4_llS2_PT12_llPT13_lli, .Lfunc_end13-_ZN12_GLOBAL__N_127rocblas_gemm_batched_kernelIDF16_Li16ELi16ELi32ELi32ELi8ELi32ELi8ELi8ELi32ELc78ELc84EKDF16_S1_DF16_EEvlllT_PT11_llS4_llS2_PT12_llPT13_lli
                                        ; -- End function
	.set _ZN12_GLOBAL__N_127rocblas_gemm_batched_kernelIDF16_Li16ELi16ELi32ELi32ELi8ELi32ELi8ELi8ELi32ELc78ELc84EKDF16_S1_DF16_EEvlllT_PT11_llS4_llS2_PT12_llPT13_lli.num_vgpr, 28
	.set _ZN12_GLOBAL__N_127rocblas_gemm_batched_kernelIDF16_Li16ELi16ELi32ELi32ELi8ELi32ELi8ELi8ELi32ELc78ELc84EKDF16_S1_DF16_EEvlllT_PT11_llS4_llS2_PT12_llPT13_lli.num_agpr, 0
	.set _ZN12_GLOBAL__N_127rocblas_gemm_batched_kernelIDF16_Li16ELi16ELi32ELi32ELi8ELi32ELi8ELi8ELi32ELc78ELc84EKDF16_S1_DF16_EEvlllT_PT11_llS4_llS2_PT12_llPT13_lli.numbered_sgpr, 22
	.set _ZN12_GLOBAL__N_127rocblas_gemm_batched_kernelIDF16_Li16ELi16ELi32ELi32ELi8ELi32ELi8ELi8ELi32ELc78ELc84EKDF16_S1_DF16_EEvlllT_PT11_llS4_llS2_PT12_llPT13_lli.num_named_barrier, 0
	.set _ZN12_GLOBAL__N_127rocblas_gemm_batched_kernelIDF16_Li16ELi16ELi32ELi32ELi8ELi32ELi8ELi8ELi32ELc78ELc84EKDF16_S1_DF16_EEvlllT_PT11_llS4_llS2_PT12_llPT13_lli.private_seg_size, 0
	.set _ZN12_GLOBAL__N_127rocblas_gemm_batched_kernelIDF16_Li16ELi16ELi32ELi32ELi8ELi32ELi8ELi8ELi32ELc78ELc84EKDF16_S1_DF16_EEvlllT_PT11_llS4_llS2_PT12_llPT13_lli.uses_vcc, 1
	.set _ZN12_GLOBAL__N_127rocblas_gemm_batched_kernelIDF16_Li16ELi16ELi32ELi32ELi8ELi32ELi8ELi8ELi32ELc78ELc84EKDF16_S1_DF16_EEvlllT_PT11_llS4_llS2_PT12_llPT13_lli.uses_flat_scratch, 0
	.set _ZN12_GLOBAL__N_127rocblas_gemm_batched_kernelIDF16_Li16ELi16ELi32ELi32ELi8ELi32ELi8ELi8ELi32ELc78ELc84EKDF16_S1_DF16_EEvlllT_PT11_llS4_llS2_PT12_llPT13_lli.has_dyn_sized_stack, 0
	.set _ZN12_GLOBAL__N_127rocblas_gemm_batched_kernelIDF16_Li16ELi16ELi32ELi32ELi8ELi32ELi8ELi8ELi32ELc78ELc84EKDF16_S1_DF16_EEvlllT_PT11_llS4_llS2_PT12_llPT13_lli.has_recursion, 0
	.set _ZN12_GLOBAL__N_127rocblas_gemm_batched_kernelIDF16_Li16ELi16ELi32ELi32ELi8ELi32ELi8ELi8ELi32ELc78ELc84EKDF16_S1_DF16_EEvlllT_PT11_llS4_llS2_PT12_llPT13_lli.has_indirect_call, 0
	.section	.AMDGPU.csdata,"",@progbits
; Kernel info:
; codeLenInByte = 1432
; TotalNumSgprs: 24
; NumVgprs: 28
; ScratchSize: 0
; MemoryBound: 0
; FloatMode: 240
; IeeeMode: 1
; LDSByteSize: 1024 bytes/workgroup (compile time only)
; SGPRBlocks: 0
; VGPRBlocks: 3
; NumSGPRsForWavesPerEU: 24
; NumVGPRsForWavesPerEU: 28
; Occupancy: 16
; WaveLimiterHint : 0
; COMPUTE_PGM_RSRC2:SCRATCH_EN: 0
; COMPUTE_PGM_RSRC2:USER_SGPR: 6
; COMPUTE_PGM_RSRC2:TRAP_HANDLER: 0
; COMPUTE_PGM_RSRC2:TGID_X_EN: 1
; COMPUTE_PGM_RSRC2:TGID_Y_EN: 1
; COMPUTE_PGM_RSRC2:TGID_Z_EN: 1
; COMPUTE_PGM_RSRC2:TIDIG_COMP_CNT: 1
	.section	.text._ZN12_GLOBAL__N_127rocblas_gemm_batched_kernelIDF16_Li16ELi16ELi32ELi32ELi8ELi32ELi8ELi8ELi32ELc84ELc84EKDF16_S1_DF16_EEvlllT_PT11_llS4_llS2_PT12_llPT13_lli,"axG",@progbits,_ZN12_GLOBAL__N_127rocblas_gemm_batched_kernelIDF16_Li16ELi16ELi32ELi32ELi8ELi32ELi8ELi8ELi32ELc84ELc84EKDF16_S1_DF16_EEvlllT_PT11_llS4_llS2_PT12_llPT13_lli,comdat
	.globl	_ZN12_GLOBAL__N_127rocblas_gemm_batched_kernelIDF16_Li16ELi16ELi32ELi32ELi8ELi32ELi8ELi8ELi32ELc84ELc84EKDF16_S1_DF16_EEvlllT_PT11_llS4_llS2_PT12_llPT13_lli ; -- Begin function _ZN12_GLOBAL__N_127rocblas_gemm_batched_kernelIDF16_Li16ELi16ELi32ELi32ELi8ELi32ELi8ELi8ELi32ELc84ELc84EKDF16_S1_DF16_EEvlllT_PT11_llS4_llS2_PT12_llPT13_lli
	.p2align	8
	.type	_ZN12_GLOBAL__N_127rocblas_gemm_batched_kernelIDF16_Li16ELi16ELi32ELi32ELi8ELi32ELi8ELi8ELi32ELc84ELc84EKDF16_S1_DF16_EEvlllT_PT11_llS4_llS2_PT12_llPT13_lli,@function
_ZN12_GLOBAL__N_127rocblas_gemm_batched_kernelIDF16_Li16ELi16ELi32ELi32ELi8ELi32ELi8ELi8ELi32ELc84ELc84EKDF16_S1_DF16_EEvlllT_PT11_llS4_llS2_PT12_llPT13_lli: ; @_ZN12_GLOBAL__N_127rocblas_gemm_batched_kernelIDF16_Li16ELi16ELi32ELi32ELi8ELi32ELi8ELi8ELi32ELc84ELc84EKDF16_S1_DF16_EEvlllT_PT11_llS4_llS2_PT12_llPT13_lli
; %bb.0:
	s_load_dwordx2 s[20:21], s[4:5], 0x10
	s_mov_b32 s0, s7
	v_mov_b32_e32 v3, 0
	s_ashr_i32 s7, s6, 31
	s_ashr_i32 s1, s0, 31
	s_lshl_b64 s[6:7], s[6:7], 5
	s_lshl_b64 s[10:11], s[0:1], 5
	s_waitcnt lgkmcnt(0)
	v_cmp_lt_i64_e64 s2, s[20:21], 1
	s_and_b32 vcc_lo, exec_lo, s2
	s_cbranch_vccnz .LBB14_3
; %bb.1:
	v_lshlrev_b32_e32 v4, 4, v1
	s_clause 0x1
	s_load_dwordx8 s[12:19], s[4:5], 0x20
	s_load_dwordx4 s[0:3], s[4:5], 0x40
	v_and_b32_e32 v12, 7, v0
	v_lshlrev_b32_e32 v8, 1, v0
	v_add_nc_u32_e32 v5, v4, v0
	v_add_nc_u32_e32 v9, 0x200, v4
	v_lshlrev_b32_e32 v6, 1, v12
	v_and_b32_e32 v7, 31, v5
	v_lshrrev_b32_e32 v2, 3, v5
	v_lshrrev_b32_e32 v15, 5, v5
	v_lshlrev_b32_e32 v4, 1, v7
	v_lshl_or_b32 v11, v2, 4, v6
	v_add_co_u32 v6, s9, s6, v7
	v_add_co_ci_u32_e64 v7, null, s7, 0, s9
	v_lshl_or_b32 v10, v15, 6, v4
	s_waitcnt lgkmcnt(0)
	v_mad_u64_u32 v[4:5], null, s0, v12, v[2:3]
	v_mul_lo_u32 v13, s15, v6
	v_mul_lo_u32 v14, s14, v7
	v_mad_u64_u32 v[6:7], null, s14, v6, 0
	s_mul_i32 s3, s3, s8
	s_mul_hi_u32 s9, s2, s8
	v_mov_b32_e32 v2, v5
	s_mul_i32 s2, s2, s8
	s_add_i32 s3, s9, s3
	v_add_nc_u32_e32 v11, 0x200, v11
	v_add3_u32 v7, v7, v14, v13
	v_mad_u64_u32 v[12:13], null, s1, v12, v[2:3]
	s_lshl_b64 s[2:3], s[2:3], 1
	v_add_co_u32 v13, vcc_lo, v4, s10
	s_add_u32 s9, s18, s2
	s_addc_u32 s14, s19, s3
	s_mul_i32 s2, s17, s8
	s_mul_hi_u32 s3, s16, s8
	v_lshlrev_b64 v[5:6], 1, v[6:7]
	s_add_i32 s3, s3, s2
	s_mul_i32 s2, s16, s8
	v_add_co_ci_u32_e64 v14, null, s11, v12, vcc_lo
	s_lshl_b64 s[2:3], s[2:3], 1
	v_lshlrev_b32_e32 v2, 1, v15
	v_add_co_u32 v7, vcc_lo, v5, s2
	v_add_co_ci_u32_e64 v6, null, s3, v6, vcc_lo
	v_lshlrev_b64 v[4:5], 1, v[13:14]
	v_add_co_u32 v2, vcc_lo, v7, v2
	v_add_co_ci_u32_e64 v7, null, 0, v6, vcc_lo
	s_lshl_b64 s[0:1], s[0:1], 4
	v_add_co_u32 v4, vcc_lo, s9, v4
	v_add_co_ci_u32_e64 v5, null, s14, v5, vcc_lo
	v_add_co_u32 v6, vcc_lo, s12, v2
	v_add_co_ci_u32_e64 v7, null, s13, v7, vcc_lo
	v_mov_b32_e32 v2, 0
	s_mov_b64 s[2:3], 0
.LBB14_2:                               ; =>This Inner Loop Header: Depth=1
	global_load_ushort v12, v[6:7], off
	global_load_ushort v13, v[4:5], off
	s_add_u32 s2, s2, 8
	s_addc_u32 s3, s3, 0
	v_add_co_u32 v4, vcc_lo, v4, s0
	v_cmp_lt_i64_e64 s9, s[2:3], s[20:21]
	v_add_co_ci_u32_e64 v5, null, s1, v5, vcc_lo
	v_add_co_u32 v6, vcc_lo, v6, 16
	v_add_co_ci_u32_e64 v7, null, 0, v7, vcc_lo
	s_and_b32 vcc_lo, exec_lo, s9
	s_waitcnt vmcnt(1)
	ds_write_b16 v10, v12
	s_waitcnt vmcnt(0)
	ds_write_b16 v11, v13
	s_waitcnt lgkmcnt(0)
	s_barrier
	buffer_gl0_inv
	ds_read_u16 v20, v8 offset:32
	ds_read_u16 v21, v8 offset:96
	;; [unrolled: 1-line block ×3, first 2 shown]
	ds_read_b128 v[12:15], v9
	ds_read_b128 v[16:19], v9 offset:256
	ds_read_u16 v23, v8 offset:224
	ds_read_u16 v24, v8 offset:288
	;; [unrolled: 1-line block ×5, first 2 shown]
	s_waitcnt lgkmcnt(9)
	ds_read_u16_d16_hi v20, v8
	s_waitcnt lgkmcnt(9)
	ds_read_u16_d16_hi v21, v8 offset:64
	s_waitcnt lgkmcnt(9)
	ds_read_u16_d16_hi v22, v8 offset:128
	;; [unrolled: 2-line block ×7, first 2 shown]
	s_waitcnt lgkmcnt(0)
	s_barrier
	buffer_gl0_inv
	v_pk_fma_f16 v3, v20, v12, v3 op_sel_hi:[1,0,1]
	v_pk_fma_f16 v2, v20, v16, v2 op_sel_hi:[1,0,1]
	v_pk_fma_f16 v3, v21, v12, v3 op_sel:[0,1,0]
	v_pk_fma_f16 v2, v21, v16, v2 op_sel:[0,1,0]
	v_pk_fma_f16 v3, v22, v13, v3 op_sel_hi:[1,0,1]
	v_pk_fma_f16 v2, v22, v17, v2 op_sel_hi:[1,0,1]
	v_pk_fma_f16 v3, v23, v13, v3 op_sel:[0,1,0]
	v_pk_fma_f16 v2, v23, v17, v2 op_sel:[0,1,0]
	;; [unrolled: 4-line block ×4, first 2 shown]
	s_cbranch_vccnz .LBB14_2
	s_branch .LBB14_4
.LBB14_3:
	v_mov_b32_e32 v2, 0
.LBB14_4:
	s_clause 0x3
	s_load_dwordx4 s[0:3], s[4:5], 0x78
	s_load_dword s9, s[4:5], 0x50
	s_load_dwordx8 s[12:19], s[4:5], 0x58
	s_load_dword s4, s[4:5], 0x18
	v_add_co_u32 v7, s5, s6, v0
	v_add_co_ci_u32_e64 v8, null, s7, 0, s5
	v_add_co_u32 v6, s5, s10, v1
	v_add_co_ci_u32_e64 v9, null, s11, 0, s5
	v_lshlrev_b64 v[0:1], 1, v[7:8]
	v_lshrrev_b32_e32 v5, 16, v3
	v_lshrrev_b32_e32 v4, 16, v2
	s_waitcnt lgkmcnt(0)
	s_mul_i32 s3, s3, s8
	s_mul_hi_u32 s5, s2, s8
	v_mul_lo_u32 v7, v9, s0
	v_mul_lo_u32 v8, v6, s1
	s_mul_i32 s2, s2, s8
	v_cmp_neq_f16_e64 s6, s9, 0
	s_add_i32 s3, s5, s3
	s_mov_b32 s5, 0
	s_lshl_b64 s[2:3], s[2:3], 1
	s_add_u32 s2, s18, s2
	s_addc_u32 s3, s19, s3
	s_and_b32 vcc_lo, exec_lo, s6
	s_cbranch_vccnz .LBB14_8
; %bb.5:
	v_mad_u64_u32 v[10:11], null, v6, s0, 0
	s_lshl_b64 s[6:7], s[0:1], 5
	v_mul_f16_sdwa v14, s4, v3 dst_sel:DWORD dst_unused:UNUSED_PAD src0_sel:DWORD src1_sel:WORD_1
	v_mul_f16_e32 v15, s4, v3
	v_mul_f16_sdwa v16, s4, v2 dst_sel:DWORD dst_unused:UNUSED_PAD src0_sel:DWORD src1_sel:WORD_1
	v_mul_f16_e32 v17, s4, v2
	v_add3_u32 v11, v11, v8, v7
	v_lshlrev_b64 v[10:11], 1, v[10:11]
	v_add_co_u32 v10, vcc_lo, s2, v10
	v_add_co_ci_u32_e64 v11, null, s3, v11, vcc_lo
	v_add_co_u32 v12, vcc_lo, v10, s6
	v_add_co_ci_u32_e64 v13, null, s7, v11, vcc_lo
	;; [unrolled: 2-line block ×4, first 2 shown]
	global_store_short v[10:11], v14, off
	global_store_short v[10:11], v15, off offset:32
	global_store_short v[12:13], v16, off
	global_store_short v[12:13], v17, off offset:32
	s_andn2_b32 vcc_lo, exec_lo, s5
	s_cbranch_vccnz .LBB14_7
.LBB14_6:
	v_mul_lo_u32 v11, v9, s14
	v_mul_lo_u32 v12, v6, s15
	v_mad_u64_u32 v[9:10], null, v6, s14, 0
	s_mul_i32 s5, s17, s8
	s_mul_hi_u32 s7, s16, s8
	s_mul_i32 s6, s16, s8
	s_add_i32 s7, s7, s5
	s_lshl_b64 s[6:7], s[6:7], 1
	v_add3_u32 v10, v10, v12, v11
	s_add_u32 s5, s12, s6
	s_addc_u32 s6, s13, s7
	v_mad_u64_u32 v[11:12], null, v6, s0, 0
	v_lshlrev_b64 v[9:10], 1, v[9:10]
	s_lshl_b64 s[0:1], s[0:1], 5
	v_add3_u32 v12, v12, v8, v7
	v_add_co_u32 v13, vcc_lo, s5, v9
	v_add_co_ci_u32_e64 v14, null, s6, v10, vcc_lo
	v_lshlrev_b64 v[6:7], 1, v[11:12]
	v_add_co_u32 v9, vcc_lo, v13, v0
	v_add_co_ci_u32_e64 v10, null, v14, v1, vcc_lo
	v_add_co_u32 v11, vcc_lo, s2, v6
	global_load_ushort v15, v[9:10], off
	v_add_co_ci_u32_e64 v12, null, s3, v7, vcc_lo
	v_add_co_u32 v6, vcc_lo, v11, v0
	s_lshl_b64 s[2:3], s[14:15], 5
	v_add_co_ci_u32_e64 v7, null, v12, v1, vcc_lo
	s_waitcnt vmcnt(0)
	v_mul_f16_e32 v8, s9, v15
	v_fmac_f16_e32 v8, s4, v5
	global_store_short v[6:7], v8, off
	global_load_ushort v5, v[9:10], off offset:32
	v_add_co_u32 v8, vcc_lo, v13, s2
	v_add_co_ci_u32_e64 v9, null, s3, v14, vcc_lo
	v_add_co_u32 v8, vcc_lo, v8, v0
	v_add_co_ci_u32_e64 v9, null, v9, v1, vcc_lo
	s_waitcnt vmcnt(0)
	v_mul_f16_e32 v5, s9, v5
	v_fmac_f16_e32 v5, s4, v3
	global_store_short v[6:7], v5, off offset:32
	global_load_ushort v3, v[8:9], off
	v_add_co_u32 v5, vcc_lo, v11, s0
	v_add_co_ci_u32_e64 v6, null, s1, v12, vcc_lo
	v_add_co_u32 v0, vcc_lo, v5, v0
	v_add_co_ci_u32_e64 v1, null, v6, v1, vcc_lo
	s_waitcnt vmcnt(0)
	v_mul_f16_e32 v3, s9, v3
	v_fmac_f16_e32 v3, s4, v4
	global_store_short v[0:1], v3, off
	global_load_ushort v3, v[8:9], off offset:32
	s_waitcnt vmcnt(0)
	v_mul_f16_e32 v3, s9, v3
	v_fmac_f16_e32 v3, s4, v2
	global_store_short v[0:1], v3, off offset:32
.LBB14_7:
	s_endpgm
.LBB14_8:
	s_branch .LBB14_6
	.section	.rodata,"a",@progbits
	.p2align	6, 0x0
	.amdhsa_kernel _ZN12_GLOBAL__N_127rocblas_gemm_batched_kernelIDF16_Li16ELi16ELi32ELi32ELi8ELi32ELi8ELi8ELi32ELc84ELc84EKDF16_S1_DF16_EEvlllT_PT11_llS4_llS2_PT12_llPT13_lli
		.amdhsa_group_segment_fixed_size 1024
		.amdhsa_private_segment_fixed_size 0
		.amdhsa_kernarg_size 140
		.amdhsa_user_sgpr_count 6
		.amdhsa_user_sgpr_private_segment_buffer 1
		.amdhsa_user_sgpr_dispatch_ptr 0
		.amdhsa_user_sgpr_queue_ptr 0
		.amdhsa_user_sgpr_kernarg_segment_ptr 1
		.amdhsa_user_sgpr_dispatch_id 0
		.amdhsa_user_sgpr_flat_scratch_init 0
		.amdhsa_user_sgpr_private_segment_size 0
		.amdhsa_wavefront_size32 1
		.amdhsa_uses_dynamic_stack 0
		.amdhsa_system_sgpr_private_segment_wavefront_offset 0
		.amdhsa_system_sgpr_workgroup_id_x 1
		.amdhsa_system_sgpr_workgroup_id_y 1
		.amdhsa_system_sgpr_workgroup_id_z 1
		.amdhsa_system_sgpr_workgroup_info 0
		.amdhsa_system_vgpr_workitem_id 1
		.amdhsa_next_free_vgpr 28
		.amdhsa_next_free_sgpr 22
		.amdhsa_reserve_vcc 1
		.amdhsa_reserve_flat_scratch 0
		.amdhsa_float_round_mode_32 0
		.amdhsa_float_round_mode_16_64 0
		.amdhsa_float_denorm_mode_32 3
		.amdhsa_float_denorm_mode_16_64 3
		.amdhsa_dx10_clamp 1
		.amdhsa_ieee_mode 1
		.amdhsa_fp16_overflow 0
		.amdhsa_workgroup_processor_mode 1
		.amdhsa_memory_ordered 1
		.amdhsa_forward_progress 1
		.amdhsa_shared_vgpr_count 0
		.amdhsa_exception_fp_ieee_invalid_op 0
		.amdhsa_exception_fp_denorm_src 0
		.amdhsa_exception_fp_ieee_div_zero 0
		.amdhsa_exception_fp_ieee_overflow 0
		.amdhsa_exception_fp_ieee_underflow 0
		.amdhsa_exception_fp_ieee_inexact 0
		.amdhsa_exception_int_div_zero 0
	.end_amdhsa_kernel
	.section	.text._ZN12_GLOBAL__N_127rocblas_gemm_batched_kernelIDF16_Li16ELi16ELi32ELi32ELi8ELi32ELi8ELi8ELi32ELc84ELc84EKDF16_S1_DF16_EEvlllT_PT11_llS4_llS2_PT12_llPT13_lli,"axG",@progbits,_ZN12_GLOBAL__N_127rocblas_gemm_batched_kernelIDF16_Li16ELi16ELi32ELi32ELi8ELi32ELi8ELi8ELi32ELc84ELc84EKDF16_S1_DF16_EEvlllT_PT11_llS4_llS2_PT12_llPT13_lli,comdat
.Lfunc_end14:
	.size	_ZN12_GLOBAL__N_127rocblas_gemm_batched_kernelIDF16_Li16ELi16ELi32ELi32ELi8ELi32ELi8ELi8ELi32ELc84ELc84EKDF16_S1_DF16_EEvlllT_PT11_llS4_llS2_PT12_llPT13_lli, .Lfunc_end14-_ZN12_GLOBAL__N_127rocblas_gemm_batched_kernelIDF16_Li16ELi16ELi32ELi32ELi8ELi32ELi8ELi8ELi32ELc84ELc84EKDF16_S1_DF16_EEvlllT_PT11_llS4_llS2_PT12_llPT13_lli
                                        ; -- End function
	.set _ZN12_GLOBAL__N_127rocblas_gemm_batched_kernelIDF16_Li16ELi16ELi32ELi32ELi8ELi32ELi8ELi8ELi32ELc84ELc84EKDF16_S1_DF16_EEvlllT_PT11_llS4_llS2_PT12_llPT13_lli.num_vgpr, 28
	.set _ZN12_GLOBAL__N_127rocblas_gemm_batched_kernelIDF16_Li16ELi16ELi32ELi32ELi8ELi32ELi8ELi8ELi32ELc84ELc84EKDF16_S1_DF16_EEvlllT_PT11_llS4_llS2_PT12_llPT13_lli.num_agpr, 0
	.set _ZN12_GLOBAL__N_127rocblas_gemm_batched_kernelIDF16_Li16ELi16ELi32ELi32ELi8ELi32ELi8ELi8ELi32ELc84ELc84EKDF16_S1_DF16_EEvlllT_PT11_llS4_llS2_PT12_llPT13_lli.numbered_sgpr, 22
	.set _ZN12_GLOBAL__N_127rocblas_gemm_batched_kernelIDF16_Li16ELi16ELi32ELi32ELi8ELi32ELi8ELi8ELi32ELc84ELc84EKDF16_S1_DF16_EEvlllT_PT11_llS4_llS2_PT12_llPT13_lli.num_named_barrier, 0
	.set _ZN12_GLOBAL__N_127rocblas_gemm_batched_kernelIDF16_Li16ELi16ELi32ELi32ELi8ELi32ELi8ELi8ELi32ELc84ELc84EKDF16_S1_DF16_EEvlllT_PT11_llS4_llS2_PT12_llPT13_lli.private_seg_size, 0
	.set _ZN12_GLOBAL__N_127rocblas_gemm_batched_kernelIDF16_Li16ELi16ELi32ELi32ELi8ELi32ELi8ELi8ELi32ELc84ELc84EKDF16_S1_DF16_EEvlllT_PT11_llS4_llS2_PT12_llPT13_lli.uses_vcc, 1
	.set _ZN12_GLOBAL__N_127rocblas_gemm_batched_kernelIDF16_Li16ELi16ELi32ELi32ELi8ELi32ELi8ELi8ELi32ELc84ELc84EKDF16_S1_DF16_EEvlllT_PT11_llS4_llS2_PT12_llPT13_lli.uses_flat_scratch, 0
	.set _ZN12_GLOBAL__N_127rocblas_gemm_batched_kernelIDF16_Li16ELi16ELi32ELi32ELi8ELi32ELi8ELi8ELi32ELc84ELc84EKDF16_S1_DF16_EEvlllT_PT11_llS4_llS2_PT12_llPT13_lli.has_dyn_sized_stack, 0
	.set _ZN12_GLOBAL__N_127rocblas_gemm_batched_kernelIDF16_Li16ELi16ELi32ELi32ELi8ELi32ELi8ELi8ELi32ELc84ELc84EKDF16_S1_DF16_EEvlllT_PT11_llS4_llS2_PT12_llPT13_lli.has_recursion, 0
	.set _ZN12_GLOBAL__N_127rocblas_gemm_batched_kernelIDF16_Li16ELi16ELi32ELi32ELi8ELi32ELi8ELi8ELi32ELc84ELc84EKDF16_S1_DF16_EEvlllT_PT11_llS4_llS2_PT12_llPT13_lli.has_indirect_call, 0
	.section	.AMDGPU.csdata,"",@progbits
; Kernel info:
; codeLenInByte = 1468
; TotalNumSgprs: 24
; NumVgprs: 28
; ScratchSize: 0
; MemoryBound: 0
; FloatMode: 240
; IeeeMode: 1
; LDSByteSize: 1024 bytes/workgroup (compile time only)
; SGPRBlocks: 0
; VGPRBlocks: 3
; NumSGPRsForWavesPerEU: 24
; NumVGPRsForWavesPerEU: 28
; Occupancy: 16
; WaveLimiterHint : 0
; COMPUTE_PGM_RSRC2:SCRATCH_EN: 0
; COMPUTE_PGM_RSRC2:USER_SGPR: 6
; COMPUTE_PGM_RSRC2:TRAP_HANDLER: 0
; COMPUTE_PGM_RSRC2:TGID_X_EN: 1
; COMPUTE_PGM_RSRC2:TGID_Y_EN: 1
; COMPUTE_PGM_RSRC2:TGID_Z_EN: 1
; COMPUTE_PGM_RSRC2:TIDIG_COMP_CNT: 1
	.section	.text._ZN12_GLOBAL__N_127rocblas_gemm_batched_kernelIDF16_Li16ELi16ELi32ELi32ELi8ELi32ELi8ELi8ELi32ELc67ELc67EKDF16_S1_DF16_EEvlllT_PT11_llS4_llS2_PT12_llPT13_lli,"axG",@progbits,_ZN12_GLOBAL__N_127rocblas_gemm_batched_kernelIDF16_Li16ELi16ELi32ELi32ELi8ELi32ELi8ELi8ELi32ELc67ELc67EKDF16_S1_DF16_EEvlllT_PT11_llS4_llS2_PT12_llPT13_lli,comdat
	.globl	_ZN12_GLOBAL__N_127rocblas_gemm_batched_kernelIDF16_Li16ELi16ELi32ELi32ELi8ELi32ELi8ELi8ELi32ELc67ELc67EKDF16_S1_DF16_EEvlllT_PT11_llS4_llS2_PT12_llPT13_lli ; -- Begin function _ZN12_GLOBAL__N_127rocblas_gemm_batched_kernelIDF16_Li16ELi16ELi32ELi32ELi8ELi32ELi8ELi8ELi32ELc67ELc67EKDF16_S1_DF16_EEvlllT_PT11_llS4_llS2_PT12_llPT13_lli
	.p2align	8
	.type	_ZN12_GLOBAL__N_127rocblas_gemm_batched_kernelIDF16_Li16ELi16ELi32ELi32ELi8ELi32ELi8ELi8ELi32ELc67ELc67EKDF16_S1_DF16_EEvlllT_PT11_llS4_llS2_PT12_llPT13_lli,@function
_ZN12_GLOBAL__N_127rocblas_gemm_batched_kernelIDF16_Li16ELi16ELi32ELi32ELi8ELi32ELi8ELi8ELi32ELc67ELc67EKDF16_S1_DF16_EEvlllT_PT11_llS4_llS2_PT12_llPT13_lli: ; @_ZN12_GLOBAL__N_127rocblas_gemm_batched_kernelIDF16_Li16ELi16ELi32ELi32ELi8ELi32ELi8ELi8ELi32ELc67ELc67EKDF16_S1_DF16_EEvlllT_PT11_llS4_llS2_PT12_llPT13_lli
; %bb.0:
	s_load_dwordx2 s[20:21], s[4:5], 0x10
	s_mov_b32 s0, s7
	v_mov_b32_e32 v3, 0
	s_ashr_i32 s7, s6, 31
	s_ashr_i32 s1, s0, 31
	s_lshl_b64 s[6:7], s[6:7], 5
	s_lshl_b64 s[10:11], s[0:1], 5
	s_waitcnt lgkmcnt(0)
	v_cmp_lt_i64_e64 s2, s[20:21], 1
	s_and_b32 vcc_lo, exec_lo, s2
	s_cbranch_vccnz .LBB15_3
; %bb.1:
	v_lshlrev_b32_e32 v4, 4, v1
	s_clause 0x1
	s_load_dwordx8 s[12:19], s[4:5], 0x20
	s_load_dwordx4 s[0:3], s[4:5], 0x40
	v_and_b32_e32 v12, 7, v0
	v_lshlrev_b32_e32 v8, 1, v0
	v_add_nc_u32_e32 v5, v4, v0
	v_add_nc_u32_e32 v9, 0x200, v4
	v_lshlrev_b32_e32 v6, 1, v12
	v_and_b32_e32 v7, 31, v5
	v_lshrrev_b32_e32 v2, 3, v5
	v_lshrrev_b32_e32 v15, 5, v5
	v_lshlrev_b32_e32 v4, 1, v7
	v_lshl_or_b32 v11, v2, 4, v6
	v_add_co_u32 v6, s9, s6, v7
	v_add_co_ci_u32_e64 v7, null, s7, 0, s9
	v_lshl_or_b32 v10, v15, 6, v4
	s_waitcnt lgkmcnt(0)
	v_mad_u64_u32 v[4:5], null, s0, v12, v[2:3]
	v_mul_lo_u32 v13, s15, v6
	v_mul_lo_u32 v14, s14, v7
	v_mad_u64_u32 v[6:7], null, s14, v6, 0
	s_mul_i32 s3, s3, s8
	s_mul_hi_u32 s9, s2, s8
	v_mov_b32_e32 v2, v5
	s_mul_i32 s2, s2, s8
	s_add_i32 s3, s9, s3
	v_add_nc_u32_e32 v11, 0x200, v11
	v_add3_u32 v7, v7, v14, v13
	v_mad_u64_u32 v[12:13], null, s1, v12, v[2:3]
	s_lshl_b64 s[2:3], s[2:3], 1
	v_add_co_u32 v13, vcc_lo, v4, s10
	s_add_u32 s9, s18, s2
	s_addc_u32 s14, s19, s3
	s_mul_i32 s2, s17, s8
	s_mul_hi_u32 s3, s16, s8
	v_lshlrev_b64 v[5:6], 1, v[6:7]
	s_add_i32 s3, s3, s2
	s_mul_i32 s2, s16, s8
	v_add_co_ci_u32_e64 v14, null, s11, v12, vcc_lo
	s_lshl_b64 s[2:3], s[2:3], 1
	v_lshlrev_b32_e32 v2, 1, v15
	v_add_co_u32 v7, vcc_lo, v5, s2
	v_add_co_ci_u32_e64 v6, null, s3, v6, vcc_lo
	v_lshlrev_b64 v[4:5], 1, v[13:14]
	v_add_co_u32 v2, vcc_lo, v7, v2
	v_add_co_ci_u32_e64 v7, null, 0, v6, vcc_lo
	s_lshl_b64 s[0:1], s[0:1], 4
	v_add_co_u32 v4, vcc_lo, s9, v4
	v_add_co_ci_u32_e64 v5, null, s14, v5, vcc_lo
	v_add_co_u32 v6, vcc_lo, s12, v2
	v_add_co_ci_u32_e64 v7, null, s13, v7, vcc_lo
	v_mov_b32_e32 v2, 0
	s_mov_b64 s[2:3], 0
.LBB15_2:                               ; =>This Inner Loop Header: Depth=1
	global_load_ushort v12, v[6:7], off
	global_load_ushort v13, v[4:5], off
	s_add_u32 s2, s2, 8
	s_addc_u32 s3, s3, 0
	v_add_co_u32 v4, vcc_lo, v4, s0
	v_cmp_lt_i64_e64 s9, s[2:3], s[20:21]
	v_add_co_ci_u32_e64 v5, null, s1, v5, vcc_lo
	v_add_co_u32 v6, vcc_lo, v6, 16
	v_add_co_ci_u32_e64 v7, null, 0, v7, vcc_lo
	s_and_b32 vcc_lo, exec_lo, s9
	s_waitcnt vmcnt(1)
	ds_write_b16 v10, v12
	s_waitcnt vmcnt(0)
	ds_write_b16 v11, v13
	s_waitcnt lgkmcnt(0)
	s_barrier
	buffer_gl0_inv
	ds_read_u16 v20, v8 offset:32
	ds_read_u16 v21, v8 offset:96
	;; [unrolled: 1-line block ×3, first 2 shown]
	ds_read_b128 v[12:15], v9
	ds_read_b128 v[16:19], v9 offset:256
	ds_read_u16 v23, v8 offset:224
	ds_read_u16 v24, v8 offset:288
	;; [unrolled: 1-line block ×5, first 2 shown]
	s_waitcnt lgkmcnt(9)
	ds_read_u16_d16_hi v20, v8
	s_waitcnt lgkmcnt(9)
	ds_read_u16_d16_hi v21, v8 offset:64
	s_waitcnt lgkmcnt(9)
	ds_read_u16_d16_hi v22, v8 offset:128
	;; [unrolled: 2-line block ×7, first 2 shown]
	s_waitcnt lgkmcnt(0)
	s_barrier
	buffer_gl0_inv
	v_pk_fma_f16 v3, v20, v12, v3 op_sel_hi:[1,0,1]
	v_pk_fma_f16 v2, v20, v16, v2 op_sel_hi:[1,0,1]
	v_pk_fma_f16 v3, v21, v12, v3 op_sel:[0,1,0]
	v_pk_fma_f16 v2, v21, v16, v2 op_sel:[0,1,0]
	v_pk_fma_f16 v3, v22, v13, v3 op_sel_hi:[1,0,1]
	v_pk_fma_f16 v2, v22, v17, v2 op_sel_hi:[1,0,1]
	v_pk_fma_f16 v3, v23, v13, v3 op_sel:[0,1,0]
	v_pk_fma_f16 v2, v23, v17, v2 op_sel:[0,1,0]
	v_pk_fma_f16 v3, v24, v14, v3 op_sel_hi:[1,0,1]
	v_pk_fma_f16 v2, v24, v18, v2 op_sel_hi:[1,0,1]
	v_pk_fma_f16 v3, v25, v14, v3 op_sel:[0,1,0]
	v_pk_fma_f16 v2, v25, v18, v2 op_sel:[0,1,0]
	v_pk_fma_f16 v3, v26, v15, v3 op_sel_hi:[1,0,1]
	v_pk_fma_f16 v2, v26, v19, v2 op_sel_hi:[1,0,1]
	v_pk_fma_f16 v3, v27, v15, v3 op_sel:[0,1,0]
	v_pk_fma_f16 v2, v27, v19, v2 op_sel:[0,1,0]
	s_cbranch_vccnz .LBB15_2
	s_branch .LBB15_4
.LBB15_3:
	v_mov_b32_e32 v2, 0
.LBB15_4:
	s_clause 0x3
	s_load_dwordx4 s[0:3], s[4:5], 0x78
	s_load_dword s9, s[4:5], 0x50
	s_load_dwordx8 s[12:19], s[4:5], 0x58
	s_load_dword s4, s[4:5], 0x18
	v_add_co_u32 v7, s5, s6, v0
	v_add_co_ci_u32_e64 v8, null, s7, 0, s5
	v_add_co_u32 v6, s5, s10, v1
	v_add_co_ci_u32_e64 v9, null, s11, 0, s5
	v_lshlrev_b64 v[0:1], 1, v[7:8]
	v_lshrrev_b32_e32 v5, 16, v3
	v_lshrrev_b32_e32 v4, 16, v2
	s_waitcnt lgkmcnt(0)
	s_mul_i32 s3, s3, s8
	s_mul_hi_u32 s5, s2, s8
	v_mul_lo_u32 v7, v9, s0
	v_mul_lo_u32 v8, v6, s1
	s_mul_i32 s2, s2, s8
	v_cmp_neq_f16_e64 s6, s9, 0
	s_add_i32 s3, s5, s3
	s_mov_b32 s5, 0
	s_lshl_b64 s[2:3], s[2:3], 1
	s_add_u32 s2, s18, s2
	s_addc_u32 s3, s19, s3
	s_and_b32 vcc_lo, exec_lo, s6
	s_cbranch_vccnz .LBB15_8
; %bb.5:
	v_mad_u64_u32 v[10:11], null, v6, s0, 0
	s_lshl_b64 s[6:7], s[0:1], 5
	v_mul_f16_sdwa v14, s4, v3 dst_sel:DWORD dst_unused:UNUSED_PAD src0_sel:DWORD src1_sel:WORD_1
	v_mul_f16_e32 v15, s4, v3
	v_mul_f16_sdwa v16, s4, v2 dst_sel:DWORD dst_unused:UNUSED_PAD src0_sel:DWORD src1_sel:WORD_1
	v_mul_f16_e32 v17, s4, v2
	v_add3_u32 v11, v11, v8, v7
	v_lshlrev_b64 v[10:11], 1, v[10:11]
	v_add_co_u32 v10, vcc_lo, s2, v10
	v_add_co_ci_u32_e64 v11, null, s3, v11, vcc_lo
	v_add_co_u32 v12, vcc_lo, v10, s6
	v_add_co_ci_u32_e64 v13, null, s7, v11, vcc_lo
	;; [unrolled: 2-line block ×4, first 2 shown]
	global_store_short v[10:11], v14, off
	global_store_short v[10:11], v15, off offset:32
	global_store_short v[12:13], v16, off
	global_store_short v[12:13], v17, off offset:32
	s_andn2_b32 vcc_lo, exec_lo, s5
	s_cbranch_vccnz .LBB15_7
.LBB15_6:
	v_mul_lo_u32 v11, v9, s14
	v_mul_lo_u32 v12, v6, s15
	v_mad_u64_u32 v[9:10], null, v6, s14, 0
	s_mul_i32 s5, s17, s8
	s_mul_hi_u32 s7, s16, s8
	s_mul_i32 s6, s16, s8
	s_add_i32 s7, s7, s5
	s_lshl_b64 s[6:7], s[6:7], 1
	v_add3_u32 v10, v10, v12, v11
	s_add_u32 s5, s12, s6
	s_addc_u32 s6, s13, s7
	v_mad_u64_u32 v[11:12], null, v6, s0, 0
	v_lshlrev_b64 v[9:10], 1, v[9:10]
	s_lshl_b64 s[0:1], s[0:1], 5
	v_add3_u32 v12, v12, v8, v7
	v_add_co_u32 v13, vcc_lo, s5, v9
	v_add_co_ci_u32_e64 v14, null, s6, v10, vcc_lo
	v_lshlrev_b64 v[6:7], 1, v[11:12]
	v_add_co_u32 v9, vcc_lo, v13, v0
	v_add_co_ci_u32_e64 v10, null, v14, v1, vcc_lo
	v_add_co_u32 v11, vcc_lo, s2, v6
	global_load_ushort v15, v[9:10], off
	v_add_co_ci_u32_e64 v12, null, s3, v7, vcc_lo
	v_add_co_u32 v6, vcc_lo, v11, v0
	s_lshl_b64 s[2:3], s[14:15], 5
	v_add_co_ci_u32_e64 v7, null, v12, v1, vcc_lo
	s_waitcnt vmcnt(0)
	v_mul_f16_e32 v8, s9, v15
	v_fmac_f16_e32 v8, s4, v5
	global_store_short v[6:7], v8, off
	global_load_ushort v5, v[9:10], off offset:32
	v_add_co_u32 v8, vcc_lo, v13, s2
	v_add_co_ci_u32_e64 v9, null, s3, v14, vcc_lo
	v_add_co_u32 v8, vcc_lo, v8, v0
	v_add_co_ci_u32_e64 v9, null, v9, v1, vcc_lo
	s_waitcnt vmcnt(0)
	v_mul_f16_e32 v5, s9, v5
	v_fmac_f16_e32 v5, s4, v3
	global_store_short v[6:7], v5, off offset:32
	global_load_ushort v3, v[8:9], off
	v_add_co_u32 v5, vcc_lo, v11, s0
	v_add_co_ci_u32_e64 v6, null, s1, v12, vcc_lo
	v_add_co_u32 v0, vcc_lo, v5, v0
	v_add_co_ci_u32_e64 v1, null, v6, v1, vcc_lo
	s_waitcnt vmcnt(0)
	v_mul_f16_e32 v3, s9, v3
	v_fmac_f16_e32 v3, s4, v4
	global_store_short v[0:1], v3, off
	global_load_ushort v3, v[8:9], off offset:32
	s_waitcnt vmcnt(0)
	v_mul_f16_e32 v3, s9, v3
	v_fmac_f16_e32 v3, s4, v2
	global_store_short v[0:1], v3, off offset:32
.LBB15_7:
	s_endpgm
.LBB15_8:
	s_branch .LBB15_6
	.section	.rodata,"a",@progbits
	.p2align	6, 0x0
	.amdhsa_kernel _ZN12_GLOBAL__N_127rocblas_gemm_batched_kernelIDF16_Li16ELi16ELi32ELi32ELi8ELi32ELi8ELi8ELi32ELc67ELc67EKDF16_S1_DF16_EEvlllT_PT11_llS4_llS2_PT12_llPT13_lli
		.amdhsa_group_segment_fixed_size 1024
		.amdhsa_private_segment_fixed_size 0
		.amdhsa_kernarg_size 140
		.amdhsa_user_sgpr_count 6
		.amdhsa_user_sgpr_private_segment_buffer 1
		.amdhsa_user_sgpr_dispatch_ptr 0
		.amdhsa_user_sgpr_queue_ptr 0
		.amdhsa_user_sgpr_kernarg_segment_ptr 1
		.amdhsa_user_sgpr_dispatch_id 0
		.amdhsa_user_sgpr_flat_scratch_init 0
		.amdhsa_user_sgpr_private_segment_size 0
		.amdhsa_wavefront_size32 1
		.amdhsa_uses_dynamic_stack 0
		.amdhsa_system_sgpr_private_segment_wavefront_offset 0
		.amdhsa_system_sgpr_workgroup_id_x 1
		.amdhsa_system_sgpr_workgroup_id_y 1
		.amdhsa_system_sgpr_workgroup_id_z 1
		.amdhsa_system_sgpr_workgroup_info 0
		.amdhsa_system_vgpr_workitem_id 1
		.amdhsa_next_free_vgpr 28
		.amdhsa_next_free_sgpr 22
		.amdhsa_reserve_vcc 1
		.amdhsa_reserve_flat_scratch 0
		.amdhsa_float_round_mode_32 0
		.amdhsa_float_round_mode_16_64 0
		.amdhsa_float_denorm_mode_32 3
		.amdhsa_float_denorm_mode_16_64 3
		.amdhsa_dx10_clamp 1
		.amdhsa_ieee_mode 1
		.amdhsa_fp16_overflow 0
		.amdhsa_workgroup_processor_mode 1
		.amdhsa_memory_ordered 1
		.amdhsa_forward_progress 1
		.amdhsa_shared_vgpr_count 0
		.amdhsa_exception_fp_ieee_invalid_op 0
		.amdhsa_exception_fp_denorm_src 0
		.amdhsa_exception_fp_ieee_div_zero 0
		.amdhsa_exception_fp_ieee_overflow 0
		.amdhsa_exception_fp_ieee_underflow 0
		.amdhsa_exception_fp_ieee_inexact 0
		.amdhsa_exception_int_div_zero 0
	.end_amdhsa_kernel
	.section	.text._ZN12_GLOBAL__N_127rocblas_gemm_batched_kernelIDF16_Li16ELi16ELi32ELi32ELi8ELi32ELi8ELi8ELi32ELc67ELc67EKDF16_S1_DF16_EEvlllT_PT11_llS4_llS2_PT12_llPT13_lli,"axG",@progbits,_ZN12_GLOBAL__N_127rocblas_gemm_batched_kernelIDF16_Li16ELi16ELi32ELi32ELi8ELi32ELi8ELi8ELi32ELc67ELc67EKDF16_S1_DF16_EEvlllT_PT11_llS4_llS2_PT12_llPT13_lli,comdat
.Lfunc_end15:
	.size	_ZN12_GLOBAL__N_127rocblas_gemm_batched_kernelIDF16_Li16ELi16ELi32ELi32ELi8ELi32ELi8ELi8ELi32ELc67ELc67EKDF16_S1_DF16_EEvlllT_PT11_llS4_llS2_PT12_llPT13_lli, .Lfunc_end15-_ZN12_GLOBAL__N_127rocblas_gemm_batched_kernelIDF16_Li16ELi16ELi32ELi32ELi8ELi32ELi8ELi8ELi32ELc67ELc67EKDF16_S1_DF16_EEvlllT_PT11_llS4_llS2_PT12_llPT13_lli
                                        ; -- End function
	.set _ZN12_GLOBAL__N_127rocblas_gemm_batched_kernelIDF16_Li16ELi16ELi32ELi32ELi8ELi32ELi8ELi8ELi32ELc67ELc67EKDF16_S1_DF16_EEvlllT_PT11_llS4_llS2_PT12_llPT13_lli.num_vgpr, 28
	.set _ZN12_GLOBAL__N_127rocblas_gemm_batched_kernelIDF16_Li16ELi16ELi32ELi32ELi8ELi32ELi8ELi8ELi32ELc67ELc67EKDF16_S1_DF16_EEvlllT_PT11_llS4_llS2_PT12_llPT13_lli.num_agpr, 0
	.set _ZN12_GLOBAL__N_127rocblas_gemm_batched_kernelIDF16_Li16ELi16ELi32ELi32ELi8ELi32ELi8ELi8ELi32ELc67ELc67EKDF16_S1_DF16_EEvlllT_PT11_llS4_llS2_PT12_llPT13_lli.numbered_sgpr, 22
	.set _ZN12_GLOBAL__N_127rocblas_gemm_batched_kernelIDF16_Li16ELi16ELi32ELi32ELi8ELi32ELi8ELi8ELi32ELc67ELc67EKDF16_S1_DF16_EEvlllT_PT11_llS4_llS2_PT12_llPT13_lli.num_named_barrier, 0
	.set _ZN12_GLOBAL__N_127rocblas_gemm_batched_kernelIDF16_Li16ELi16ELi32ELi32ELi8ELi32ELi8ELi8ELi32ELc67ELc67EKDF16_S1_DF16_EEvlllT_PT11_llS4_llS2_PT12_llPT13_lli.private_seg_size, 0
	.set _ZN12_GLOBAL__N_127rocblas_gemm_batched_kernelIDF16_Li16ELi16ELi32ELi32ELi8ELi32ELi8ELi8ELi32ELc67ELc67EKDF16_S1_DF16_EEvlllT_PT11_llS4_llS2_PT12_llPT13_lli.uses_vcc, 1
	.set _ZN12_GLOBAL__N_127rocblas_gemm_batched_kernelIDF16_Li16ELi16ELi32ELi32ELi8ELi32ELi8ELi8ELi32ELc67ELc67EKDF16_S1_DF16_EEvlllT_PT11_llS4_llS2_PT12_llPT13_lli.uses_flat_scratch, 0
	.set _ZN12_GLOBAL__N_127rocblas_gemm_batched_kernelIDF16_Li16ELi16ELi32ELi32ELi8ELi32ELi8ELi8ELi32ELc67ELc67EKDF16_S1_DF16_EEvlllT_PT11_llS4_llS2_PT12_llPT13_lli.has_dyn_sized_stack, 0
	.set _ZN12_GLOBAL__N_127rocblas_gemm_batched_kernelIDF16_Li16ELi16ELi32ELi32ELi8ELi32ELi8ELi8ELi32ELc67ELc67EKDF16_S1_DF16_EEvlllT_PT11_llS4_llS2_PT12_llPT13_lli.has_recursion, 0
	.set _ZN12_GLOBAL__N_127rocblas_gemm_batched_kernelIDF16_Li16ELi16ELi32ELi32ELi8ELi32ELi8ELi8ELi32ELc67ELc67EKDF16_S1_DF16_EEvlllT_PT11_llS4_llS2_PT12_llPT13_lli.has_indirect_call, 0
	.section	.AMDGPU.csdata,"",@progbits
; Kernel info:
; codeLenInByte = 1468
; TotalNumSgprs: 24
; NumVgprs: 28
; ScratchSize: 0
; MemoryBound: 0
; FloatMode: 240
; IeeeMode: 1
; LDSByteSize: 1024 bytes/workgroup (compile time only)
; SGPRBlocks: 0
; VGPRBlocks: 3
; NumSGPRsForWavesPerEU: 24
; NumVGPRsForWavesPerEU: 28
; Occupancy: 16
; WaveLimiterHint : 0
; COMPUTE_PGM_RSRC2:SCRATCH_EN: 0
; COMPUTE_PGM_RSRC2:USER_SGPR: 6
; COMPUTE_PGM_RSRC2:TRAP_HANDLER: 0
; COMPUTE_PGM_RSRC2:TGID_X_EN: 1
; COMPUTE_PGM_RSRC2:TGID_Y_EN: 1
; COMPUTE_PGM_RSRC2:TGID_Z_EN: 1
; COMPUTE_PGM_RSRC2:TIDIG_COMP_CNT: 1
	.section	.text._ZN12_GLOBAL__N_127rocblas_gemm_batched_kernelIDF16_Li16ELi16ELi32ELi32ELi8ELi32ELi8ELi8ELi32ELc67ELc78EKDF16_S1_DF16_EEvlllT_PT11_llS4_llS2_PT12_llPT13_lli,"axG",@progbits,_ZN12_GLOBAL__N_127rocblas_gemm_batched_kernelIDF16_Li16ELi16ELi32ELi32ELi8ELi32ELi8ELi8ELi32ELc67ELc78EKDF16_S1_DF16_EEvlllT_PT11_llS4_llS2_PT12_llPT13_lli,comdat
	.globl	_ZN12_GLOBAL__N_127rocblas_gemm_batched_kernelIDF16_Li16ELi16ELi32ELi32ELi8ELi32ELi8ELi8ELi32ELc67ELc78EKDF16_S1_DF16_EEvlllT_PT11_llS4_llS2_PT12_llPT13_lli ; -- Begin function _ZN12_GLOBAL__N_127rocblas_gemm_batched_kernelIDF16_Li16ELi16ELi32ELi32ELi8ELi32ELi8ELi8ELi32ELc67ELc78EKDF16_S1_DF16_EEvlllT_PT11_llS4_llS2_PT12_llPT13_lli
	.p2align	8
	.type	_ZN12_GLOBAL__N_127rocblas_gemm_batched_kernelIDF16_Li16ELi16ELi32ELi32ELi8ELi32ELi8ELi8ELi32ELc67ELc78EKDF16_S1_DF16_EEvlllT_PT11_llS4_llS2_PT12_llPT13_lli,@function
_ZN12_GLOBAL__N_127rocblas_gemm_batched_kernelIDF16_Li16ELi16ELi32ELi32ELi8ELi32ELi8ELi8ELi32ELc67ELc78EKDF16_S1_DF16_EEvlllT_PT11_llS4_llS2_PT12_llPT13_lli: ; @_ZN12_GLOBAL__N_127rocblas_gemm_batched_kernelIDF16_Li16ELi16ELi32ELi32ELi8ELi32ELi8ELi8ELi32ELc67ELc78EKDF16_S1_DF16_EEvlllT_PT11_llS4_llS2_PT12_llPT13_lli
; %bb.0:
	s_load_dwordx2 s[20:21], s[4:5], 0x10
	s_mov_b32 s0, s7
	s_ashr_i32 s7, s6, 31
	s_ashr_i32 s1, s0, 31
	s_lshl_b64 s[6:7], s[6:7], 5
	s_lshl_b64 s[10:11], s[0:1], 5
	s_waitcnt lgkmcnt(0)
	v_cmp_lt_i64_e64 s2, s[20:21], 1
	s_and_b32 vcc_lo, exec_lo, s2
	s_cbranch_vccnz .LBB16_3
; %bb.1:
	v_lshlrev_b32_e32 v6, 4, v1
	s_clause 0x1
	s_load_dwordx4 s[0:3], s[4:5], 0x40
	s_load_dwordx8 s[12:19], s[4:5], 0x20
	v_and_b32_e32 v3, 7, v0
	v_add_nc_u32_e32 v2, v6, v0
	v_lshlrev_b32_e32 v7, 1, v3
	v_lshrrev_b32_e32 v4, 3, v2
	v_and_b32_e32 v3, 31, v2
	v_lshrrev_b32_e32 v12, 5, v2
	v_add_co_u32 v2, s9, v4, s10
	v_add_co_ci_u32_e64 v5, null, 0, s11, s9
	v_add_co_u32 v10, s9, s6, v3
	v_lshl_or_b32 v4, v4, 4, v7
	v_add_co_ci_u32_e64 v11, null, s7, 0, s9
	v_lshlrev_b32_e32 v8, 1, v3
	s_waitcnt lgkmcnt(0)
	v_mul_lo_u32 v13, s1, v2
	v_mul_lo_u32 v14, s0, v5
	v_mad_u64_u32 v[2:3], null, s0, v2, 0
	v_add_nc_u32_e32 v9, 0x200, v4
	v_mul_lo_u32 v15, s15, v10
	v_mul_lo_u32 v16, s14, v11
	v_mad_u64_u32 v[4:5], null, s14, v10, 0
	s_mul_i32 s0, s3, s8
	v_add3_u32 v3, v3, v14, v13
	s_mul_hi_u32 s1, s2, s8
	s_mul_hi_u32 s3, s16, s8
	s_add_i32 s1, s1, s0
	s_mul_i32 s0, s2, s8
	v_add3_u32 v5, v5, v16, v15
	v_lshlrev_b64 v[2:3], 1, v[2:3]
	s_lshl_b64 s[0:1], s[0:1], 1
	s_mul_i32 s2, s17, s8
	v_add_nc_u32_e32 v11, 0x200, v6
	v_lshlrev_b64 v[4:5], 1, v[4:5]
	s_add_i32 s3, s3, s2
	s_mul_i32 s2, s16, s8
	v_add_co_u32 v2, vcc_lo, v2, s0
	v_add_co_ci_u32_e64 v3, null, s1, v3, vcc_lo
	s_lshl_b64 s[0:1], s[2:3], 1
	v_lshlrev_b32_e32 v6, 1, v12
	v_add_co_u32 v4, vcc_lo, v4, s0
	v_add_co_ci_u32_e64 v5, null, s1, v5, vcc_lo
	v_add_co_u32 v2, vcc_lo, v2, v7
	v_add_co_ci_u32_e64 v3, null, 0, v3, vcc_lo
	;; [unrolled: 2-line block ×4, first 2 shown]
	v_add_co_u32 v4, vcc_lo, s12, v4
	v_lshl_or_b32 v8, v12, 6, v8
	v_lshlrev_b32_e32 v10, 1, v0
	v_add_co_ci_u32_e64 v5, null, s13, v5, vcc_lo
	v_mov_b32_e32 v6, 0
	v_mov_b32_e32 v7, 0
	s_mov_b64 s[0:1], 0
.LBB16_2:                               ; =>This Inner Loop Header: Depth=1
	global_load_ushort v12, v[4:5], off
	global_load_ushort v13, v[2:3], off
	s_add_u32 s0, s0, 8
	s_addc_u32 s1, s1, 0
	v_add_co_u32 v2, vcc_lo, v2, 16
	v_cmp_lt_i64_e64 s2, s[0:1], s[20:21]
	v_add_co_ci_u32_e64 v3, null, 0, v3, vcc_lo
	v_add_co_u32 v4, vcc_lo, v4, 16
	v_add_co_ci_u32_e64 v5, null, 0, v5, vcc_lo
	s_and_b32 vcc_lo, exec_lo, s2
	s_waitcnt vmcnt(1)
	ds_write_b16 v8, v12
	s_waitcnt vmcnt(0)
	ds_write_b16 v9, v13
	s_waitcnt lgkmcnt(0)
	s_barrier
	buffer_gl0_inv
	ds_read_u16 v20, v10 offset:32
	ds_read_u16 v21, v10 offset:96
	;; [unrolled: 1-line block ×3, first 2 shown]
	ds_read_b128 v[12:15], v11
	ds_read_b128 v[16:19], v11 offset:256
	ds_read_u16 v23, v10 offset:224
	ds_read_u16 v24, v10 offset:288
	;; [unrolled: 1-line block ×5, first 2 shown]
	s_waitcnt lgkmcnt(9)
	ds_read_u16_d16_hi v20, v10
	s_waitcnt lgkmcnt(9)
	ds_read_u16_d16_hi v21, v10 offset:64
	s_waitcnt lgkmcnt(9)
	ds_read_u16_d16_hi v22, v10 offset:128
	;; [unrolled: 2-line block ×7, first 2 shown]
	s_waitcnt lgkmcnt(0)
	s_barrier
	buffer_gl0_inv
	v_pk_fma_f16 v7, v20, v12, v7 op_sel_hi:[1,0,1]
	v_pk_fma_f16 v6, v20, v16, v6 op_sel_hi:[1,0,1]
	v_pk_fma_f16 v7, v21, v12, v7 op_sel:[0,1,0]
	v_pk_fma_f16 v6, v21, v16, v6 op_sel:[0,1,0]
	v_pk_fma_f16 v7, v22, v13, v7 op_sel_hi:[1,0,1]
	v_pk_fma_f16 v6, v22, v17, v6 op_sel_hi:[1,0,1]
	v_pk_fma_f16 v7, v23, v13, v7 op_sel:[0,1,0]
	v_pk_fma_f16 v6, v23, v17, v6 op_sel:[0,1,0]
	;; [unrolled: 4-line block ×4, first 2 shown]
	s_cbranch_vccnz .LBB16_2
	s_branch .LBB16_4
.LBB16_3:
	v_mov_b32_e32 v7, 0
	v_mov_b32_e32 v6, 0
.LBB16_4:
	s_clause 0x3
	s_load_dwordx4 s[0:3], s[4:5], 0x78
	s_load_dword s9, s[4:5], 0x50
	s_load_dwordx8 s[12:19], s[4:5], 0x58
	s_load_dword s4, s[4:5], 0x18
	v_add_co_u32 v10, s5, s6, v0
	v_add_co_ci_u32_e64 v11, null, s7, 0, s5
	v_add_co_u32 v4, s5, s10, v1
	v_add_co_ci_u32_e64 v9, null, s11, 0, s5
	v_lshlrev_b64 v[0:1], 1, v[10:11]
	v_lshrrev_b32_e32 v3, 16, v7
	v_lshrrev_b32_e32 v2, 16, v6
	s_waitcnt lgkmcnt(0)
	s_mul_i32 s3, s3, s8
	s_mul_hi_u32 s5, s2, s8
	v_mul_lo_u32 v5, v9, s0
	v_mul_lo_u32 v8, v4, s1
	s_mul_i32 s2, s2, s8
	v_cmp_neq_f16_e64 s6, s9, 0
	s_add_i32 s3, s5, s3
	s_mov_b32 s5, 0
	s_lshl_b64 s[2:3], s[2:3], 1
	s_add_u32 s2, s18, s2
	s_addc_u32 s3, s19, s3
	s_and_b32 vcc_lo, exec_lo, s6
	s_cbranch_vccnz .LBB16_8
; %bb.5:
	v_mad_u64_u32 v[10:11], null, v4, s0, 0
	s_lshl_b64 s[6:7], s[0:1], 5
	v_mul_f16_sdwa v14, s4, v7 dst_sel:DWORD dst_unused:UNUSED_PAD src0_sel:DWORD src1_sel:WORD_1
	v_mul_f16_e32 v15, s4, v7
	v_mul_f16_sdwa v16, s4, v6 dst_sel:DWORD dst_unused:UNUSED_PAD src0_sel:DWORD src1_sel:WORD_1
	v_mul_f16_e32 v17, s4, v6
	v_add3_u32 v11, v11, v8, v5
	v_lshlrev_b64 v[10:11], 1, v[10:11]
	v_add_co_u32 v10, vcc_lo, s2, v10
	v_add_co_ci_u32_e64 v11, null, s3, v11, vcc_lo
	v_add_co_u32 v12, vcc_lo, v10, s6
	v_add_co_ci_u32_e64 v13, null, s7, v11, vcc_lo
	;; [unrolled: 2-line block ×4, first 2 shown]
	global_store_short v[10:11], v14, off
	global_store_short v[10:11], v15, off offset:32
	global_store_short v[12:13], v16, off
	global_store_short v[12:13], v17, off offset:32
	s_andn2_b32 vcc_lo, exec_lo, s5
	s_cbranch_vccnz .LBB16_7
.LBB16_6:
	v_mul_lo_u32 v11, v9, s14
	v_mul_lo_u32 v12, v4, s15
	v_mad_u64_u32 v[9:10], null, v4, s14, 0
	s_mul_i32 s5, s17, s8
	s_mul_hi_u32 s7, s16, s8
	s_mul_i32 s6, s16, s8
	s_add_i32 s7, s7, s5
	s_lshl_b64 s[6:7], s[6:7], 1
	v_add3_u32 v10, v10, v12, v11
	s_add_u32 s5, s12, s6
	s_addc_u32 s6, s13, s7
	v_mad_u64_u32 v[11:12], null, v4, s0, 0
	v_lshlrev_b64 v[9:10], 1, v[9:10]
	s_lshl_b64 s[0:1], s[0:1], 5
	v_add3_u32 v12, v12, v8, v5
	v_add_co_u32 v13, vcc_lo, s5, v9
	v_add_co_ci_u32_e64 v14, null, s6, v10, vcc_lo
	v_lshlrev_b64 v[4:5], 1, v[11:12]
	v_add_co_u32 v9, vcc_lo, v13, v0
	v_add_co_ci_u32_e64 v10, null, v14, v1, vcc_lo
	v_add_co_u32 v11, vcc_lo, s2, v4
	global_load_ushort v15, v[9:10], off
	v_add_co_ci_u32_e64 v12, null, s3, v5, vcc_lo
	v_add_co_u32 v4, vcc_lo, v11, v0
	s_lshl_b64 s[2:3], s[14:15], 5
	v_add_co_ci_u32_e64 v5, null, v12, v1, vcc_lo
	s_waitcnt vmcnt(0)
	v_mul_f16_e32 v8, s9, v15
	v_fmac_f16_e32 v8, s4, v3
	global_store_short v[4:5], v8, off
	global_load_ushort v3, v[9:10], off offset:32
	v_add_co_u32 v8, vcc_lo, v13, s2
	v_add_co_ci_u32_e64 v9, null, s3, v14, vcc_lo
	s_waitcnt vmcnt(0)
	v_mul_f16_e32 v3, s9, v3
	v_fmac_f16_e32 v3, s4, v7
	v_add_co_u32 v7, vcc_lo, v8, v0
	v_add_co_ci_u32_e64 v8, null, v9, v1, vcc_lo
	global_store_short v[4:5], v3, off offset:32
	v_add_co_u32 v4, vcc_lo, v11, s0
	global_load_ushort v3, v[7:8], off
	v_add_co_ci_u32_e64 v5, null, s1, v12, vcc_lo
	v_add_co_u32 v0, vcc_lo, v4, v0
	v_add_co_ci_u32_e64 v1, null, v5, v1, vcc_lo
	s_waitcnt vmcnt(0)
	v_mul_f16_e32 v3, s9, v3
	v_fmac_f16_e32 v3, s4, v2
	global_store_short v[0:1], v3, off
	global_load_ushort v2, v[7:8], off offset:32
	s_waitcnt vmcnt(0)
	v_mul_f16_e32 v2, s9, v2
	v_fmac_f16_e32 v2, s4, v6
	global_store_short v[0:1], v2, off offset:32
.LBB16_7:
	s_endpgm
.LBB16_8:
	s_branch .LBB16_6
	.section	.rodata,"a",@progbits
	.p2align	6, 0x0
	.amdhsa_kernel _ZN12_GLOBAL__N_127rocblas_gemm_batched_kernelIDF16_Li16ELi16ELi32ELi32ELi8ELi32ELi8ELi8ELi32ELc67ELc78EKDF16_S1_DF16_EEvlllT_PT11_llS4_llS2_PT12_llPT13_lli
		.amdhsa_group_segment_fixed_size 1024
		.amdhsa_private_segment_fixed_size 0
		.amdhsa_kernarg_size 140
		.amdhsa_user_sgpr_count 6
		.amdhsa_user_sgpr_private_segment_buffer 1
		.amdhsa_user_sgpr_dispatch_ptr 0
		.amdhsa_user_sgpr_queue_ptr 0
		.amdhsa_user_sgpr_kernarg_segment_ptr 1
		.amdhsa_user_sgpr_dispatch_id 0
		.amdhsa_user_sgpr_flat_scratch_init 0
		.amdhsa_user_sgpr_private_segment_size 0
		.amdhsa_wavefront_size32 1
		.amdhsa_uses_dynamic_stack 0
		.amdhsa_system_sgpr_private_segment_wavefront_offset 0
		.amdhsa_system_sgpr_workgroup_id_x 1
		.amdhsa_system_sgpr_workgroup_id_y 1
		.amdhsa_system_sgpr_workgroup_id_z 1
		.amdhsa_system_sgpr_workgroup_info 0
		.amdhsa_system_vgpr_workitem_id 1
		.amdhsa_next_free_vgpr 28
		.amdhsa_next_free_sgpr 22
		.amdhsa_reserve_vcc 1
		.amdhsa_reserve_flat_scratch 0
		.amdhsa_float_round_mode_32 0
		.amdhsa_float_round_mode_16_64 0
		.amdhsa_float_denorm_mode_32 3
		.amdhsa_float_denorm_mode_16_64 3
		.amdhsa_dx10_clamp 1
		.amdhsa_ieee_mode 1
		.amdhsa_fp16_overflow 0
		.amdhsa_workgroup_processor_mode 1
		.amdhsa_memory_ordered 1
		.amdhsa_forward_progress 1
		.amdhsa_shared_vgpr_count 0
		.amdhsa_exception_fp_ieee_invalid_op 0
		.amdhsa_exception_fp_denorm_src 0
		.amdhsa_exception_fp_ieee_div_zero 0
		.amdhsa_exception_fp_ieee_overflow 0
		.amdhsa_exception_fp_ieee_underflow 0
		.amdhsa_exception_fp_ieee_inexact 0
		.amdhsa_exception_int_div_zero 0
	.end_amdhsa_kernel
	.section	.text._ZN12_GLOBAL__N_127rocblas_gemm_batched_kernelIDF16_Li16ELi16ELi32ELi32ELi8ELi32ELi8ELi8ELi32ELc67ELc78EKDF16_S1_DF16_EEvlllT_PT11_llS4_llS2_PT12_llPT13_lli,"axG",@progbits,_ZN12_GLOBAL__N_127rocblas_gemm_batched_kernelIDF16_Li16ELi16ELi32ELi32ELi8ELi32ELi8ELi8ELi32ELc67ELc78EKDF16_S1_DF16_EEvlllT_PT11_llS4_llS2_PT12_llPT13_lli,comdat
.Lfunc_end16:
	.size	_ZN12_GLOBAL__N_127rocblas_gemm_batched_kernelIDF16_Li16ELi16ELi32ELi32ELi8ELi32ELi8ELi8ELi32ELc67ELc78EKDF16_S1_DF16_EEvlllT_PT11_llS4_llS2_PT12_llPT13_lli, .Lfunc_end16-_ZN12_GLOBAL__N_127rocblas_gemm_batched_kernelIDF16_Li16ELi16ELi32ELi32ELi8ELi32ELi8ELi8ELi32ELc67ELc78EKDF16_S1_DF16_EEvlllT_PT11_llS4_llS2_PT12_llPT13_lli
                                        ; -- End function
	.set _ZN12_GLOBAL__N_127rocblas_gemm_batched_kernelIDF16_Li16ELi16ELi32ELi32ELi8ELi32ELi8ELi8ELi32ELc67ELc78EKDF16_S1_DF16_EEvlllT_PT11_llS4_llS2_PT12_llPT13_lli.num_vgpr, 28
	.set _ZN12_GLOBAL__N_127rocblas_gemm_batched_kernelIDF16_Li16ELi16ELi32ELi32ELi8ELi32ELi8ELi8ELi32ELc67ELc78EKDF16_S1_DF16_EEvlllT_PT11_llS4_llS2_PT12_llPT13_lli.num_agpr, 0
	.set _ZN12_GLOBAL__N_127rocblas_gemm_batched_kernelIDF16_Li16ELi16ELi32ELi32ELi8ELi32ELi8ELi8ELi32ELc67ELc78EKDF16_S1_DF16_EEvlllT_PT11_llS4_llS2_PT12_llPT13_lli.numbered_sgpr, 22
	.set _ZN12_GLOBAL__N_127rocblas_gemm_batched_kernelIDF16_Li16ELi16ELi32ELi32ELi8ELi32ELi8ELi8ELi32ELc67ELc78EKDF16_S1_DF16_EEvlllT_PT11_llS4_llS2_PT12_llPT13_lli.num_named_barrier, 0
	.set _ZN12_GLOBAL__N_127rocblas_gemm_batched_kernelIDF16_Li16ELi16ELi32ELi32ELi8ELi32ELi8ELi8ELi32ELc67ELc78EKDF16_S1_DF16_EEvlllT_PT11_llS4_llS2_PT12_llPT13_lli.private_seg_size, 0
	.set _ZN12_GLOBAL__N_127rocblas_gemm_batched_kernelIDF16_Li16ELi16ELi32ELi32ELi8ELi32ELi8ELi8ELi32ELc67ELc78EKDF16_S1_DF16_EEvlllT_PT11_llS4_llS2_PT12_llPT13_lli.uses_vcc, 1
	.set _ZN12_GLOBAL__N_127rocblas_gemm_batched_kernelIDF16_Li16ELi16ELi32ELi32ELi8ELi32ELi8ELi8ELi32ELc67ELc78EKDF16_S1_DF16_EEvlllT_PT11_llS4_llS2_PT12_llPT13_lli.uses_flat_scratch, 0
	.set _ZN12_GLOBAL__N_127rocblas_gemm_batched_kernelIDF16_Li16ELi16ELi32ELi32ELi8ELi32ELi8ELi8ELi32ELc67ELc78EKDF16_S1_DF16_EEvlllT_PT11_llS4_llS2_PT12_llPT13_lli.has_dyn_sized_stack, 0
	.set _ZN12_GLOBAL__N_127rocblas_gemm_batched_kernelIDF16_Li16ELi16ELi32ELi32ELi8ELi32ELi8ELi8ELi32ELc67ELc78EKDF16_S1_DF16_EEvlllT_PT11_llS4_llS2_PT12_llPT13_lli.has_recursion, 0
	.set _ZN12_GLOBAL__N_127rocblas_gemm_batched_kernelIDF16_Li16ELi16ELi32ELi32ELi8ELi32ELi8ELi8ELi32ELc67ELc78EKDF16_S1_DF16_EEvlllT_PT11_llS4_llS2_PT12_llPT13_lli.has_indirect_call, 0
	.section	.AMDGPU.csdata,"",@progbits
; Kernel info:
; codeLenInByte = 1504
; TotalNumSgprs: 24
; NumVgprs: 28
; ScratchSize: 0
; MemoryBound: 0
; FloatMode: 240
; IeeeMode: 1
; LDSByteSize: 1024 bytes/workgroup (compile time only)
; SGPRBlocks: 0
; VGPRBlocks: 3
; NumSGPRsForWavesPerEU: 24
; NumVGPRsForWavesPerEU: 28
; Occupancy: 16
; WaveLimiterHint : 0
; COMPUTE_PGM_RSRC2:SCRATCH_EN: 0
; COMPUTE_PGM_RSRC2:USER_SGPR: 6
; COMPUTE_PGM_RSRC2:TRAP_HANDLER: 0
; COMPUTE_PGM_RSRC2:TGID_X_EN: 1
; COMPUTE_PGM_RSRC2:TGID_Y_EN: 1
; COMPUTE_PGM_RSRC2:TGID_Z_EN: 1
; COMPUTE_PGM_RSRC2:TIDIG_COMP_CNT: 1
	.section	.text._ZN12_GLOBAL__N_127rocblas_gemm_batched_kernelIDF16_Li16ELi16ELi32ELi32ELi8ELi32ELi8ELi8ELi32ELc67ELc84EKDF16_S1_DF16_EEvlllT_PT11_llS4_llS2_PT12_llPT13_lli,"axG",@progbits,_ZN12_GLOBAL__N_127rocblas_gemm_batched_kernelIDF16_Li16ELi16ELi32ELi32ELi8ELi32ELi8ELi8ELi32ELc67ELc84EKDF16_S1_DF16_EEvlllT_PT11_llS4_llS2_PT12_llPT13_lli,comdat
	.globl	_ZN12_GLOBAL__N_127rocblas_gemm_batched_kernelIDF16_Li16ELi16ELi32ELi32ELi8ELi32ELi8ELi8ELi32ELc67ELc84EKDF16_S1_DF16_EEvlllT_PT11_llS4_llS2_PT12_llPT13_lli ; -- Begin function _ZN12_GLOBAL__N_127rocblas_gemm_batched_kernelIDF16_Li16ELi16ELi32ELi32ELi8ELi32ELi8ELi8ELi32ELc67ELc84EKDF16_S1_DF16_EEvlllT_PT11_llS4_llS2_PT12_llPT13_lli
	.p2align	8
	.type	_ZN12_GLOBAL__N_127rocblas_gemm_batched_kernelIDF16_Li16ELi16ELi32ELi32ELi8ELi32ELi8ELi8ELi32ELc67ELc84EKDF16_S1_DF16_EEvlllT_PT11_llS4_llS2_PT12_llPT13_lli,@function
_ZN12_GLOBAL__N_127rocblas_gemm_batched_kernelIDF16_Li16ELi16ELi32ELi32ELi8ELi32ELi8ELi8ELi32ELc67ELc84EKDF16_S1_DF16_EEvlllT_PT11_llS4_llS2_PT12_llPT13_lli: ; @_ZN12_GLOBAL__N_127rocblas_gemm_batched_kernelIDF16_Li16ELi16ELi32ELi32ELi8ELi32ELi8ELi8ELi32ELc67ELc84EKDF16_S1_DF16_EEvlllT_PT11_llS4_llS2_PT12_llPT13_lli
; %bb.0:
	s_load_dwordx2 s[20:21], s[4:5], 0x10
	s_mov_b32 s0, s7
	v_mov_b32_e32 v3, 0
	s_ashr_i32 s7, s6, 31
	s_ashr_i32 s1, s0, 31
	s_lshl_b64 s[6:7], s[6:7], 5
	s_lshl_b64 s[10:11], s[0:1], 5
	s_waitcnt lgkmcnt(0)
	v_cmp_lt_i64_e64 s2, s[20:21], 1
	s_and_b32 vcc_lo, exec_lo, s2
	s_cbranch_vccnz .LBB17_3
; %bb.1:
	v_lshlrev_b32_e32 v4, 4, v1
	s_clause 0x1
	s_load_dwordx8 s[12:19], s[4:5], 0x20
	s_load_dwordx4 s[0:3], s[4:5], 0x40
	v_and_b32_e32 v12, 7, v0
	v_lshlrev_b32_e32 v8, 1, v0
	v_add_nc_u32_e32 v5, v4, v0
	v_add_nc_u32_e32 v9, 0x200, v4
	v_lshlrev_b32_e32 v6, 1, v12
	v_and_b32_e32 v7, 31, v5
	v_lshrrev_b32_e32 v2, 3, v5
	v_lshrrev_b32_e32 v15, 5, v5
	v_lshlrev_b32_e32 v4, 1, v7
	v_lshl_or_b32 v11, v2, 4, v6
	v_add_co_u32 v6, s9, s6, v7
	v_add_co_ci_u32_e64 v7, null, s7, 0, s9
	v_lshl_or_b32 v10, v15, 6, v4
	s_waitcnt lgkmcnt(0)
	v_mad_u64_u32 v[4:5], null, s0, v12, v[2:3]
	v_mul_lo_u32 v13, s15, v6
	v_mul_lo_u32 v14, s14, v7
	v_mad_u64_u32 v[6:7], null, s14, v6, 0
	s_mul_i32 s3, s3, s8
	s_mul_hi_u32 s9, s2, s8
	v_mov_b32_e32 v2, v5
	s_mul_i32 s2, s2, s8
	s_add_i32 s3, s9, s3
	v_add_nc_u32_e32 v11, 0x200, v11
	v_add3_u32 v7, v7, v14, v13
	v_mad_u64_u32 v[12:13], null, s1, v12, v[2:3]
	s_lshl_b64 s[2:3], s[2:3], 1
	v_add_co_u32 v13, vcc_lo, v4, s10
	s_add_u32 s9, s18, s2
	s_addc_u32 s14, s19, s3
	s_mul_i32 s2, s17, s8
	s_mul_hi_u32 s3, s16, s8
	v_lshlrev_b64 v[5:6], 1, v[6:7]
	s_add_i32 s3, s3, s2
	s_mul_i32 s2, s16, s8
	v_add_co_ci_u32_e64 v14, null, s11, v12, vcc_lo
	s_lshl_b64 s[2:3], s[2:3], 1
	v_lshlrev_b32_e32 v2, 1, v15
	v_add_co_u32 v7, vcc_lo, v5, s2
	v_add_co_ci_u32_e64 v6, null, s3, v6, vcc_lo
	v_lshlrev_b64 v[4:5], 1, v[13:14]
	v_add_co_u32 v2, vcc_lo, v7, v2
	v_add_co_ci_u32_e64 v7, null, 0, v6, vcc_lo
	s_lshl_b64 s[0:1], s[0:1], 4
	v_add_co_u32 v4, vcc_lo, s9, v4
	v_add_co_ci_u32_e64 v5, null, s14, v5, vcc_lo
	v_add_co_u32 v6, vcc_lo, s12, v2
	v_add_co_ci_u32_e64 v7, null, s13, v7, vcc_lo
	v_mov_b32_e32 v2, 0
	s_mov_b64 s[2:3], 0
.LBB17_2:                               ; =>This Inner Loop Header: Depth=1
	global_load_ushort v12, v[6:7], off
	global_load_ushort v13, v[4:5], off
	s_add_u32 s2, s2, 8
	s_addc_u32 s3, s3, 0
	v_add_co_u32 v4, vcc_lo, v4, s0
	v_cmp_lt_i64_e64 s9, s[2:3], s[20:21]
	v_add_co_ci_u32_e64 v5, null, s1, v5, vcc_lo
	v_add_co_u32 v6, vcc_lo, v6, 16
	v_add_co_ci_u32_e64 v7, null, 0, v7, vcc_lo
	s_and_b32 vcc_lo, exec_lo, s9
	s_waitcnt vmcnt(1)
	ds_write_b16 v10, v12
	s_waitcnt vmcnt(0)
	ds_write_b16 v11, v13
	s_waitcnt lgkmcnt(0)
	s_barrier
	buffer_gl0_inv
	ds_read_u16 v20, v8 offset:32
	ds_read_u16 v21, v8 offset:96
	;; [unrolled: 1-line block ×3, first 2 shown]
	ds_read_b128 v[12:15], v9
	ds_read_b128 v[16:19], v9 offset:256
	ds_read_u16 v23, v8 offset:224
	ds_read_u16 v24, v8 offset:288
	;; [unrolled: 1-line block ×5, first 2 shown]
	s_waitcnt lgkmcnt(9)
	ds_read_u16_d16_hi v20, v8
	s_waitcnt lgkmcnt(9)
	ds_read_u16_d16_hi v21, v8 offset:64
	s_waitcnt lgkmcnt(9)
	ds_read_u16_d16_hi v22, v8 offset:128
	;; [unrolled: 2-line block ×7, first 2 shown]
	s_waitcnt lgkmcnt(0)
	s_barrier
	buffer_gl0_inv
	v_pk_fma_f16 v3, v20, v12, v3 op_sel_hi:[1,0,1]
	v_pk_fma_f16 v2, v20, v16, v2 op_sel_hi:[1,0,1]
	v_pk_fma_f16 v3, v21, v12, v3 op_sel:[0,1,0]
	v_pk_fma_f16 v2, v21, v16, v2 op_sel:[0,1,0]
	v_pk_fma_f16 v3, v22, v13, v3 op_sel_hi:[1,0,1]
	v_pk_fma_f16 v2, v22, v17, v2 op_sel_hi:[1,0,1]
	v_pk_fma_f16 v3, v23, v13, v3 op_sel:[0,1,0]
	v_pk_fma_f16 v2, v23, v17, v2 op_sel:[0,1,0]
	v_pk_fma_f16 v3, v24, v14, v3 op_sel_hi:[1,0,1]
	v_pk_fma_f16 v2, v24, v18, v2 op_sel_hi:[1,0,1]
	v_pk_fma_f16 v3, v25, v14, v3 op_sel:[0,1,0]
	v_pk_fma_f16 v2, v25, v18, v2 op_sel:[0,1,0]
	v_pk_fma_f16 v3, v26, v15, v3 op_sel_hi:[1,0,1]
	v_pk_fma_f16 v2, v26, v19, v2 op_sel_hi:[1,0,1]
	v_pk_fma_f16 v3, v27, v15, v3 op_sel:[0,1,0]
	v_pk_fma_f16 v2, v27, v19, v2 op_sel:[0,1,0]
	s_cbranch_vccnz .LBB17_2
	s_branch .LBB17_4
.LBB17_3:
	v_mov_b32_e32 v2, 0
.LBB17_4:
	s_clause 0x3
	s_load_dwordx4 s[0:3], s[4:5], 0x78
	s_load_dword s9, s[4:5], 0x50
	s_load_dwordx8 s[12:19], s[4:5], 0x58
	s_load_dword s4, s[4:5], 0x18
	v_add_co_u32 v7, s5, s6, v0
	v_add_co_ci_u32_e64 v8, null, s7, 0, s5
	v_add_co_u32 v6, s5, s10, v1
	v_add_co_ci_u32_e64 v9, null, s11, 0, s5
	v_lshlrev_b64 v[0:1], 1, v[7:8]
	v_lshrrev_b32_e32 v5, 16, v3
	v_lshrrev_b32_e32 v4, 16, v2
	s_waitcnt lgkmcnt(0)
	s_mul_i32 s3, s3, s8
	s_mul_hi_u32 s5, s2, s8
	v_mul_lo_u32 v7, v9, s0
	v_mul_lo_u32 v8, v6, s1
	s_mul_i32 s2, s2, s8
	v_cmp_neq_f16_e64 s6, s9, 0
	s_add_i32 s3, s5, s3
	s_mov_b32 s5, 0
	s_lshl_b64 s[2:3], s[2:3], 1
	s_add_u32 s2, s18, s2
	s_addc_u32 s3, s19, s3
	s_and_b32 vcc_lo, exec_lo, s6
	s_cbranch_vccnz .LBB17_8
; %bb.5:
	v_mad_u64_u32 v[10:11], null, v6, s0, 0
	s_lshl_b64 s[6:7], s[0:1], 5
	v_mul_f16_sdwa v14, s4, v3 dst_sel:DWORD dst_unused:UNUSED_PAD src0_sel:DWORD src1_sel:WORD_1
	v_mul_f16_e32 v15, s4, v3
	v_mul_f16_sdwa v16, s4, v2 dst_sel:DWORD dst_unused:UNUSED_PAD src0_sel:DWORD src1_sel:WORD_1
	v_mul_f16_e32 v17, s4, v2
	v_add3_u32 v11, v11, v8, v7
	v_lshlrev_b64 v[10:11], 1, v[10:11]
	v_add_co_u32 v10, vcc_lo, s2, v10
	v_add_co_ci_u32_e64 v11, null, s3, v11, vcc_lo
	v_add_co_u32 v12, vcc_lo, v10, s6
	v_add_co_ci_u32_e64 v13, null, s7, v11, vcc_lo
	v_add_co_u32 v10, vcc_lo, v10, v0
	v_add_co_ci_u32_e64 v11, null, v11, v1, vcc_lo
	v_add_co_u32 v12, vcc_lo, v12, v0
	v_add_co_ci_u32_e64 v13, null, v13, v1, vcc_lo
	global_store_short v[10:11], v14, off
	global_store_short v[10:11], v15, off offset:32
	global_store_short v[12:13], v16, off
	global_store_short v[12:13], v17, off offset:32
	s_andn2_b32 vcc_lo, exec_lo, s5
	s_cbranch_vccnz .LBB17_7
.LBB17_6:
	v_mul_lo_u32 v11, v9, s14
	v_mul_lo_u32 v12, v6, s15
	v_mad_u64_u32 v[9:10], null, v6, s14, 0
	s_mul_i32 s5, s17, s8
	s_mul_hi_u32 s7, s16, s8
	s_mul_i32 s6, s16, s8
	s_add_i32 s7, s7, s5
	s_lshl_b64 s[6:7], s[6:7], 1
	v_add3_u32 v10, v10, v12, v11
	s_add_u32 s5, s12, s6
	s_addc_u32 s6, s13, s7
	v_mad_u64_u32 v[11:12], null, v6, s0, 0
	v_lshlrev_b64 v[9:10], 1, v[9:10]
	s_lshl_b64 s[0:1], s[0:1], 5
	v_add3_u32 v12, v12, v8, v7
	v_add_co_u32 v13, vcc_lo, s5, v9
	v_add_co_ci_u32_e64 v14, null, s6, v10, vcc_lo
	v_lshlrev_b64 v[6:7], 1, v[11:12]
	v_add_co_u32 v9, vcc_lo, v13, v0
	v_add_co_ci_u32_e64 v10, null, v14, v1, vcc_lo
	v_add_co_u32 v11, vcc_lo, s2, v6
	global_load_ushort v15, v[9:10], off
	v_add_co_ci_u32_e64 v12, null, s3, v7, vcc_lo
	v_add_co_u32 v6, vcc_lo, v11, v0
	s_lshl_b64 s[2:3], s[14:15], 5
	v_add_co_ci_u32_e64 v7, null, v12, v1, vcc_lo
	s_waitcnt vmcnt(0)
	v_mul_f16_e32 v8, s9, v15
	v_fmac_f16_e32 v8, s4, v5
	global_store_short v[6:7], v8, off
	global_load_ushort v5, v[9:10], off offset:32
	v_add_co_u32 v8, vcc_lo, v13, s2
	v_add_co_ci_u32_e64 v9, null, s3, v14, vcc_lo
	v_add_co_u32 v8, vcc_lo, v8, v0
	v_add_co_ci_u32_e64 v9, null, v9, v1, vcc_lo
	s_waitcnt vmcnt(0)
	v_mul_f16_e32 v5, s9, v5
	v_fmac_f16_e32 v5, s4, v3
	global_store_short v[6:7], v5, off offset:32
	global_load_ushort v3, v[8:9], off
	v_add_co_u32 v5, vcc_lo, v11, s0
	v_add_co_ci_u32_e64 v6, null, s1, v12, vcc_lo
	v_add_co_u32 v0, vcc_lo, v5, v0
	v_add_co_ci_u32_e64 v1, null, v6, v1, vcc_lo
	s_waitcnt vmcnt(0)
	v_mul_f16_e32 v3, s9, v3
	v_fmac_f16_e32 v3, s4, v4
	global_store_short v[0:1], v3, off
	global_load_ushort v3, v[8:9], off offset:32
	s_waitcnt vmcnt(0)
	v_mul_f16_e32 v3, s9, v3
	v_fmac_f16_e32 v3, s4, v2
	global_store_short v[0:1], v3, off offset:32
.LBB17_7:
	s_endpgm
.LBB17_8:
	s_branch .LBB17_6
	.section	.rodata,"a",@progbits
	.p2align	6, 0x0
	.amdhsa_kernel _ZN12_GLOBAL__N_127rocblas_gemm_batched_kernelIDF16_Li16ELi16ELi32ELi32ELi8ELi32ELi8ELi8ELi32ELc67ELc84EKDF16_S1_DF16_EEvlllT_PT11_llS4_llS2_PT12_llPT13_lli
		.amdhsa_group_segment_fixed_size 1024
		.amdhsa_private_segment_fixed_size 0
		.amdhsa_kernarg_size 140
		.amdhsa_user_sgpr_count 6
		.amdhsa_user_sgpr_private_segment_buffer 1
		.amdhsa_user_sgpr_dispatch_ptr 0
		.amdhsa_user_sgpr_queue_ptr 0
		.amdhsa_user_sgpr_kernarg_segment_ptr 1
		.amdhsa_user_sgpr_dispatch_id 0
		.amdhsa_user_sgpr_flat_scratch_init 0
		.amdhsa_user_sgpr_private_segment_size 0
		.amdhsa_wavefront_size32 1
		.amdhsa_uses_dynamic_stack 0
		.amdhsa_system_sgpr_private_segment_wavefront_offset 0
		.amdhsa_system_sgpr_workgroup_id_x 1
		.amdhsa_system_sgpr_workgroup_id_y 1
		.amdhsa_system_sgpr_workgroup_id_z 1
		.amdhsa_system_sgpr_workgroup_info 0
		.amdhsa_system_vgpr_workitem_id 1
		.amdhsa_next_free_vgpr 28
		.amdhsa_next_free_sgpr 22
		.amdhsa_reserve_vcc 1
		.amdhsa_reserve_flat_scratch 0
		.amdhsa_float_round_mode_32 0
		.amdhsa_float_round_mode_16_64 0
		.amdhsa_float_denorm_mode_32 3
		.amdhsa_float_denorm_mode_16_64 3
		.amdhsa_dx10_clamp 1
		.amdhsa_ieee_mode 1
		.amdhsa_fp16_overflow 0
		.amdhsa_workgroup_processor_mode 1
		.amdhsa_memory_ordered 1
		.amdhsa_forward_progress 1
		.amdhsa_shared_vgpr_count 0
		.amdhsa_exception_fp_ieee_invalid_op 0
		.amdhsa_exception_fp_denorm_src 0
		.amdhsa_exception_fp_ieee_div_zero 0
		.amdhsa_exception_fp_ieee_overflow 0
		.amdhsa_exception_fp_ieee_underflow 0
		.amdhsa_exception_fp_ieee_inexact 0
		.amdhsa_exception_int_div_zero 0
	.end_amdhsa_kernel
	.section	.text._ZN12_GLOBAL__N_127rocblas_gemm_batched_kernelIDF16_Li16ELi16ELi32ELi32ELi8ELi32ELi8ELi8ELi32ELc67ELc84EKDF16_S1_DF16_EEvlllT_PT11_llS4_llS2_PT12_llPT13_lli,"axG",@progbits,_ZN12_GLOBAL__N_127rocblas_gemm_batched_kernelIDF16_Li16ELi16ELi32ELi32ELi8ELi32ELi8ELi8ELi32ELc67ELc84EKDF16_S1_DF16_EEvlllT_PT11_llS4_llS2_PT12_llPT13_lli,comdat
.Lfunc_end17:
	.size	_ZN12_GLOBAL__N_127rocblas_gemm_batched_kernelIDF16_Li16ELi16ELi32ELi32ELi8ELi32ELi8ELi8ELi32ELc67ELc84EKDF16_S1_DF16_EEvlllT_PT11_llS4_llS2_PT12_llPT13_lli, .Lfunc_end17-_ZN12_GLOBAL__N_127rocblas_gemm_batched_kernelIDF16_Li16ELi16ELi32ELi32ELi8ELi32ELi8ELi8ELi32ELc67ELc84EKDF16_S1_DF16_EEvlllT_PT11_llS4_llS2_PT12_llPT13_lli
                                        ; -- End function
	.set _ZN12_GLOBAL__N_127rocblas_gemm_batched_kernelIDF16_Li16ELi16ELi32ELi32ELi8ELi32ELi8ELi8ELi32ELc67ELc84EKDF16_S1_DF16_EEvlllT_PT11_llS4_llS2_PT12_llPT13_lli.num_vgpr, 28
	.set _ZN12_GLOBAL__N_127rocblas_gemm_batched_kernelIDF16_Li16ELi16ELi32ELi32ELi8ELi32ELi8ELi8ELi32ELc67ELc84EKDF16_S1_DF16_EEvlllT_PT11_llS4_llS2_PT12_llPT13_lli.num_agpr, 0
	.set _ZN12_GLOBAL__N_127rocblas_gemm_batched_kernelIDF16_Li16ELi16ELi32ELi32ELi8ELi32ELi8ELi8ELi32ELc67ELc84EKDF16_S1_DF16_EEvlllT_PT11_llS4_llS2_PT12_llPT13_lli.numbered_sgpr, 22
	.set _ZN12_GLOBAL__N_127rocblas_gemm_batched_kernelIDF16_Li16ELi16ELi32ELi32ELi8ELi32ELi8ELi8ELi32ELc67ELc84EKDF16_S1_DF16_EEvlllT_PT11_llS4_llS2_PT12_llPT13_lli.num_named_barrier, 0
	.set _ZN12_GLOBAL__N_127rocblas_gemm_batched_kernelIDF16_Li16ELi16ELi32ELi32ELi8ELi32ELi8ELi8ELi32ELc67ELc84EKDF16_S1_DF16_EEvlllT_PT11_llS4_llS2_PT12_llPT13_lli.private_seg_size, 0
	.set _ZN12_GLOBAL__N_127rocblas_gemm_batched_kernelIDF16_Li16ELi16ELi32ELi32ELi8ELi32ELi8ELi8ELi32ELc67ELc84EKDF16_S1_DF16_EEvlllT_PT11_llS4_llS2_PT12_llPT13_lli.uses_vcc, 1
	.set _ZN12_GLOBAL__N_127rocblas_gemm_batched_kernelIDF16_Li16ELi16ELi32ELi32ELi8ELi32ELi8ELi8ELi32ELc67ELc84EKDF16_S1_DF16_EEvlllT_PT11_llS4_llS2_PT12_llPT13_lli.uses_flat_scratch, 0
	.set _ZN12_GLOBAL__N_127rocblas_gemm_batched_kernelIDF16_Li16ELi16ELi32ELi32ELi8ELi32ELi8ELi8ELi32ELc67ELc84EKDF16_S1_DF16_EEvlllT_PT11_llS4_llS2_PT12_llPT13_lli.has_dyn_sized_stack, 0
	.set _ZN12_GLOBAL__N_127rocblas_gemm_batched_kernelIDF16_Li16ELi16ELi32ELi32ELi8ELi32ELi8ELi8ELi32ELc67ELc84EKDF16_S1_DF16_EEvlllT_PT11_llS4_llS2_PT12_llPT13_lli.has_recursion, 0
	.set _ZN12_GLOBAL__N_127rocblas_gemm_batched_kernelIDF16_Li16ELi16ELi32ELi32ELi8ELi32ELi8ELi8ELi32ELc67ELc84EKDF16_S1_DF16_EEvlllT_PT11_llS4_llS2_PT12_llPT13_lli.has_indirect_call, 0
	.section	.AMDGPU.csdata,"",@progbits
; Kernel info:
; codeLenInByte = 1468
; TotalNumSgprs: 24
; NumVgprs: 28
; ScratchSize: 0
; MemoryBound: 0
; FloatMode: 240
; IeeeMode: 1
; LDSByteSize: 1024 bytes/workgroup (compile time only)
; SGPRBlocks: 0
; VGPRBlocks: 3
; NumSGPRsForWavesPerEU: 24
; NumVGPRsForWavesPerEU: 28
; Occupancy: 16
; WaveLimiterHint : 0
; COMPUTE_PGM_RSRC2:SCRATCH_EN: 0
; COMPUTE_PGM_RSRC2:USER_SGPR: 6
; COMPUTE_PGM_RSRC2:TRAP_HANDLER: 0
; COMPUTE_PGM_RSRC2:TGID_X_EN: 1
; COMPUTE_PGM_RSRC2:TGID_Y_EN: 1
; COMPUTE_PGM_RSRC2:TGID_Z_EN: 1
; COMPUTE_PGM_RSRC2:TIDIG_COMP_CNT: 1
	.section	.text._ZN12_GLOBAL__N_127rocblas_gemm_batched_kernelIDF16_Li16ELi16ELi32ELi32ELi8ELi32ELi8ELi8ELi32ELc78ELc67EKDF16_S1_DF16_EEvlllT_PT11_llS4_llS2_PT12_llPT13_lli,"axG",@progbits,_ZN12_GLOBAL__N_127rocblas_gemm_batched_kernelIDF16_Li16ELi16ELi32ELi32ELi8ELi32ELi8ELi8ELi32ELc78ELc67EKDF16_S1_DF16_EEvlllT_PT11_llS4_llS2_PT12_llPT13_lli,comdat
	.globl	_ZN12_GLOBAL__N_127rocblas_gemm_batched_kernelIDF16_Li16ELi16ELi32ELi32ELi8ELi32ELi8ELi8ELi32ELc78ELc67EKDF16_S1_DF16_EEvlllT_PT11_llS4_llS2_PT12_llPT13_lli ; -- Begin function _ZN12_GLOBAL__N_127rocblas_gemm_batched_kernelIDF16_Li16ELi16ELi32ELi32ELi8ELi32ELi8ELi8ELi32ELc78ELc67EKDF16_S1_DF16_EEvlllT_PT11_llS4_llS2_PT12_llPT13_lli
	.p2align	8
	.type	_ZN12_GLOBAL__N_127rocblas_gemm_batched_kernelIDF16_Li16ELi16ELi32ELi32ELi8ELi32ELi8ELi8ELi32ELc78ELc67EKDF16_S1_DF16_EEvlllT_PT11_llS4_llS2_PT12_llPT13_lli,@function
_ZN12_GLOBAL__N_127rocblas_gemm_batched_kernelIDF16_Li16ELi16ELi32ELi32ELi8ELi32ELi8ELi8ELi32ELc78ELc67EKDF16_S1_DF16_EEvlllT_PT11_llS4_llS2_PT12_llPT13_lli: ; @_ZN12_GLOBAL__N_127rocblas_gemm_batched_kernelIDF16_Li16ELi16ELi32ELi32ELi8ELi32ELi8ELi8ELi32ELc78ELc67EKDF16_S1_DF16_EEvlllT_PT11_llS4_llS2_PT12_llPT13_lli
; %bb.0:
	s_load_dwordx2 s[20:21], s[4:5], 0x10
	s_mov_b32 s0, s7
	v_mov_b32_e32 v3, 0
	s_ashr_i32 s7, s6, 31
	s_ashr_i32 s1, s0, 31
	s_lshl_b64 s[6:7], s[6:7], 5
	s_lshl_b64 s[10:11], s[0:1], 5
	s_waitcnt lgkmcnt(0)
	v_cmp_lt_i64_e64 s2, s[20:21], 1
	s_and_b32 vcc_lo, exec_lo, s2
	s_cbranch_vccnz .LBB18_3
; %bb.1:
	v_lshlrev_b32_e32 v4, 4, v1
	s_clause 0x1
	s_load_dwordx4 s[0:3], s[4:5], 0x40
	s_load_dwordx8 s[12:19], s[4:5], 0x20
	v_and_b32_e32 v12, 7, v0
	v_lshlrev_b32_e32 v8, 1, v0
	v_add_nc_u32_e32 v5, v4, v0
	v_add_nc_u32_e32 v9, 0x200, v4
	v_lshlrev_b32_e32 v6, 1, v12
	v_and_b32_e32 v15, 31, v5
	v_lshrrev_b32_e32 v2, 3, v5
	v_lshrrev_b32_e32 v14, 5, v5
	v_lshlrev_b32_e32 v5, 1, v15
	v_lshl_or_b32 v6, v2, 4, v6
	v_lshl_or_b32 v10, v14, 6, v5
	s_waitcnt lgkmcnt(0)
	v_mad_u64_u32 v[4:5], null, s0, v12, v[2:3]
	v_add_nc_u32_e32 v11, 0x200, v6
	v_mad_u64_u32 v[6:7], null, s14, v14, s[6:7]
	s_mul_i32 s3, s3, s8
	s_mul_hi_u32 s9, s2, s8
	s_mul_i32 s2, s2, s8
	v_mov_b32_e32 v2, v5
	v_add_co_u32 v4, vcc_lo, v4, s10
	v_mov_b32_e32 v5, v7
	s_add_i32 s3, s9, s3
	v_mad_u64_u32 v[12:13], null, s1, v12, v[2:3]
	s_lshl_b64 s[2:3], s[2:3], 1
	v_mad_u64_u32 v[13:14], null, s15, v14, v[5:6]
	s_mul_i32 s17, s17, s8
	s_mul_hi_u32 s9, s16, s8
	s_add_u32 s18, s18, s2
	v_add_co_ci_u32_e64 v5, null, s11, v12, vcc_lo
	v_add_co_u32 v6, vcc_lo, v6, v15
	v_add_co_ci_u32_e64 v7, null, 0, v13, vcc_lo
	v_lshlrev_b64 v[4:5], 1, v[4:5]
	s_mul_i32 s16, s16, s8
	s_addc_u32 s19, s19, s3
	s_add_i32 s17, s9, s17
	v_lshlrev_b64 v[6:7], 1, v[6:7]
	s_lshl_b64 s[2:3], s[16:17], 1
	s_lshl_b64 s[0:1], s[0:1], 4
	s_add_u32 s2, s12, s2
	v_add_co_u32 v4, vcc_lo, s18, v4
	v_add_co_ci_u32_e64 v5, null, s19, v5, vcc_lo
	s_addc_u32 s3, s13, s3
	v_add_co_u32 v6, vcc_lo, s2, v6
	v_add_co_ci_u32_e64 v7, null, s3, v7, vcc_lo
	v_mov_b32_e32 v2, 0
	s_lshl_b64 s[2:3], s[14:15], 4
	s_mov_b64 s[12:13], 0
.LBB18_2:                               ; =>This Inner Loop Header: Depth=1
	global_load_ushort v12, v[6:7], off
	global_load_ushort v13, v[4:5], off
	s_add_u32 s12, s12, 8
	s_addc_u32 s13, s13, 0
	v_add_co_u32 v4, vcc_lo, v4, s0
	v_cmp_lt_i64_e64 s9, s[12:13], s[20:21]
	v_add_co_ci_u32_e64 v5, null, s1, v5, vcc_lo
	v_add_co_u32 v6, vcc_lo, v6, s2
	v_add_co_ci_u32_e64 v7, null, s3, v7, vcc_lo
	s_and_b32 vcc_lo, exec_lo, s9
	s_waitcnt vmcnt(1)
	ds_write_b16 v10, v12
	s_waitcnt vmcnt(0)
	ds_write_b16 v11, v13
	s_waitcnt lgkmcnt(0)
	s_barrier
	buffer_gl0_inv
	ds_read_u16 v20, v8 offset:32
	ds_read_u16 v21, v8 offset:96
	;; [unrolled: 1-line block ×3, first 2 shown]
	ds_read_b128 v[12:15], v9
	ds_read_b128 v[16:19], v9 offset:256
	ds_read_u16 v23, v8 offset:224
	ds_read_u16 v24, v8 offset:288
	;; [unrolled: 1-line block ×5, first 2 shown]
	s_waitcnt lgkmcnt(9)
	ds_read_u16_d16_hi v20, v8
	s_waitcnt lgkmcnt(9)
	ds_read_u16_d16_hi v21, v8 offset:64
	s_waitcnt lgkmcnt(9)
	ds_read_u16_d16_hi v22, v8 offset:128
	;; [unrolled: 2-line block ×7, first 2 shown]
	s_waitcnt lgkmcnt(0)
	s_barrier
	buffer_gl0_inv
	v_pk_fma_f16 v3, v20, v12, v3 op_sel_hi:[1,0,1]
	v_pk_fma_f16 v2, v20, v16, v2 op_sel_hi:[1,0,1]
	v_pk_fma_f16 v3, v21, v12, v3 op_sel:[0,1,0]
	v_pk_fma_f16 v2, v21, v16, v2 op_sel:[0,1,0]
	v_pk_fma_f16 v3, v22, v13, v3 op_sel_hi:[1,0,1]
	v_pk_fma_f16 v2, v22, v17, v2 op_sel_hi:[1,0,1]
	v_pk_fma_f16 v3, v23, v13, v3 op_sel:[0,1,0]
	v_pk_fma_f16 v2, v23, v17, v2 op_sel:[0,1,0]
	;; [unrolled: 4-line block ×4, first 2 shown]
	s_cbranch_vccnz .LBB18_2
	s_branch .LBB18_4
.LBB18_3:
	v_mov_b32_e32 v2, 0
.LBB18_4:
	s_clause 0x3
	s_load_dwordx4 s[0:3], s[4:5], 0x78
	s_load_dword s9, s[4:5], 0x50
	s_load_dwordx8 s[12:19], s[4:5], 0x58
	s_load_dword s4, s[4:5], 0x18
	v_add_co_u32 v7, s5, s6, v0
	v_add_co_ci_u32_e64 v8, null, s7, 0, s5
	v_add_co_u32 v6, s5, s10, v1
	v_add_co_ci_u32_e64 v9, null, s11, 0, s5
	v_lshlrev_b64 v[0:1], 1, v[7:8]
	v_lshrrev_b32_e32 v5, 16, v3
	v_lshrrev_b32_e32 v4, 16, v2
	s_waitcnt lgkmcnt(0)
	s_mul_i32 s3, s3, s8
	s_mul_hi_u32 s5, s2, s8
	v_mul_lo_u32 v7, v9, s0
	v_mul_lo_u32 v8, v6, s1
	s_mul_i32 s2, s2, s8
	v_cmp_neq_f16_e64 s6, s9, 0
	s_add_i32 s3, s5, s3
	s_mov_b32 s5, 0
	s_lshl_b64 s[2:3], s[2:3], 1
	s_add_u32 s2, s18, s2
	s_addc_u32 s3, s19, s3
	s_and_b32 vcc_lo, exec_lo, s6
	s_cbranch_vccnz .LBB18_8
; %bb.5:
	v_mad_u64_u32 v[10:11], null, v6, s0, 0
	s_lshl_b64 s[6:7], s[0:1], 5
	v_mul_f16_sdwa v14, s4, v3 dst_sel:DWORD dst_unused:UNUSED_PAD src0_sel:DWORD src1_sel:WORD_1
	v_mul_f16_e32 v15, s4, v3
	v_mul_f16_sdwa v16, s4, v2 dst_sel:DWORD dst_unused:UNUSED_PAD src0_sel:DWORD src1_sel:WORD_1
	v_mul_f16_e32 v17, s4, v2
	v_add3_u32 v11, v11, v8, v7
	v_lshlrev_b64 v[10:11], 1, v[10:11]
	v_add_co_u32 v10, vcc_lo, s2, v10
	v_add_co_ci_u32_e64 v11, null, s3, v11, vcc_lo
	v_add_co_u32 v12, vcc_lo, v10, s6
	v_add_co_ci_u32_e64 v13, null, s7, v11, vcc_lo
	;; [unrolled: 2-line block ×4, first 2 shown]
	global_store_short v[10:11], v14, off
	global_store_short v[10:11], v15, off offset:32
	global_store_short v[12:13], v16, off
	global_store_short v[12:13], v17, off offset:32
	s_andn2_b32 vcc_lo, exec_lo, s5
	s_cbranch_vccnz .LBB18_7
.LBB18_6:
	v_mul_lo_u32 v11, v9, s14
	v_mul_lo_u32 v12, v6, s15
	v_mad_u64_u32 v[9:10], null, v6, s14, 0
	s_mul_i32 s5, s17, s8
	s_mul_hi_u32 s7, s16, s8
	s_mul_i32 s6, s16, s8
	s_add_i32 s7, s7, s5
	s_lshl_b64 s[6:7], s[6:7], 1
	v_add3_u32 v10, v10, v12, v11
	s_add_u32 s5, s12, s6
	s_addc_u32 s6, s13, s7
	v_mad_u64_u32 v[11:12], null, v6, s0, 0
	v_lshlrev_b64 v[9:10], 1, v[9:10]
	s_lshl_b64 s[0:1], s[0:1], 5
	v_add3_u32 v12, v12, v8, v7
	v_add_co_u32 v13, vcc_lo, s5, v9
	v_add_co_ci_u32_e64 v14, null, s6, v10, vcc_lo
	v_lshlrev_b64 v[6:7], 1, v[11:12]
	v_add_co_u32 v9, vcc_lo, v13, v0
	v_add_co_ci_u32_e64 v10, null, v14, v1, vcc_lo
	v_add_co_u32 v11, vcc_lo, s2, v6
	global_load_ushort v15, v[9:10], off
	v_add_co_ci_u32_e64 v12, null, s3, v7, vcc_lo
	v_add_co_u32 v6, vcc_lo, v11, v0
	s_lshl_b64 s[2:3], s[14:15], 5
	v_add_co_ci_u32_e64 v7, null, v12, v1, vcc_lo
	s_waitcnt vmcnt(0)
	v_mul_f16_e32 v8, s9, v15
	v_fmac_f16_e32 v8, s4, v5
	global_store_short v[6:7], v8, off
	global_load_ushort v5, v[9:10], off offset:32
	v_add_co_u32 v8, vcc_lo, v13, s2
	v_add_co_ci_u32_e64 v9, null, s3, v14, vcc_lo
	v_add_co_u32 v8, vcc_lo, v8, v0
	v_add_co_ci_u32_e64 v9, null, v9, v1, vcc_lo
	s_waitcnt vmcnt(0)
	v_mul_f16_e32 v5, s9, v5
	v_fmac_f16_e32 v5, s4, v3
	global_store_short v[6:7], v5, off offset:32
	global_load_ushort v3, v[8:9], off
	v_add_co_u32 v5, vcc_lo, v11, s0
	v_add_co_ci_u32_e64 v6, null, s1, v12, vcc_lo
	v_add_co_u32 v0, vcc_lo, v5, v0
	v_add_co_ci_u32_e64 v1, null, v6, v1, vcc_lo
	s_waitcnt vmcnt(0)
	v_mul_f16_e32 v3, s9, v3
	v_fmac_f16_e32 v3, s4, v4
	global_store_short v[0:1], v3, off
	global_load_ushort v3, v[8:9], off offset:32
	s_waitcnt vmcnt(0)
	v_mul_f16_e32 v3, s9, v3
	v_fmac_f16_e32 v3, s4, v2
	global_store_short v[0:1], v3, off offset:32
.LBB18_7:
	s_endpgm
.LBB18_8:
	s_branch .LBB18_6
	.section	.rodata,"a",@progbits
	.p2align	6, 0x0
	.amdhsa_kernel _ZN12_GLOBAL__N_127rocblas_gemm_batched_kernelIDF16_Li16ELi16ELi32ELi32ELi8ELi32ELi8ELi8ELi32ELc78ELc67EKDF16_S1_DF16_EEvlllT_PT11_llS4_llS2_PT12_llPT13_lli
		.amdhsa_group_segment_fixed_size 1024
		.amdhsa_private_segment_fixed_size 0
		.amdhsa_kernarg_size 140
		.amdhsa_user_sgpr_count 6
		.amdhsa_user_sgpr_private_segment_buffer 1
		.amdhsa_user_sgpr_dispatch_ptr 0
		.amdhsa_user_sgpr_queue_ptr 0
		.amdhsa_user_sgpr_kernarg_segment_ptr 1
		.amdhsa_user_sgpr_dispatch_id 0
		.amdhsa_user_sgpr_flat_scratch_init 0
		.amdhsa_user_sgpr_private_segment_size 0
		.amdhsa_wavefront_size32 1
		.amdhsa_uses_dynamic_stack 0
		.amdhsa_system_sgpr_private_segment_wavefront_offset 0
		.amdhsa_system_sgpr_workgroup_id_x 1
		.amdhsa_system_sgpr_workgroup_id_y 1
		.amdhsa_system_sgpr_workgroup_id_z 1
		.amdhsa_system_sgpr_workgroup_info 0
		.amdhsa_system_vgpr_workitem_id 1
		.amdhsa_next_free_vgpr 28
		.amdhsa_next_free_sgpr 22
		.amdhsa_reserve_vcc 1
		.amdhsa_reserve_flat_scratch 0
		.amdhsa_float_round_mode_32 0
		.amdhsa_float_round_mode_16_64 0
		.amdhsa_float_denorm_mode_32 3
		.amdhsa_float_denorm_mode_16_64 3
		.amdhsa_dx10_clamp 1
		.amdhsa_ieee_mode 1
		.amdhsa_fp16_overflow 0
		.amdhsa_workgroup_processor_mode 1
		.amdhsa_memory_ordered 1
		.amdhsa_forward_progress 1
		.amdhsa_shared_vgpr_count 0
		.amdhsa_exception_fp_ieee_invalid_op 0
		.amdhsa_exception_fp_denorm_src 0
		.amdhsa_exception_fp_ieee_div_zero 0
		.amdhsa_exception_fp_ieee_overflow 0
		.amdhsa_exception_fp_ieee_underflow 0
		.amdhsa_exception_fp_ieee_inexact 0
		.amdhsa_exception_int_div_zero 0
	.end_amdhsa_kernel
	.section	.text._ZN12_GLOBAL__N_127rocblas_gemm_batched_kernelIDF16_Li16ELi16ELi32ELi32ELi8ELi32ELi8ELi8ELi32ELc78ELc67EKDF16_S1_DF16_EEvlllT_PT11_llS4_llS2_PT12_llPT13_lli,"axG",@progbits,_ZN12_GLOBAL__N_127rocblas_gemm_batched_kernelIDF16_Li16ELi16ELi32ELi32ELi8ELi32ELi8ELi8ELi32ELc78ELc67EKDF16_S1_DF16_EEvlllT_PT11_llS4_llS2_PT12_llPT13_lli,comdat
.Lfunc_end18:
	.size	_ZN12_GLOBAL__N_127rocblas_gemm_batched_kernelIDF16_Li16ELi16ELi32ELi32ELi8ELi32ELi8ELi8ELi32ELc78ELc67EKDF16_S1_DF16_EEvlllT_PT11_llS4_llS2_PT12_llPT13_lli, .Lfunc_end18-_ZN12_GLOBAL__N_127rocblas_gemm_batched_kernelIDF16_Li16ELi16ELi32ELi32ELi8ELi32ELi8ELi8ELi32ELc78ELc67EKDF16_S1_DF16_EEvlllT_PT11_llS4_llS2_PT12_llPT13_lli
                                        ; -- End function
	.set _ZN12_GLOBAL__N_127rocblas_gemm_batched_kernelIDF16_Li16ELi16ELi32ELi32ELi8ELi32ELi8ELi8ELi32ELc78ELc67EKDF16_S1_DF16_EEvlllT_PT11_llS4_llS2_PT12_llPT13_lli.num_vgpr, 28
	.set _ZN12_GLOBAL__N_127rocblas_gemm_batched_kernelIDF16_Li16ELi16ELi32ELi32ELi8ELi32ELi8ELi8ELi32ELc78ELc67EKDF16_S1_DF16_EEvlllT_PT11_llS4_llS2_PT12_llPT13_lli.num_agpr, 0
	.set _ZN12_GLOBAL__N_127rocblas_gemm_batched_kernelIDF16_Li16ELi16ELi32ELi32ELi8ELi32ELi8ELi8ELi32ELc78ELc67EKDF16_S1_DF16_EEvlllT_PT11_llS4_llS2_PT12_llPT13_lli.numbered_sgpr, 22
	.set _ZN12_GLOBAL__N_127rocblas_gemm_batched_kernelIDF16_Li16ELi16ELi32ELi32ELi8ELi32ELi8ELi8ELi32ELc78ELc67EKDF16_S1_DF16_EEvlllT_PT11_llS4_llS2_PT12_llPT13_lli.num_named_barrier, 0
	.set _ZN12_GLOBAL__N_127rocblas_gemm_batched_kernelIDF16_Li16ELi16ELi32ELi32ELi8ELi32ELi8ELi8ELi32ELc78ELc67EKDF16_S1_DF16_EEvlllT_PT11_llS4_llS2_PT12_llPT13_lli.private_seg_size, 0
	.set _ZN12_GLOBAL__N_127rocblas_gemm_batched_kernelIDF16_Li16ELi16ELi32ELi32ELi8ELi32ELi8ELi8ELi32ELc78ELc67EKDF16_S1_DF16_EEvlllT_PT11_llS4_llS2_PT12_llPT13_lli.uses_vcc, 1
	.set _ZN12_GLOBAL__N_127rocblas_gemm_batched_kernelIDF16_Li16ELi16ELi32ELi32ELi8ELi32ELi8ELi8ELi32ELc78ELc67EKDF16_S1_DF16_EEvlllT_PT11_llS4_llS2_PT12_llPT13_lli.uses_flat_scratch, 0
	.set _ZN12_GLOBAL__N_127rocblas_gemm_batched_kernelIDF16_Li16ELi16ELi32ELi32ELi8ELi32ELi8ELi8ELi32ELc78ELc67EKDF16_S1_DF16_EEvlllT_PT11_llS4_llS2_PT12_llPT13_lli.has_dyn_sized_stack, 0
	.set _ZN12_GLOBAL__N_127rocblas_gemm_batched_kernelIDF16_Li16ELi16ELi32ELi32ELi8ELi32ELi8ELi8ELi32ELc78ELc67EKDF16_S1_DF16_EEvlllT_PT11_llS4_llS2_PT12_llPT13_lli.has_recursion, 0
	.set _ZN12_GLOBAL__N_127rocblas_gemm_batched_kernelIDF16_Li16ELi16ELi32ELi32ELi8ELi32ELi8ELi8ELi32ELc78ELc67EKDF16_S1_DF16_EEvlllT_PT11_llS4_llS2_PT12_llPT13_lli.has_indirect_call, 0
	.section	.AMDGPU.csdata,"",@progbits
; Kernel info:
; codeLenInByte = 1432
; TotalNumSgprs: 24
; NumVgprs: 28
; ScratchSize: 0
; MemoryBound: 0
; FloatMode: 240
; IeeeMode: 1
; LDSByteSize: 1024 bytes/workgroup (compile time only)
; SGPRBlocks: 0
; VGPRBlocks: 3
; NumSGPRsForWavesPerEU: 24
; NumVGPRsForWavesPerEU: 28
; Occupancy: 16
; WaveLimiterHint : 0
; COMPUTE_PGM_RSRC2:SCRATCH_EN: 0
; COMPUTE_PGM_RSRC2:USER_SGPR: 6
; COMPUTE_PGM_RSRC2:TRAP_HANDLER: 0
; COMPUTE_PGM_RSRC2:TGID_X_EN: 1
; COMPUTE_PGM_RSRC2:TGID_Y_EN: 1
; COMPUTE_PGM_RSRC2:TGID_Z_EN: 1
; COMPUTE_PGM_RSRC2:TIDIG_COMP_CNT: 1
	.section	.text._ZN12_GLOBAL__N_127rocblas_gemm_batched_kernelIDF16_Li16ELi16ELi32ELi32ELi8ELi32ELi8ELi8ELi32ELc84ELc67EKDF16_S1_DF16_EEvlllT_PT11_llS4_llS2_PT12_llPT13_lli,"axG",@progbits,_ZN12_GLOBAL__N_127rocblas_gemm_batched_kernelIDF16_Li16ELi16ELi32ELi32ELi8ELi32ELi8ELi8ELi32ELc84ELc67EKDF16_S1_DF16_EEvlllT_PT11_llS4_llS2_PT12_llPT13_lli,comdat
	.globl	_ZN12_GLOBAL__N_127rocblas_gemm_batched_kernelIDF16_Li16ELi16ELi32ELi32ELi8ELi32ELi8ELi8ELi32ELc84ELc67EKDF16_S1_DF16_EEvlllT_PT11_llS4_llS2_PT12_llPT13_lli ; -- Begin function _ZN12_GLOBAL__N_127rocblas_gemm_batched_kernelIDF16_Li16ELi16ELi32ELi32ELi8ELi32ELi8ELi8ELi32ELc84ELc67EKDF16_S1_DF16_EEvlllT_PT11_llS4_llS2_PT12_llPT13_lli
	.p2align	8
	.type	_ZN12_GLOBAL__N_127rocblas_gemm_batched_kernelIDF16_Li16ELi16ELi32ELi32ELi8ELi32ELi8ELi8ELi32ELc84ELc67EKDF16_S1_DF16_EEvlllT_PT11_llS4_llS2_PT12_llPT13_lli,@function
_ZN12_GLOBAL__N_127rocblas_gemm_batched_kernelIDF16_Li16ELi16ELi32ELi32ELi8ELi32ELi8ELi8ELi32ELc84ELc67EKDF16_S1_DF16_EEvlllT_PT11_llS4_llS2_PT12_llPT13_lli: ; @_ZN12_GLOBAL__N_127rocblas_gemm_batched_kernelIDF16_Li16ELi16ELi32ELi32ELi8ELi32ELi8ELi8ELi32ELc84ELc67EKDF16_S1_DF16_EEvlllT_PT11_llS4_llS2_PT12_llPT13_lli
; %bb.0:
	s_load_dwordx2 s[20:21], s[4:5], 0x10
	s_mov_b32 s0, s7
	v_mov_b32_e32 v3, 0
	s_ashr_i32 s7, s6, 31
	s_ashr_i32 s1, s0, 31
	s_lshl_b64 s[6:7], s[6:7], 5
	s_lshl_b64 s[10:11], s[0:1], 5
	s_waitcnt lgkmcnt(0)
	v_cmp_lt_i64_e64 s2, s[20:21], 1
	s_and_b32 vcc_lo, exec_lo, s2
	s_cbranch_vccnz .LBB19_3
; %bb.1:
	v_lshlrev_b32_e32 v4, 4, v1
	s_clause 0x1
	s_load_dwordx8 s[12:19], s[4:5], 0x20
	s_load_dwordx4 s[0:3], s[4:5], 0x40
	v_and_b32_e32 v12, 7, v0
	v_lshlrev_b32_e32 v8, 1, v0
	v_add_nc_u32_e32 v5, v4, v0
	v_add_nc_u32_e32 v9, 0x200, v4
	v_lshlrev_b32_e32 v6, 1, v12
	v_and_b32_e32 v7, 31, v5
	v_lshrrev_b32_e32 v2, 3, v5
	v_lshrrev_b32_e32 v15, 5, v5
	v_lshlrev_b32_e32 v4, 1, v7
	v_lshl_or_b32 v11, v2, 4, v6
	v_add_co_u32 v6, s9, s6, v7
	v_add_co_ci_u32_e64 v7, null, s7, 0, s9
	v_lshl_or_b32 v10, v15, 6, v4
	s_waitcnt lgkmcnt(0)
	v_mad_u64_u32 v[4:5], null, s0, v12, v[2:3]
	v_mul_lo_u32 v13, s15, v6
	v_mul_lo_u32 v14, s14, v7
	v_mad_u64_u32 v[6:7], null, s14, v6, 0
	s_mul_i32 s3, s3, s8
	s_mul_hi_u32 s9, s2, s8
	v_mov_b32_e32 v2, v5
	s_mul_i32 s2, s2, s8
	s_add_i32 s3, s9, s3
	v_add_nc_u32_e32 v11, 0x200, v11
	v_add3_u32 v7, v7, v14, v13
	v_mad_u64_u32 v[12:13], null, s1, v12, v[2:3]
	s_lshl_b64 s[2:3], s[2:3], 1
	v_add_co_u32 v13, vcc_lo, v4, s10
	s_add_u32 s9, s18, s2
	s_addc_u32 s14, s19, s3
	s_mul_i32 s2, s17, s8
	s_mul_hi_u32 s3, s16, s8
	v_lshlrev_b64 v[5:6], 1, v[6:7]
	s_add_i32 s3, s3, s2
	s_mul_i32 s2, s16, s8
	v_add_co_ci_u32_e64 v14, null, s11, v12, vcc_lo
	s_lshl_b64 s[2:3], s[2:3], 1
	v_lshlrev_b32_e32 v2, 1, v15
	v_add_co_u32 v7, vcc_lo, v5, s2
	v_add_co_ci_u32_e64 v6, null, s3, v6, vcc_lo
	v_lshlrev_b64 v[4:5], 1, v[13:14]
	v_add_co_u32 v2, vcc_lo, v7, v2
	v_add_co_ci_u32_e64 v7, null, 0, v6, vcc_lo
	s_lshl_b64 s[0:1], s[0:1], 4
	v_add_co_u32 v4, vcc_lo, s9, v4
	v_add_co_ci_u32_e64 v5, null, s14, v5, vcc_lo
	v_add_co_u32 v6, vcc_lo, s12, v2
	v_add_co_ci_u32_e64 v7, null, s13, v7, vcc_lo
	v_mov_b32_e32 v2, 0
	s_mov_b64 s[2:3], 0
.LBB19_2:                               ; =>This Inner Loop Header: Depth=1
	global_load_ushort v12, v[6:7], off
	global_load_ushort v13, v[4:5], off
	s_add_u32 s2, s2, 8
	s_addc_u32 s3, s3, 0
	v_add_co_u32 v4, vcc_lo, v4, s0
	v_cmp_lt_i64_e64 s9, s[2:3], s[20:21]
	v_add_co_ci_u32_e64 v5, null, s1, v5, vcc_lo
	v_add_co_u32 v6, vcc_lo, v6, 16
	v_add_co_ci_u32_e64 v7, null, 0, v7, vcc_lo
	s_and_b32 vcc_lo, exec_lo, s9
	s_waitcnt vmcnt(1)
	ds_write_b16 v10, v12
	s_waitcnt vmcnt(0)
	ds_write_b16 v11, v13
	s_waitcnt lgkmcnt(0)
	s_barrier
	buffer_gl0_inv
	ds_read_u16 v20, v8 offset:32
	ds_read_u16 v21, v8 offset:96
	;; [unrolled: 1-line block ×3, first 2 shown]
	ds_read_b128 v[12:15], v9
	ds_read_b128 v[16:19], v9 offset:256
	ds_read_u16 v23, v8 offset:224
	ds_read_u16 v24, v8 offset:288
	;; [unrolled: 1-line block ×5, first 2 shown]
	s_waitcnt lgkmcnt(9)
	ds_read_u16_d16_hi v20, v8
	s_waitcnt lgkmcnt(9)
	ds_read_u16_d16_hi v21, v8 offset:64
	s_waitcnt lgkmcnt(9)
	ds_read_u16_d16_hi v22, v8 offset:128
	;; [unrolled: 2-line block ×7, first 2 shown]
	s_waitcnt lgkmcnt(0)
	s_barrier
	buffer_gl0_inv
	v_pk_fma_f16 v3, v20, v12, v3 op_sel_hi:[1,0,1]
	v_pk_fma_f16 v2, v20, v16, v2 op_sel_hi:[1,0,1]
	v_pk_fma_f16 v3, v21, v12, v3 op_sel:[0,1,0]
	v_pk_fma_f16 v2, v21, v16, v2 op_sel:[0,1,0]
	v_pk_fma_f16 v3, v22, v13, v3 op_sel_hi:[1,0,1]
	v_pk_fma_f16 v2, v22, v17, v2 op_sel_hi:[1,0,1]
	v_pk_fma_f16 v3, v23, v13, v3 op_sel:[0,1,0]
	v_pk_fma_f16 v2, v23, v17, v2 op_sel:[0,1,0]
	;; [unrolled: 4-line block ×4, first 2 shown]
	s_cbranch_vccnz .LBB19_2
	s_branch .LBB19_4
.LBB19_3:
	v_mov_b32_e32 v2, 0
.LBB19_4:
	s_clause 0x3
	s_load_dwordx4 s[0:3], s[4:5], 0x78
	s_load_dword s9, s[4:5], 0x50
	s_load_dwordx8 s[12:19], s[4:5], 0x58
	s_load_dword s4, s[4:5], 0x18
	v_add_co_u32 v7, s5, s6, v0
	v_add_co_ci_u32_e64 v8, null, s7, 0, s5
	v_add_co_u32 v6, s5, s10, v1
	v_add_co_ci_u32_e64 v9, null, s11, 0, s5
	v_lshlrev_b64 v[0:1], 1, v[7:8]
	v_lshrrev_b32_e32 v5, 16, v3
	v_lshrrev_b32_e32 v4, 16, v2
	s_waitcnt lgkmcnt(0)
	s_mul_i32 s3, s3, s8
	s_mul_hi_u32 s5, s2, s8
	v_mul_lo_u32 v7, v9, s0
	v_mul_lo_u32 v8, v6, s1
	s_mul_i32 s2, s2, s8
	v_cmp_neq_f16_e64 s6, s9, 0
	s_add_i32 s3, s5, s3
	s_mov_b32 s5, 0
	s_lshl_b64 s[2:3], s[2:3], 1
	s_add_u32 s2, s18, s2
	s_addc_u32 s3, s19, s3
	s_and_b32 vcc_lo, exec_lo, s6
	s_cbranch_vccnz .LBB19_8
; %bb.5:
	v_mad_u64_u32 v[10:11], null, v6, s0, 0
	s_lshl_b64 s[6:7], s[0:1], 5
	v_mul_f16_sdwa v14, s4, v3 dst_sel:DWORD dst_unused:UNUSED_PAD src0_sel:DWORD src1_sel:WORD_1
	v_mul_f16_e32 v15, s4, v3
	v_mul_f16_sdwa v16, s4, v2 dst_sel:DWORD dst_unused:UNUSED_PAD src0_sel:DWORD src1_sel:WORD_1
	v_mul_f16_e32 v17, s4, v2
	v_add3_u32 v11, v11, v8, v7
	v_lshlrev_b64 v[10:11], 1, v[10:11]
	v_add_co_u32 v10, vcc_lo, s2, v10
	v_add_co_ci_u32_e64 v11, null, s3, v11, vcc_lo
	v_add_co_u32 v12, vcc_lo, v10, s6
	v_add_co_ci_u32_e64 v13, null, s7, v11, vcc_lo
	;; [unrolled: 2-line block ×4, first 2 shown]
	global_store_short v[10:11], v14, off
	global_store_short v[10:11], v15, off offset:32
	global_store_short v[12:13], v16, off
	global_store_short v[12:13], v17, off offset:32
	s_andn2_b32 vcc_lo, exec_lo, s5
	s_cbranch_vccnz .LBB19_7
.LBB19_6:
	v_mul_lo_u32 v11, v9, s14
	v_mul_lo_u32 v12, v6, s15
	v_mad_u64_u32 v[9:10], null, v6, s14, 0
	s_mul_i32 s5, s17, s8
	s_mul_hi_u32 s7, s16, s8
	s_mul_i32 s6, s16, s8
	s_add_i32 s7, s7, s5
	s_lshl_b64 s[6:7], s[6:7], 1
	v_add3_u32 v10, v10, v12, v11
	s_add_u32 s5, s12, s6
	s_addc_u32 s6, s13, s7
	v_mad_u64_u32 v[11:12], null, v6, s0, 0
	v_lshlrev_b64 v[9:10], 1, v[9:10]
	s_lshl_b64 s[0:1], s[0:1], 5
	v_add3_u32 v12, v12, v8, v7
	v_add_co_u32 v13, vcc_lo, s5, v9
	v_add_co_ci_u32_e64 v14, null, s6, v10, vcc_lo
	v_lshlrev_b64 v[6:7], 1, v[11:12]
	v_add_co_u32 v9, vcc_lo, v13, v0
	v_add_co_ci_u32_e64 v10, null, v14, v1, vcc_lo
	v_add_co_u32 v11, vcc_lo, s2, v6
	global_load_ushort v15, v[9:10], off
	v_add_co_ci_u32_e64 v12, null, s3, v7, vcc_lo
	v_add_co_u32 v6, vcc_lo, v11, v0
	s_lshl_b64 s[2:3], s[14:15], 5
	v_add_co_ci_u32_e64 v7, null, v12, v1, vcc_lo
	s_waitcnt vmcnt(0)
	v_mul_f16_e32 v8, s9, v15
	v_fmac_f16_e32 v8, s4, v5
	global_store_short v[6:7], v8, off
	global_load_ushort v5, v[9:10], off offset:32
	v_add_co_u32 v8, vcc_lo, v13, s2
	v_add_co_ci_u32_e64 v9, null, s3, v14, vcc_lo
	v_add_co_u32 v8, vcc_lo, v8, v0
	v_add_co_ci_u32_e64 v9, null, v9, v1, vcc_lo
	s_waitcnt vmcnt(0)
	v_mul_f16_e32 v5, s9, v5
	v_fmac_f16_e32 v5, s4, v3
	global_store_short v[6:7], v5, off offset:32
	global_load_ushort v3, v[8:9], off
	v_add_co_u32 v5, vcc_lo, v11, s0
	v_add_co_ci_u32_e64 v6, null, s1, v12, vcc_lo
	v_add_co_u32 v0, vcc_lo, v5, v0
	v_add_co_ci_u32_e64 v1, null, v6, v1, vcc_lo
	s_waitcnt vmcnt(0)
	v_mul_f16_e32 v3, s9, v3
	v_fmac_f16_e32 v3, s4, v4
	global_store_short v[0:1], v3, off
	global_load_ushort v3, v[8:9], off offset:32
	s_waitcnt vmcnt(0)
	v_mul_f16_e32 v3, s9, v3
	v_fmac_f16_e32 v3, s4, v2
	global_store_short v[0:1], v3, off offset:32
.LBB19_7:
	s_endpgm
.LBB19_8:
	s_branch .LBB19_6
	.section	.rodata,"a",@progbits
	.p2align	6, 0x0
	.amdhsa_kernel _ZN12_GLOBAL__N_127rocblas_gemm_batched_kernelIDF16_Li16ELi16ELi32ELi32ELi8ELi32ELi8ELi8ELi32ELc84ELc67EKDF16_S1_DF16_EEvlllT_PT11_llS4_llS2_PT12_llPT13_lli
		.amdhsa_group_segment_fixed_size 1024
		.amdhsa_private_segment_fixed_size 0
		.amdhsa_kernarg_size 140
		.amdhsa_user_sgpr_count 6
		.amdhsa_user_sgpr_private_segment_buffer 1
		.amdhsa_user_sgpr_dispatch_ptr 0
		.amdhsa_user_sgpr_queue_ptr 0
		.amdhsa_user_sgpr_kernarg_segment_ptr 1
		.amdhsa_user_sgpr_dispatch_id 0
		.amdhsa_user_sgpr_flat_scratch_init 0
		.amdhsa_user_sgpr_private_segment_size 0
		.amdhsa_wavefront_size32 1
		.amdhsa_uses_dynamic_stack 0
		.amdhsa_system_sgpr_private_segment_wavefront_offset 0
		.amdhsa_system_sgpr_workgroup_id_x 1
		.amdhsa_system_sgpr_workgroup_id_y 1
		.amdhsa_system_sgpr_workgroup_id_z 1
		.amdhsa_system_sgpr_workgroup_info 0
		.amdhsa_system_vgpr_workitem_id 1
		.amdhsa_next_free_vgpr 28
		.amdhsa_next_free_sgpr 22
		.amdhsa_reserve_vcc 1
		.amdhsa_reserve_flat_scratch 0
		.amdhsa_float_round_mode_32 0
		.amdhsa_float_round_mode_16_64 0
		.amdhsa_float_denorm_mode_32 3
		.amdhsa_float_denorm_mode_16_64 3
		.amdhsa_dx10_clamp 1
		.amdhsa_ieee_mode 1
		.amdhsa_fp16_overflow 0
		.amdhsa_workgroup_processor_mode 1
		.amdhsa_memory_ordered 1
		.amdhsa_forward_progress 1
		.amdhsa_shared_vgpr_count 0
		.amdhsa_exception_fp_ieee_invalid_op 0
		.amdhsa_exception_fp_denorm_src 0
		.amdhsa_exception_fp_ieee_div_zero 0
		.amdhsa_exception_fp_ieee_overflow 0
		.amdhsa_exception_fp_ieee_underflow 0
		.amdhsa_exception_fp_ieee_inexact 0
		.amdhsa_exception_int_div_zero 0
	.end_amdhsa_kernel
	.section	.text._ZN12_GLOBAL__N_127rocblas_gemm_batched_kernelIDF16_Li16ELi16ELi32ELi32ELi8ELi32ELi8ELi8ELi32ELc84ELc67EKDF16_S1_DF16_EEvlllT_PT11_llS4_llS2_PT12_llPT13_lli,"axG",@progbits,_ZN12_GLOBAL__N_127rocblas_gemm_batched_kernelIDF16_Li16ELi16ELi32ELi32ELi8ELi32ELi8ELi8ELi32ELc84ELc67EKDF16_S1_DF16_EEvlllT_PT11_llS4_llS2_PT12_llPT13_lli,comdat
.Lfunc_end19:
	.size	_ZN12_GLOBAL__N_127rocblas_gemm_batched_kernelIDF16_Li16ELi16ELi32ELi32ELi8ELi32ELi8ELi8ELi32ELc84ELc67EKDF16_S1_DF16_EEvlllT_PT11_llS4_llS2_PT12_llPT13_lli, .Lfunc_end19-_ZN12_GLOBAL__N_127rocblas_gemm_batched_kernelIDF16_Li16ELi16ELi32ELi32ELi8ELi32ELi8ELi8ELi32ELc84ELc67EKDF16_S1_DF16_EEvlllT_PT11_llS4_llS2_PT12_llPT13_lli
                                        ; -- End function
	.set _ZN12_GLOBAL__N_127rocblas_gemm_batched_kernelIDF16_Li16ELi16ELi32ELi32ELi8ELi32ELi8ELi8ELi32ELc84ELc67EKDF16_S1_DF16_EEvlllT_PT11_llS4_llS2_PT12_llPT13_lli.num_vgpr, 28
	.set _ZN12_GLOBAL__N_127rocblas_gemm_batched_kernelIDF16_Li16ELi16ELi32ELi32ELi8ELi32ELi8ELi8ELi32ELc84ELc67EKDF16_S1_DF16_EEvlllT_PT11_llS4_llS2_PT12_llPT13_lli.num_agpr, 0
	.set _ZN12_GLOBAL__N_127rocblas_gemm_batched_kernelIDF16_Li16ELi16ELi32ELi32ELi8ELi32ELi8ELi8ELi32ELc84ELc67EKDF16_S1_DF16_EEvlllT_PT11_llS4_llS2_PT12_llPT13_lli.numbered_sgpr, 22
	.set _ZN12_GLOBAL__N_127rocblas_gemm_batched_kernelIDF16_Li16ELi16ELi32ELi32ELi8ELi32ELi8ELi8ELi32ELc84ELc67EKDF16_S1_DF16_EEvlllT_PT11_llS4_llS2_PT12_llPT13_lli.num_named_barrier, 0
	.set _ZN12_GLOBAL__N_127rocblas_gemm_batched_kernelIDF16_Li16ELi16ELi32ELi32ELi8ELi32ELi8ELi8ELi32ELc84ELc67EKDF16_S1_DF16_EEvlllT_PT11_llS4_llS2_PT12_llPT13_lli.private_seg_size, 0
	.set _ZN12_GLOBAL__N_127rocblas_gemm_batched_kernelIDF16_Li16ELi16ELi32ELi32ELi8ELi32ELi8ELi8ELi32ELc84ELc67EKDF16_S1_DF16_EEvlllT_PT11_llS4_llS2_PT12_llPT13_lli.uses_vcc, 1
	.set _ZN12_GLOBAL__N_127rocblas_gemm_batched_kernelIDF16_Li16ELi16ELi32ELi32ELi8ELi32ELi8ELi8ELi32ELc84ELc67EKDF16_S1_DF16_EEvlllT_PT11_llS4_llS2_PT12_llPT13_lli.uses_flat_scratch, 0
	.set _ZN12_GLOBAL__N_127rocblas_gemm_batched_kernelIDF16_Li16ELi16ELi32ELi32ELi8ELi32ELi8ELi8ELi32ELc84ELc67EKDF16_S1_DF16_EEvlllT_PT11_llS4_llS2_PT12_llPT13_lli.has_dyn_sized_stack, 0
	.set _ZN12_GLOBAL__N_127rocblas_gemm_batched_kernelIDF16_Li16ELi16ELi32ELi32ELi8ELi32ELi8ELi8ELi32ELc84ELc67EKDF16_S1_DF16_EEvlllT_PT11_llS4_llS2_PT12_llPT13_lli.has_recursion, 0
	.set _ZN12_GLOBAL__N_127rocblas_gemm_batched_kernelIDF16_Li16ELi16ELi32ELi32ELi8ELi32ELi8ELi8ELi32ELc84ELc67EKDF16_S1_DF16_EEvlllT_PT11_llS4_llS2_PT12_llPT13_lli.has_indirect_call, 0
	.section	.AMDGPU.csdata,"",@progbits
; Kernel info:
; codeLenInByte = 1468
; TotalNumSgprs: 24
; NumVgprs: 28
; ScratchSize: 0
; MemoryBound: 0
; FloatMode: 240
; IeeeMode: 1
; LDSByteSize: 1024 bytes/workgroup (compile time only)
; SGPRBlocks: 0
; VGPRBlocks: 3
; NumSGPRsForWavesPerEU: 24
; NumVGPRsForWavesPerEU: 28
; Occupancy: 16
; WaveLimiterHint : 0
; COMPUTE_PGM_RSRC2:SCRATCH_EN: 0
; COMPUTE_PGM_RSRC2:USER_SGPR: 6
; COMPUTE_PGM_RSRC2:TRAP_HANDLER: 0
; COMPUTE_PGM_RSRC2:TGID_X_EN: 1
; COMPUTE_PGM_RSRC2:TGID_Y_EN: 1
; COMPUTE_PGM_RSRC2:TGID_Z_EN: 1
; COMPUTE_PGM_RSRC2:TIDIG_COMP_CNT: 1
	.section	.text._ZN12_GLOBAL__N_135rocblas_gemm_batched_general_kernelIDF16_Li16ELi16ELi32ELi32ELi8ELi32ELi8ELi8ELi32ELc78ELc78EKDF16_S1_DF16_EEvlllT_PT11_llS4_llS2_PT12_llPT13_lli,"axG",@progbits,_ZN12_GLOBAL__N_135rocblas_gemm_batched_general_kernelIDF16_Li16ELi16ELi32ELi32ELi8ELi32ELi8ELi8ELi32ELc78ELc78EKDF16_S1_DF16_EEvlllT_PT11_llS4_llS2_PT12_llPT13_lli,comdat
	.globl	_ZN12_GLOBAL__N_135rocblas_gemm_batched_general_kernelIDF16_Li16ELi16ELi32ELi32ELi8ELi32ELi8ELi8ELi32ELc78ELc78EKDF16_S1_DF16_EEvlllT_PT11_llS4_llS2_PT12_llPT13_lli ; -- Begin function _ZN12_GLOBAL__N_135rocblas_gemm_batched_general_kernelIDF16_Li16ELi16ELi32ELi32ELi8ELi32ELi8ELi8ELi32ELc78ELc78EKDF16_S1_DF16_EEvlllT_PT11_llS4_llS2_PT12_llPT13_lli
	.p2align	8
	.type	_ZN12_GLOBAL__N_135rocblas_gemm_batched_general_kernelIDF16_Li16ELi16ELi32ELi32ELi8ELi32ELi8ELi8ELi32ELc78ELc78EKDF16_S1_DF16_EEvlllT_PT11_llS4_llS2_PT12_llPT13_lli,@function
_ZN12_GLOBAL__N_135rocblas_gemm_batched_general_kernelIDF16_Li16ELi16ELi32ELi32ELi8ELi32ELi8ELi8ELi32ELc78ELc78EKDF16_S1_DF16_EEvlllT_PT11_llS4_llS2_PT12_llPT13_lli: ; @_ZN12_GLOBAL__N_135rocblas_gemm_batched_general_kernelIDF16_Li16ELi16ELi32ELi32ELi8ELi32ELi8ELi8ELi32ELc78ELc78EKDF16_S1_DF16_EEvlllT_PT11_llS4_llS2_PT12_llPT13_lli
; %bb.0:
	s_clause 0x1
	s_load_dwordx2 s[28:29], s[4:5], 0x10
	s_load_dwordx4 s[20:23], s[4:5], 0x0
	s_mov_b32 s0, s7
	v_mov_b32_e32 v7, 0
	s_ashr_i32 s7, s6, 31
	s_ashr_i32 s1, s0, 31
	s_lshl_b64 s[10:11], s[6:7], 5
	s_waitcnt lgkmcnt(0)
	v_cmp_lt_i64_e64 s2, s[28:29], 1
	s_and_b32 vcc_lo, exec_lo, s2
	s_lshl_b64 s[2:3], s[0:1], 5
	s_cbranch_vccnz .LBB20_7
; %bb.1:
	s_clause 0x1
	s_load_dwordx8 s[12:19], s[4:5], 0x20
	s_load_dwordx4 s[24:27], s[4:5], 0x40
	v_lshlrev_b32_e32 v8, 4, v1
	v_mov_b32_e32 v3, s11
	v_and_b32_e32 v6, 7, v0
	s_lshl_b64 s[6:7], s[6:7], 6
	v_lshlrev_b32_e32 v9, 1, v0
	v_add_nc_u32_e32 v2, v8, v0
	v_lshlrev_b32_e32 v17, 1, v6
	v_lshrrev_b32_e32 v12, 3, v2
	v_lshrrev_b32_e32 v10, 5, v2
	v_and_b32_e32 v11, 31, v2
	v_add_co_u32 v4, s0, v12, s2
	v_add_co_ci_u32_e64 v5, null, 0, s3, s0
	v_or_b32_e32 v2, s10, v11
	s_waitcnt lgkmcnt(0)
	v_mad_u64_u32 v[14:15], null, s14, v10, 0
	v_cmp_gt_i64_e64 s1, s[22:23], v[4:5]
	v_mul_lo_u32 v19, s25, v4
	v_cmp_gt_i64_e64 s0, s[20:21], v[2:3]
	v_mad_u64_u32 v[3:4], null, s24, v4, 0
	v_mul_lo_u32 v5, s24, v5
	v_mov_b32_e32 v2, v15
	s_mul_i32 s9, s27, s8
	s_mul_hi_u32 s25, s26, s8
	s_mul_i32 s24, s26, s8
	s_mul_i32 s17, s17, s8
	v_mad_u64_u32 v[15:16], null, s15, v10, v[2:3]
	v_add3_u32 v4, v4, v5, v19
	s_mul_hi_u32 s26, s16, s8
	s_mul_i32 s16, s16, s8
	s_add_i32 s25, s25, s9
	s_add_i32 s17, s26, s17
	v_lshlrev_b64 v[2:3], 1, v[3:4]
	v_lshlrev_b64 v[4:5], 1, v[14:15]
	s_lshl_b64 s[24:25], s[24:25], 1
	s_lshl_b64 s[16:17], s[16:17], 1
	v_lshlrev_b32_e32 v18, 1, v11
	s_add_u32 s6, s6, s16
	v_add_co_u32 v2, vcc_lo, v2, s24
	v_add_co_ci_u32_e64 v3, null, s25, v3, vcc_lo
	s_addc_u32 s7, s7, s17
	v_add_co_u32 v4, vcc_lo, s6, v4
	v_add_co_ci_u32_e64 v5, null, s7, v5, vcc_lo
	v_add_co_u32 v2, vcc_lo, v2, v17
	v_add_co_ci_u32_e64 v3, null, 0, v3, vcc_lo
	v_add_co_u32 v4, vcc_lo, v4, v18
	v_add_nc_u32_e32 v11, 0x200, v8
	v_lshl_or_b32 v8, v12, 4, v17
	v_add_co_ci_u32_e64 v5, null, 0, v5, vcc_lo
	v_add_co_u32 v2, vcc_lo, s18, v2
	v_add_co_ci_u32_e64 v3, null, s19, v3, vcc_lo
	v_add_co_u32 v4, vcc_lo, s12, v4
	v_lshl_or_b32 v12, v10, 6, v18
	v_add_nc_u32_e32 v13, 0x200, v8
	v_add_co_ci_u32_e64 v5, null, s13, v5, vcc_lo
	v_mov_b32_e32 v8, 0
	s_lshl_b64 s[6:7], s[14:15], 4
	s_mov_b64 s[12:13], 0
	s_branch .LBB20_3
.LBB20_2:                               ;   in Loop: Header=BB20_3 Depth=1
	s_or_b32 exec_lo, exec_lo, s9
	s_waitcnt vmcnt(0)
	ds_write_b16 v13, v14
	s_waitcnt lgkmcnt(0)
	s_barrier
	buffer_gl0_inv
	ds_read_u16 v22, v9
	ds_read_u16 v23, v9 offset:64
	ds_read_u16 v24, v9 offset:128
	;; [unrolled: 1-line block ×7, first 2 shown]
	s_add_u32 s12, s12, 8
	s_addc_u32 s13, s13, 0
	v_add_co_u32 v2, vcc_lo, v2, 16
	v_cmp_lt_i64_e64 s9, s[12:13], s[28:29]
	v_add_co_ci_u32_e64 v3, null, 0, v3, vcc_lo
	v_add_co_u32 v4, vcc_lo, v4, s6
	v_add_co_ci_u32_e64 v5, null, s7, v5, vcc_lo
	s_and_b32 vcc_lo, exec_lo, s9
	s_waitcnt lgkmcnt(7)
	ds_read_u16_d16_hi v22, v9 offset:32
	ds_read_b128 v[14:17], v11
	ds_read_b128 v[18:21], v11 offset:256
	s_waitcnt lgkmcnt(9)
	ds_read_u16_d16_hi v23, v9 offset:96
	s_waitcnt lgkmcnt(9)
	ds_read_u16_d16_hi v24, v9 offset:160
	;; [unrolled: 2-line block ×7, first 2 shown]
	s_waitcnt lgkmcnt(0)
	s_barrier
	buffer_gl0_inv
	v_pk_fma_f16 v7, v22, v14, v7 op_sel_hi:[1,0,1]
	v_pk_fma_f16 v8, v22, v18, v8 op_sel_hi:[1,0,1]
	v_pk_fma_f16 v7, v23, v14, v7 op_sel:[0,1,0]
	v_pk_fma_f16 v8, v23, v18, v8 op_sel:[0,1,0]
	v_pk_fma_f16 v7, v24, v15, v7 op_sel_hi:[1,0,1]
	v_pk_fma_f16 v8, v24, v19, v8 op_sel_hi:[1,0,1]
	v_pk_fma_f16 v7, v25, v15, v7 op_sel:[0,1,0]
	v_pk_fma_f16 v8, v25, v19, v8 op_sel:[0,1,0]
	;; [unrolled: 4-line block ×4, first 2 shown]
	s_cbranch_vccz .LBB20_8
.LBB20_3:                               ; =>This Inner Loop Header: Depth=1
	v_add_co_u32 v14, s9, v10, s12
	v_add_co_ci_u32_e64 v15, null, 0, s13, s9
	v_cmp_gt_i64_e32 vcc_lo, s[28:29], v[14:15]
	v_mov_b32_e32 v14, 0
	v_mov_b32_e32 v15, 0
	s_and_b32 s14, s0, vcc_lo
	s_and_saveexec_b32 s9, s14
	s_cbranch_execz .LBB20_5
; %bb.4:                                ;   in Loop: Header=BB20_3 Depth=1
	global_load_ushort v15, v[4:5], off
.LBB20_5:                               ;   in Loop: Header=BB20_3 Depth=1
	s_or_b32 exec_lo, exec_lo, s9
	v_add_co_u32 v16, s9, v6, s12
	v_add_co_ci_u32_e64 v17, null, 0, s13, s9
	s_waitcnt vmcnt(0)
	ds_write_b16 v12, v15
	v_cmp_gt_i64_e32 vcc_lo, s[28:29], v[16:17]
	s_and_b32 s14, vcc_lo, s1
	s_and_saveexec_b32 s9, s14
	s_cbranch_execz .LBB20_2
; %bb.6:                                ;   in Loop: Header=BB20_3 Depth=1
	global_load_ushort v14, v[2:3], off
	s_branch .LBB20_2
.LBB20_7:
	v_mov_b32_e32 v8, 0
.LBB20_8:
	s_clause 0x3
	s_load_dwordx4 s[24:27], s[4:5], 0x78
	s_load_dword s6, s[4:5], 0x50
	s_load_dwordx8 s[12:19], s[4:5], 0x58
	s_load_dword s4, s[4:5], 0x18
	v_add_co_u32 v1, s0, s2, v1
	v_add_co_ci_u32_e64 v2, null, s3, 0, s0
	s_waitcnt lgkmcnt(0)
	s_mul_i32 s1, s27, s8
	s_mul_hi_u32 s2, s26, s8
	s_mul_i32 s0, s26, s8
	s_add_i32 s1, s2, s1
	v_cmp_neq_f16_e64 s2, s6, 0
	s_lshl_b64 s[26:27], s[0:1], 1
	v_cmp_gt_i64_e64 s0, s[22:23], v[1:2]
	s_add_u32 s3, s18, s26
	s_addc_u32 s5, s19, s27
	s_and_b32 vcc_lo, exec_lo, s2
	s_cbranch_vccnz .LBB20_21
; %bb.9:
	s_and_saveexec_b32 s7, s0
	s_cbranch_execz .LBB20_19
; %bb.10:
	v_mul_lo_u32 v5, v2, s24
	v_mul_lo_u32 v6, v1, s25
	v_mad_u64_u32 v[3:4], null, v1, s24, 0
	v_add3_u32 v4, v4, v6, v5
	v_add_co_u32 v5, s1, s10, v0
	v_add_co_ci_u32_e64 v6, null, s11, 0, s1
	v_lshlrev_b64 v[9:10], 1, v[3:4]
	v_cmp_gt_i64_e32 vcc_lo, s[20:21], v[5:6]
	v_lshlrev_b64 v[3:4], 1, v[5:6]
	v_add_co_u32 v9, s1, s3, v9
	v_add_co_ci_u32_e64 v10, null, s5, v10, s1
	s_and_saveexec_b32 s2, vcc_lo
	s_cbranch_execz .LBB20_12
; %bb.11:
	v_add_co_u32 v11, s1, v9, v3
	v_add_co_ci_u32_e64 v12, null, v10, v4, s1
	v_mul_f16_e32 v13, s4, v7
	global_store_short v[11:12], v13, off
.LBB20_12:
	s_or_b32 exec_lo, exec_lo, s2
	v_add_co_u32 v5, s1, v5, 16
	v_add_co_ci_u32_e64 v6, null, 0, v6, s1
	v_cmp_gt_i64_e64 s1, s[20:21], v[5:6]
	s_and_saveexec_b32 s9, s1
	s_cbranch_execz .LBB20_14
; %bb.13:
	v_add_co_u32 v5, s2, v9, v3
	v_add_co_ci_u32_e64 v6, null, v10, v4, s2
	v_mul_f16_sdwa v11, s4, v7 dst_sel:DWORD dst_unused:UNUSED_PAD src0_sel:DWORD src1_sel:WORD_1
	global_store_short v[5:6], v11, off offset:32
.LBB20_14:
	s_or_b32 exec_lo, exec_lo, s9
	v_add_co_u32 v5, s2, v1, 16
	v_add_co_ci_u32_e64 v6, null, 0, v2, s2
	v_cmp_gt_i64_e64 s2, s[22:23], v[5:6]
	s_and_b32 exec_lo, exec_lo, s2
	s_cbranch_execz .LBB20_19
; %bb.15:
	s_lshl_b64 s[18:19], s[24:25], 5
	v_add_co_u32 v5, s2, v9, s18
	v_add_co_ci_u32_e64 v6, null, s19, v10, s2
	v_add_co_u32 v3, s2, v5, v3
	v_add_co_ci_u32_e64 v4, null, v6, v4, s2
	s_and_saveexec_b32 s2, vcc_lo
	s_cbranch_execz .LBB20_17
; %bb.16:
	v_mul_f16_e32 v5, s4, v8
	global_store_short v[3:4], v5, off
.LBB20_17:
	s_or_b32 exec_lo, exec_lo, s2
	s_and_b32 exec_lo, exec_lo, s1
	s_cbranch_execz .LBB20_19
; %bb.18:
	v_mul_f16_sdwa v5, s4, v8 dst_sel:DWORD dst_unused:UNUSED_PAD src0_sel:DWORD src1_sel:WORD_1
	global_store_short v[3:4], v5, off offset:32
.LBB20_19:
	s_or_b32 exec_lo, exec_lo, s7
	s_cbranch_execz .LBB20_22
.LBB20_20:
	s_endpgm
.LBB20_21:
.LBB20_22:
	s_and_saveexec_b32 s1, s0
	s_cbranch_execz .LBB20_20
; %bb.23:
	v_mul_lo_u32 v5, v2, s14
	v_mul_lo_u32 v6, v1, s15
	v_mad_u64_u32 v[3:4], null, v1, s14, 0
	v_mul_lo_u32 v11, v2, s24
	v_mul_lo_u32 v12, v1, s25
	v_mad_u64_u32 v[9:10], null, v1, s24, 0
	s_mul_i32 s0, s17, s8
	s_mul_hi_u32 s1, s16, s8
	v_add3_u32 v4, v4, v6, v5
	s_add_i32 s1, s1, s0
	s_mul_i32 s0, s16, s8
	v_add_co_u32 v5, s2, s10, v0
	v_add3_u32 v10, v10, v12, v11
	v_lshlrev_b64 v[3:4], 1, v[3:4]
	s_lshl_b64 s[0:1], s[0:1], 1
	v_add_co_ci_u32_e64 v6, null, s11, 0, s2
	v_lshlrev_b64 v[10:11], 1, v[9:10]
	s_add_u32 s0, s12, s0
	s_addc_u32 s1, s13, s1
	v_add_co_u32 v0, s0, s0, v3
	v_add_co_ci_u32_e64 v9, null, s1, v4, s0
	v_add_co_u32 v10, s0, s3, v10
	v_cmp_gt_i64_e32 vcc_lo, s[20:21], v[5:6]
	v_lshlrev_b64 v[3:4], 1, v[5:6]
	v_add_co_ci_u32_e64 v11, null, s5, v11, s0
	s_and_saveexec_b32 s1, vcc_lo
	s_cbranch_execz .LBB20_25
; %bb.24:
	v_add_co_u32 v12, s0, v0, v3
	v_add_co_ci_u32_e64 v13, null, v9, v4, s0
	global_load_ushort v12, v[12:13], off
	s_waitcnt vmcnt(0)
	v_mul_f16_e32 v14, s6, v12
	v_add_co_u32 v12, s0, v10, v3
	v_add_co_ci_u32_e64 v13, null, v11, v4, s0
	v_fmac_f16_e32 v14, s4, v7
	global_store_short v[12:13], v14, off
.LBB20_25:
	s_or_b32 exec_lo, exec_lo, s1
	v_add_co_u32 v5, s0, v5, 16
	v_add_co_ci_u32_e64 v6, null, 0, v6, s0
	v_cmp_gt_i64_e64 s0, s[20:21], v[5:6]
	s_and_saveexec_b32 s2, s0
	s_cbranch_execz .LBB20_27
; %bb.26:
	v_add_co_u32 v5, s1, v0, v3
	v_add_co_ci_u32_e64 v6, null, v9, v4, s1
	global_load_ushort v5, v[5:6], off offset:32
	v_lshrrev_b32_e32 v6, 16, v7
	s_waitcnt vmcnt(0)
	v_mul_f16_e32 v7, s6, v5
	v_add_co_u32 v5, s1, v10, v3
	v_fmac_f16_e32 v7, s4, v6
	v_add_co_ci_u32_e64 v6, null, v11, v4, s1
	global_store_short v[5:6], v7, off offset:32
.LBB20_27:
	s_or_b32 exec_lo, exec_lo, s2
	v_add_co_u32 v1, s1, v1, 16
	v_add_co_ci_u32_e64 v2, null, 0, v2, s1
	v_cmp_gt_i64_e64 s1, s[22:23], v[1:2]
	s_and_b32 exec_lo, exec_lo, s1
	s_cbranch_execz .LBB20_20
; %bb.28:
	s_lshl_b64 s[2:3], s[14:15], 5
	v_add_co_u32 v0, s1, v0, s2
	v_add_co_ci_u32_e64 v1, null, s3, v9, s1
	s_lshl_b64 s[2:3], s[24:25], 5
	v_add_co_u32 v2, s1, v10, s2
	v_add_co_ci_u32_e64 v7, null, s3, v11, s1
	v_add_co_u32 v5, s1, v0, v3
	v_add_co_ci_u32_e64 v6, null, v1, v4, s1
	;; [unrolled: 2-line block ×3, first 2 shown]
	s_and_saveexec_b32 s1, vcc_lo
	s_cbranch_execz .LBB20_30
; %bb.29:
	global_load_ushort v2, v[5:6], off
	s_waitcnt vmcnt(0)
	v_mul_f16_e32 v2, s6, v2
	v_fmac_f16_e32 v2, s4, v8
	global_store_short v[0:1], v2, off
.LBB20_30:
	s_or_b32 exec_lo, exec_lo, s1
	s_and_b32 exec_lo, exec_lo, s0
	s_cbranch_execz .LBB20_20
; %bb.31:
	global_load_ushort v2, v[5:6], off offset:32
	v_lshrrev_b32_e32 v3, 16, v8
	s_waitcnt vmcnt(0)
	v_mul_f16_e32 v2, s6, v2
	v_fmac_f16_e32 v2, s4, v3
	global_store_short v[0:1], v2, off offset:32
	s_endpgm
	.section	.rodata,"a",@progbits
	.p2align	6, 0x0
	.amdhsa_kernel _ZN12_GLOBAL__N_135rocblas_gemm_batched_general_kernelIDF16_Li16ELi16ELi32ELi32ELi8ELi32ELi8ELi8ELi32ELc78ELc78EKDF16_S1_DF16_EEvlllT_PT11_llS4_llS2_PT12_llPT13_lli
		.amdhsa_group_segment_fixed_size 1024
		.amdhsa_private_segment_fixed_size 0
		.amdhsa_kernarg_size 140
		.amdhsa_user_sgpr_count 6
		.amdhsa_user_sgpr_private_segment_buffer 1
		.amdhsa_user_sgpr_dispatch_ptr 0
		.amdhsa_user_sgpr_queue_ptr 0
		.amdhsa_user_sgpr_kernarg_segment_ptr 1
		.amdhsa_user_sgpr_dispatch_id 0
		.amdhsa_user_sgpr_flat_scratch_init 0
		.amdhsa_user_sgpr_private_segment_size 0
		.amdhsa_wavefront_size32 1
		.amdhsa_uses_dynamic_stack 0
		.amdhsa_system_sgpr_private_segment_wavefront_offset 0
		.amdhsa_system_sgpr_workgroup_id_x 1
		.amdhsa_system_sgpr_workgroup_id_y 1
		.amdhsa_system_sgpr_workgroup_id_z 1
		.amdhsa_system_sgpr_workgroup_info 0
		.amdhsa_system_vgpr_workitem_id 1
		.amdhsa_next_free_vgpr 30
		.amdhsa_next_free_sgpr 30
		.amdhsa_reserve_vcc 1
		.amdhsa_reserve_flat_scratch 0
		.amdhsa_float_round_mode_32 0
		.amdhsa_float_round_mode_16_64 0
		.amdhsa_float_denorm_mode_32 3
		.amdhsa_float_denorm_mode_16_64 3
		.amdhsa_dx10_clamp 1
		.amdhsa_ieee_mode 1
		.amdhsa_fp16_overflow 0
		.amdhsa_workgroup_processor_mode 1
		.amdhsa_memory_ordered 1
		.amdhsa_forward_progress 1
		.amdhsa_shared_vgpr_count 0
		.amdhsa_exception_fp_ieee_invalid_op 0
		.amdhsa_exception_fp_denorm_src 0
		.amdhsa_exception_fp_ieee_div_zero 0
		.amdhsa_exception_fp_ieee_overflow 0
		.amdhsa_exception_fp_ieee_underflow 0
		.amdhsa_exception_fp_ieee_inexact 0
		.amdhsa_exception_int_div_zero 0
	.end_amdhsa_kernel
	.section	.text._ZN12_GLOBAL__N_135rocblas_gemm_batched_general_kernelIDF16_Li16ELi16ELi32ELi32ELi8ELi32ELi8ELi8ELi32ELc78ELc78EKDF16_S1_DF16_EEvlllT_PT11_llS4_llS2_PT12_llPT13_lli,"axG",@progbits,_ZN12_GLOBAL__N_135rocblas_gemm_batched_general_kernelIDF16_Li16ELi16ELi32ELi32ELi8ELi32ELi8ELi8ELi32ELc78ELc78EKDF16_S1_DF16_EEvlllT_PT11_llS4_llS2_PT12_llPT13_lli,comdat
.Lfunc_end20:
	.size	_ZN12_GLOBAL__N_135rocblas_gemm_batched_general_kernelIDF16_Li16ELi16ELi32ELi32ELi8ELi32ELi8ELi8ELi32ELc78ELc78EKDF16_S1_DF16_EEvlllT_PT11_llS4_llS2_PT12_llPT13_lli, .Lfunc_end20-_ZN12_GLOBAL__N_135rocblas_gemm_batched_general_kernelIDF16_Li16ELi16ELi32ELi32ELi8ELi32ELi8ELi8ELi32ELc78ELc78EKDF16_S1_DF16_EEvlllT_PT11_llS4_llS2_PT12_llPT13_lli
                                        ; -- End function
	.set _ZN12_GLOBAL__N_135rocblas_gemm_batched_general_kernelIDF16_Li16ELi16ELi32ELi32ELi8ELi32ELi8ELi8ELi32ELc78ELc78EKDF16_S1_DF16_EEvlllT_PT11_llS4_llS2_PT12_llPT13_lli.num_vgpr, 30
	.set _ZN12_GLOBAL__N_135rocblas_gemm_batched_general_kernelIDF16_Li16ELi16ELi32ELi32ELi8ELi32ELi8ELi8ELi32ELc78ELc78EKDF16_S1_DF16_EEvlllT_PT11_llS4_llS2_PT12_llPT13_lli.num_agpr, 0
	.set _ZN12_GLOBAL__N_135rocblas_gemm_batched_general_kernelIDF16_Li16ELi16ELi32ELi32ELi8ELi32ELi8ELi8ELi32ELc78ELc78EKDF16_S1_DF16_EEvlllT_PT11_llS4_llS2_PT12_llPT13_lli.numbered_sgpr, 30
	.set _ZN12_GLOBAL__N_135rocblas_gemm_batched_general_kernelIDF16_Li16ELi16ELi32ELi32ELi8ELi32ELi8ELi8ELi32ELc78ELc78EKDF16_S1_DF16_EEvlllT_PT11_llS4_llS2_PT12_llPT13_lli.num_named_barrier, 0
	.set _ZN12_GLOBAL__N_135rocblas_gemm_batched_general_kernelIDF16_Li16ELi16ELi32ELi32ELi8ELi32ELi8ELi8ELi32ELc78ELc78EKDF16_S1_DF16_EEvlllT_PT11_llS4_llS2_PT12_llPT13_lli.private_seg_size, 0
	.set _ZN12_GLOBAL__N_135rocblas_gemm_batched_general_kernelIDF16_Li16ELi16ELi32ELi32ELi8ELi32ELi8ELi8ELi32ELc78ELc78EKDF16_S1_DF16_EEvlllT_PT11_llS4_llS2_PT12_llPT13_lli.uses_vcc, 1
	.set _ZN12_GLOBAL__N_135rocblas_gemm_batched_general_kernelIDF16_Li16ELi16ELi32ELi32ELi8ELi32ELi8ELi8ELi32ELc78ELc78EKDF16_S1_DF16_EEvlllT_PT11_llS4_llS2_PT12_llPT13_lli.uses_flat_scratch, 0
	.set _ZN12_GLOBAL__N_135rocblas_gemm_batched_general_kernelIDF16_Li16ELi16ELi32ELi32ELi8ELi32ELi8ELi8ELi32ELc78ELc78EKDF16_S1_DF16_EEvlllT_PT11_llS4_llS2_PT12_llPT13_lli.has_dyn_sized_stack, 0
	.set _ZN12_GLOBAL__N_135rocblas_gemm_batched_general_kernelIDF16_Li16ELi16ELi32ELi32ELi8ELi32ELi8ELi8ELi32ELc78ELc78EKDF16_S1_DF16_EEvlllT_PT11_llS4_llS2_PT12_llPT13_lli.has_recursion, 0
	.set _ZN12_GLOBAL__N_135rocblas_gemm_batched_general_kernelIDF16_Li16ELi16ELi32ELi32ELi8ELi32ELi8ELi8ELi32ELc78ELc78EKDF16_S1_DF16_EEvlllT_PT11_llS4_llS2_PT12_llPT13_lli.has_indirect_call, 0
	.section	.AMDGPU.csdata,"",@progbits
; Kernel info:
; codeLenInByte = 1920
; TotalNumSgprs: 32
; NumVgprs: 30
; ScratchSize: 0
; MemoryBound: 0
; FloatMode: 240
; IeeeMode: 1
; LDSByteSize: 1024 bytes/workgroup (compile time only)
; SGPRBlocks: 0
; VGPRBlocks: 3
; NumSGPRsForWavesPerEU: 32
; NumVGPRsForWavesPerEU: 30
; Occupancy: 16
; WaveLimiterHint : 0
; COMPUTE_PGM_RSRC2:SCRATCH_EN: 0
; COMPUTE_PGM_RSRC2:USER_SGPR: 6
; COMPUTE_PGM_RSRC2:TRAP_HANDLER: 0
; COMPUTE_PGM_RSRC2:TGID_X_EN: 1
; COMPUTE_PGM_RSRC2:TGID_Y_EN: 1
; COMPUTE_PGM_RSRC2:TGID_Z_EN: 1
; COMPUTE_PGM_RSRC2:TIDIG_COMP_CNT: 1
	.section	.text._ZN12_GLOBAL__N_135rocblas_gemm_batched_general_kernelIDF16_Li16ELi16ELi32ELi32ELi8ELi32ELi8ELi8ELi32ELc84ELc78EKDF16_S1_DF16_EEvlllT_PT11_llS4_llS2_PT12_llPT13_lli,"axG",@progbits,_ZN12_GLOBAL__N_135rocblas_gemm_batched_general_kernelIDF16_Li16ELi16ELi32ELi32ELi8ELi32ELi8ELi8ELi32ELc84ELc78EKDF16_S1_DF16_EEvlllT_PT11_llS4_llS2_PT12_llPT13_lli,comdat
	.globl	_ZN12_GLOBAL__N_135rocblas_gemm_batched_general_kernelIDF16_Li16ELi16ELi32ELi32ELi8ELi32ELi8ELi8ELi32ELc84ELc78EKDF16_S1_DF16_EEvlllT_PT11_llS4_llS2_PT12_llPT13_lli ; -- Begin function _ZN12_GLOBAL__N_135rocblas_gemm_batched_general_kernelIDF16_Li16ELi16ELi32ELi32ELi8ELi32ELi8ELi8ELi32ELc84ELc78EKDF16_S1_DF16_EEvlllT_PT11_llS4_llS2_PT12_llPT13_lli
	.p2align	8
	.type	_ZN12_GLOBAL__N_135rocblas_gemm_batched_general_kernelIDF16_Li16ELi16ELi32ELi32ELi8ELi32ELi8ELi8ELi32ELc84ELc78EKDF16_S1_DF16_EEvlllT_PT11_llS4_llS2_PT12_llPT13_lli,@function
_ZN12_GLOBAL__N_135rocblas_gemm_batched_general_kernelIDF16_Li16ELi16ELi32ELi32ELi8ELi32ELi8ELi8ELi32ELc84ELc78EKDF16_S1_DF16_EEvlllT_PT11_llS4_llS2_PT12_llPT13_lli: ; @_ZN12_GLOBAL__N_135rocblas_gemm_batched_general_kernelIDF16_Li16ELi16ELi32ELi32ELi8ELi32ELi8ELi8ELi32ELc84ELc78EKDF16_S1_DF16_EEvlllT_PT11_llS4_llS2_PT12_llPT13_lli
; %bb.0:
	s_clause 0x1
	s_load_dwordx2 s[10:11], s[4:5], 0x10
	s_load_dwordx4 s[20:23], s[4:5], 0x0
	s_mov_b32 s0, s7
	v_mov_b32_e32 v7, 0
	s_ashr_i32 s7, s6, 31
	s_ashr_i32 s1, s0, 31
	s_lshl_b64 s[6:7], s[6:7], 5
	s_waitcnt lgkmcnt(0)
	v_cmp_lt_i64_e64 s2, s[10:11], 1
	s_and_b32 vcc_lo, exec_lo, s2
	s_lshl_b64 s[2:3], s[0:1], 5
	s_cbranch_vccnz .LBB21_7
; %bb.1:
	v_lshlrev_b32_e32 v8, 4, v1
	s_clause 0x1
	s_load_dwordx4 s[24:27], s[4:5], 0x40
	s_load_dwordx8 s[12:19], s[4:5], 0x20
	v_and_b32_e32 v6, 7, v0
	v_mov_b32_e32 v3, s7
	v_add_nc_u32_e32 v2, v8, v0
	v_lshlrev_b32_e32 v14, 1, v6
	v_and_b32_e32 v11, 31, v2
	v_lshrrev_b32_e32 v10, 3, v2
	v_lshrrev_b32_e32 v9, 5, v2
	v_lshlrev_b32_e32 v12, 1, v11
	v_add_co_u32 v4, s0, v10, s2
	v_or_b32_e32 v2, s6, v11
	v_add_co_ci_u32_e64 v5, null, 0, s3, s0
	v_lshl_or_b32 v13, v10, 4, v14
	v_lshl_or_b32 v10, v9, 6, v12
	v_add_co_u32 v12, s1, s6, v11
	v_add_co_ci_u32_e64 v17, null, s7, 0, s1
	v_cmp_gt_i64_e64 s0, s[20:21], v[2:3]
	s_waitcnt lgkmcnt(0)
	v_mul_lo_u32 v15, s25, v4
	v_mul_lo_u32 v16, s24, v5
	v_mad_u64_u32 v[2:3], null, s24, v4, 0
	v_cmp_gt_i64_e64 s1, s[22:23], v[4:5]
	v_mul_lo_u32 v18, s15, v12
	v_mul_lo_u32 v17, s14, v17
	v_mad_u64_u32 v[4:5], null, s14, v12, 0
	s_mul_i32 s9, s27, s8
	v_add3_u32 v3, v3, v16, v15
	s_mul_hi_u32 s14, s26, s8
	v_add_nc_u32_e32 v11, 0x200, v13
	s_add_i32 s15, s14, s9
	s_mul_i32 s14, s26, s8
	v_add3_u32 v5, v5, v17, v18
	v_lshlrev_b64 v[2:3], 1, v[2:3]
	s_lshl_b64 s[14:15], s[14:15], 1
	s_mul_i32 s9, s17, s8
	s_mul_hi_u32 s17, s16, s8
	v_lshlrev_b64 v[4:5], 1, v[4:5]
	s_add_i32 s17, s17, s9
	s_mul_i32 s16, s16, s8
	v_add_co_u32 v2, vcc_lo, v2, s14
	v_add_co_ci_u32_e64 v3, null, s15, v3, vcc_lo
	s_lshl_b64 s[14:15], s[16:17], 1
	v_add_nc_u32_e32 v13, 0x200, v8
	v_add_co_u32 v4, vcc_lo, v4, s14
	v_lshlrev_b32_e32 v8, 1, v9
	v_add_co_ci_u32_e64 v5, null, s15, v5, vcc_lo
	v_add_co_u32 v2, vcc_lo, v2, v14
	v_add_co_ci_u32_e64 v3, null, 0, v3, vcc_lo
	v_add_co_u32 v4, vcc_lo, v4, v8
	;; [unrolled: 2-line block ×4, first 2 shown]
	v_lshlrev_b32_e32 v12, 1, v0
	v_add_co_ci_u32_e64 v5, null, s13, v5, vcc_lo
	v_mov_b32_e32 v8, 0
	s_mov_b64 s[12:13], 0
	s_branch .LBB21_3
.LBB21_2:                               ;   in Loop: Header=BB21_3 Depth=1
	s_or_b32 exec_lo, exec_lo, s9
	s_waitcnt vmcnt(0)
	ds_write_b16 v11, v14
	s_waitcnt lgkmcnt(0)
	s_barrier
	buffer_gl0_inv
	ds_read_u16 v22, v12
	ds_read_u16 v23, v12 offset:64
	ds_read_u16 v24, v12 offset:128
	;; [unrolled: 1-line block ×7, first 2 shown]
	s_add_u32 s12, s12, 8
	s_addc_u32 s13, s13, 0
	v_add_co_u32 v2, vcc_lo, v2, 16
	v_cmp_lt_i64_e64 s9, s[12:13], s[10:11]
	v_add_co_ci_u32_e64 v3, null, 0, v3, vcc_lo
	v_add_co_u32 v4, vcc_lo, v4, 16
	v_add_co_ci_u32_e64 v5, null, 0, v5, vcc_lo
	s_and_b32 vcc_lo, exec_lo, s9
	s_waitcnt lgkmcnt(7)
	ds_read_u16_d16_hi v22, v12 offset:32
	ds_read_b128 v[14:17], v13
	ds_read_b128 v[18:21], v13 offset:256
	s_waitcnt lgkmcnt(9)
	ds_read_u16_d16_hi v23, v12 offset:96
	s_waitcnt lgkmcnt(9)
	ds_read_u16_d16_hi v24, v12 offset:160
	s_waitcnt lgkmcnt(9)
	ds_read_u16_d16_hi v25, v12 offset:224
	s_waitcnt lgkmcnt(9)
	ds_read_u16_d16_hi v26, v12 offset:288
	s_waitcnt lgkmcnt(9)
	ds_read_u16_d16_hi v27, v12 offset:352
	s_waitcnt lgkmcnt(9)
	ds_read_u16_d16_hi v28, v12 offset:416
	s_waitcnt lgkmcnt(9)
	ds_read_u16_d16_hi v29, v12 offset:480
	s_waitcnt lgkmcnt(0)
	s_barrier
	buffer_gl0_inv
	v_pk_fma_f16 v7, v22, v14, v7 op_sel_hi:[1,0,1]
	v_pk_fma_f16 v8, v22, v18, v8 op_sel_hi:[1,0,1]
	v_pk_fma_f16 v7, v23, v14, v7 op_sel:[0,1,0]
	v_pk_fma_f16 v8, v23, v18, v8 op_sel:[0,1,0]
	v_pk_fma_f16 v7, v24, v15, v7 op_sel_hi:[1,0,1]
	v_pk_fma_f16 v8, v24, v19, v8 op_sel_hi:[1,0,1]
	v_pk_fma_f16 v7, v25, v15, v7 op_sel:[0,1,0]
	v_pk_fma_f16 v8, v25, v19, v8 op_sel:[0,1,0]
	;; [unrolled: 4-line block ×4, first 2 shown]
	s_cbranch_vccz .LBB21_8
.LBB21_3:                               ; =>This Inner Loop Header: Depth=1
	v_add_co_u32 v14, s9, v9, s12
	v_add_co_ci_u32_e64 v15, null, 0, s13, s9
	v_cmp_gt_i64_e32 vcc_lo, s[10:11], v[14:15]
	v_mov_b32_e32 v14, 0
	v_mov_b32_e32 v15, 0
	s_and_b32 s14, s0, vcc_lo
	s_and_saveexec_b32 s9, s14
	s_cbranch_execz .LBB21_5
; %bb.4:                                ;   in Loop: Header=BB21_3 Depth=1
	global_load_ushort v15, v[4:5], off
.LBB21_5:                               ;   in Loop: Header=BB21_3 Depth=1
	s_or_b32 exec_lo, exec_lo, s9
	v_add_co_u32 v16, s9, v6, s12
	v_add_co_ci_u32_e64 v17, null, 0, s13, s9
	s_waitcnt vmcnt(0)
	ds_write_b16 v10, v15
	v_cmp_gt_i64_e32 vcc_lo, s[10:11], v[16:17]
	s_and_b32 s14, vcc_lo, s1
	s_and_saveexec_b32 s9, s14
	s_cbranch_execz .LBB21_2
; %bb.6:                                ;   in Loop: Header=BB21_3 Depth=1
	global_load_ushort v14, v[2:3], off
	s_branch .LBB21_2
.LBB21_7:
	v_mov_b32_e32 v8, 0
.LBB21_8:
	s_clause 0x3
	s_load_dwordx4 s[24:27], s[4:5], 0x78
	s_load_dword s9, s[4:5], 0x50
	s_load_dwordx8 s[12:19], s[4:5], 0x58
	s_load_dword s4, s[4:5], 0x18
	v_add_co_u32 v1, s0, s2, v1
	v_add_co_ci_u32_e64 v2, null, s3, 0, s0
	s_waitcnt lgkmcnt(0)
	s_mul_i32 s1, s27, s8
	s_mul_hi_u32 s2, s26, s8
	s_mul_i32 s0, s26, s8
	s_add_i32 s1, s2, s1
	v_cmp_neq_f16_e64 s2, s9, 0
	s_lshl_b64 s[10:11], s[0:1], 1
	v_cmp_gt_i64_e64 s0, s[22:23], v[1:2]
	s_add_u32 s3, s18, s10
	s_addc_u32 s5, s19, s11
	s_and_b32 vcc_lo, exec_lo, s2
	s_cbranch_vccnz .LBB21_21
; %bb.9:
	s_and_saveexec_b32 s10, s0
	s_cbranch_execz .LBB21_19
; %bb.10:
	v_mul_lo_u32 v5, v2, s24
	v_mul_lo_u32 v6, v1, s25
	v_mad_u64_u32 v[3:4], null, v1, s24, 0
	v_add3_u32 v4, v4, v6, v5
	v_add_co_u32 v5, s1, s6, v0
	v_add_co_ci_u32_e64 v6, null, s7, 0, s1
	v_lshlrev_b64 v[9:10], 1, v[3:4]
	v_cmp_gt_i64_e32 vcc_lo, s[20:21], v[5:6]
	v_lshlrev_b64 v[3:4], 1, v[5:6]
	v_add_co_u32 v9, s1, s3, v9
	v_add_co_ci_u32_e64 v10, null, s5, v10, s1
	s_and_saveexec_b32 s2, vcc_lo
	s_cbranch_execz .LBB21_12
; %bb.11:
	v_add_co_u32 v11, s1, v9, v3
	v_add_co_ci_u32_e64 v12, null, v10, v4, s1
	v_mul_f16_e32 v13, s4, v7
	global_store_short v[11:12], v13, off
.LBB21_12:
	s_or_b32 exec_lo, exec_lo, s2
	v_add_co_u32 v5, s1, v5, 16
	v_add_co_ci_u32_e64 v6, null, 0, v6, s1
	v_cmp_gt_i64_e64 s1, s[20:21], v[5:6]
	s_and_saveexec_b32 s11, s1
	s_cbranch_execz .LBB21_14
; %bb.13:
	v_add_co_u32 v5, s2, v9, v3
	v_add_co_ci_u32_e64 v6, null, v10, v4, s2
	v_mul_f16_sdwa v11, s4, v7 dst_sel:DWORD dst_unused:UNUSED_PAD src0_sel:DWORD src1_sel:WORD_1
	global_store_short v[5:6], v11, off offset:32
.LBB21_14:
	s_or_b32 exec_lo, exec_lo, s11
	v_add_co_u32 v5, s2, v1, 16
	v_add_co_ci_u32_e64 v6, null, 0, v2, s2
	v_cmp_gt_i64_e64 s2, s[22:23], v[5:6]
	s_and_b32 exec_lo, exec_lo, s2
	s_cbranch_execz .LBB21_19
; %bb.15:
	s_lshl_b64 s[18:19], s[24:25], 5
	v_add_co_u32 v5, s2, v9, s18
	v_add_co_ci_u32_e64 v6, null, s19, v10, s2
	v_add_co_u32 v3, s2, v5, v3
	v_add_co_ci_u32_e64 v4, null, v6, v4, s2
	s_and_saveexec_b32 s2, vcc_lo
	s_cbranch_execz .LBB21_17
; %bb.16:
	v_mul_f16_e32 v5, s4, v8
	global_store_short v[3:4], v5, off
.LBB21_17:
	s_or_b32 exec_lo, exec_lo, s2
	s_and_b32 exec_lo, exec_lo, s1
	s_cbranch_execz .LBB21_19
; %bb.18:
	v_mul_f16_sdwa v5, s4, v8 dst_sel:DWORD dst_unused:UNUSED_PAD src0_sel:DWORD src1_sel:WORD_1
	global_store_short v[3:4], v5, off offset:32
.LBB21_19:
	s_or_b32 exec_lo, exec_lo, s10
	s_cbranch_execz .LBB21_22
.LBB21_20:
	s_endpgm
.LBB21_21:
.LBB21_22:
	s_and_saveexec_b32 s1, s0
	s_cbranch_execz .LBB21_20
; %bb.23:
	v_mul_lo_u32 v5, v2, s14
	v_mul_lo_u32 v6, v1, s15
	v_mad_u64_u32 v[3:4], null, v1, s14, 0
	v_mul_lo_u32 v11, v2, s24
	v_mul_lo_u32 v12, v1, s25
	v_mad_u64_u32 v[9:10], null, v1, s24, 0
	s_mul_i32 s0, s17, s8
	s_mul_hi_u32 s1, s16, s8
	v_add3_u32 v4, v4, v6, v5
	s_add_i32 s1, s1, s0
	s_mul_i32 s0, s16, s8
	v_add_co_u32 v5, s2, s6, v0
	v_add3_u32 v10, v10, v12, v11
	v_lshlrev_b64 v[3:4], 1, v[3:4]
	s_lshl_b64 s[0:1], s[0:1], 1
	v_add_co_ci_u32_e64 v6, null, s7, 0, s2
	v_lshlrev_b64 v[10:11], 1, v[9:10]
	s_add_u32 s0, s12, s0
	s_addc_u32 s1, s13, s1
	v_add_co_u32 v0, s0, s0, v3
	v_add_co_ci_u32_e64 v9, null, s1, v4, s0
	v_add_co_u32 v10, s0, s3, v10
	v_cmp_gt_i64_e32 vcc_lo, s[20:21], v[5:6]
	v_lshlrev_b64 v[3:4], 1, v[5:6]
	v_add_co_ci_u32_e64 v11, null, s5, v11, s0
	s_and_saveexec_b32 s1, vcc_lo
	s_cbranch_execz .LBB21_25
; %bb.24:
	v_add_co_u32 v12, s0, v0, v3
	v_add_co_ci_u32_e64 v13, null, v9, v4, s0
	global_load_ushort v12, v[12:13], off
	s_waitcnt vmcnt(0)
	v_mul_f16_e32 v14, s9, v12
	v_add_co_u32 v12, s0, v10, v3
	v_add_co_ci_u32_e64 v13, null, v11, v4, s0
	v_fmac_f16_e32 v14, s4, v7
	global_store_short v[12:13], v14, off
.LBB21_25:
	s_or_b32 exec_lo, exec_lo, s1
	v_add_co_u32 v5, s0, v5, 16
	v_add_co_ci_u32_e64 v6, null, 0, v6, s0
	v_cmp_gt_i64_e64 s0, s[20:21], v[5:6]
	s_and_saveexec_b32 s2, s0
	s_cbranch_execz .LBB21_27
; %bb.26:
	v_add_co_u32 v5, s1, v0, v3
	v_add_co_ci_u32_e64 v6, null, v9, v4, s1
	global_load_ushort v5, v[5:6], off offset:32
	v_lshrrev_b32_e32 v6, 16, v7
	s_waitcnt vmcnt(0)
	v_mul_f16_e32 v7, s9, v5
	v_add_co_u32 v5, s1, v10, v3
	v_fmac_f16_e32 v7, s4, v6
	v_add_co_ci_u32_e64 v6, null, v11, v4, s1
	global_store_short v[5:6], v7, off offset:32
.LBB21_27:
	s_or_b32 exec_lo, exec_lo, s2
	v_add_co_u32 v1, s1, v1, 16
	v_add_co_ci_u32_e64 v2, null, 0, v2, s1
	v_cmp_gt_i64_e64 s1, s[22:23], v[1:2]
	s_and_b32 exec_lo, exec_lo, s1
	s_cbranch_execz .LBB21_20
; %bb.28:
	s_lshl_b64 s[2:3], s[14:15], 5
	v_add_co_u32 v0, s1, v0, s2
	v_add_co_ci_u32_e64 v1, null, s3, v9, s1
	s_lshl_b64 s[2:3], s[24:25], 5
	v_add_co_u32 v2, s1, v10, s2
	v_add_co_ci_u32_e64 v7, null, s3, v11, s1
	v_add_co_u32 v5, s1, v0, v3
	v_add_co_ci_u32_e64 v6, null, v1, v4, s1
	;; [unrolled: 2-line block ×3, first 2 shown]
	s_and_saveexec_b32 s1, vcc_lo
	s_cbranch_execz .LBB21_30
; %bb.29:
	global_load_ushort v2, v[5:6], off
	s_waitcnt vmcnt(0)
	v_mul_f16_e32 v2, s9, v2
	v_fmac_f16_e32 v2, s4, v8
	global_store_short v[0:1], v2, off
.LBB21_30:
	s_or_b32 exec_lo, exec_lo, s1
	s_and_b32 exec_lo, exec_lo, s0
	s_cbranch_execz .LBB21_20
; %bb.31:
	global_load_ushort v2, v[5:6], off offset:32
	v_lshrrev_b32_e32 v3, 16, v8
	s_waitcnt vmcnt(0)
	v_mul_f16_e32 v2, s9, v2
	v_fmac_f16_e32 v2, s4, v3
	global_store_short v[0:1], v2, off offset:32
	s_endpgm
	.section	.rodata,"a",@progbits
	.p2align	6, 0x0
	.amdhsa_kernel _ZN12_GLOBAL__N_135rocblas_gemm_batched_general_kernelIDF16_Li16ELi16ELi32ELi32ELi8ELi32ELi8ELi8ELi32ELc84ELc78EKDF16_S1_DF16_EEvlllT_PT11_llS4_llS2_PT12_llPT13_lli
		.amdhsa_group_segment_fixed_size 1024
		.amdhsa_private_segment_fixed_size 0
		.amdhsa_kernarg_size 140
		.amdhsa_user_sgpr_count 6
		.amdhsa_user_sgpr_private_segment_buffer 1
		.amdhsa_user_sgpr_dispatch_ptr 0
		.amdhsa_user_sgpr_queue_ptr 0
		.amdhsa_user_sgpr_kernarg_segment_ptr 1
		.amdhsa_user_sgpr_dispatch_id 0
		.amdhsa_user_sgpr_flat_scratch_init 0
		.amdhsa_user_sgpr_private_segment_size 0
		.amdhsa_wavefront_size32 1
		.amdhsa_uses_dynamic_stack 0
		.amdhsa_system_sgpr_private_segment_wavefront_offset 0
		.amdhsa_system_sgpr_workgroup_id_x 1
		.amdhsa_system_sgpr_workgroup_id_y 1
		.amdhsa_system_sgpr_workgroup_id_z 1
		.amdhsa_system_sgpr_workgroup_info 0
		.amdhsa_system_vgpr_workitem_id 1
		.amdhsa_next_free_vgpr 30
		.amdhsa_next_free_sgpr 28
		.amdhsa_reserve_vcc 1
		.amdhsa_reserve_flat_scratch 0
		.amdhsa_float_round_mode_32 0
		.amdhsa_float_round_mode_16_64 0
		.amdhsa_float_denorm_mode_32 3
		.amdhsa_float_denorm_mode_16_64 3
		.amdhsa_dx10_clamp 1
		.amdhsa_ieee_mode 1
		.amdhsa_fp16_overflow 0
		.amdhsa_workgroup_processor_mode 1
		.amdhsa_memory_ordered 1
		.amdhsa_forward_progress 1
		.amdhsa_shared_vgpr_count 0
		.amdhsa_exception_fp_ieee_invalid_op 0
		.amdhsa_exception_fp_denorm_src 0
		.amdhsa_exception_fp_ieee_div_zero 0
		.amdhsa_exception_fp_ieee_overflow 0
		.amdhsa_exception_fp_ieee_underflow 0
		.amdhsa_exception_fp_ieee_inexact 0
		.amdhsa_exception_int_div_zero 0
	.end_amdhsa_kernel
	.section	.text._ZN12_GLOBAL__N_135rocblas_gemm_batched_general_kernelIDF16_Li16ELi16ELi32ELi32ELi8ELi32ELi8ELi8ELi32ELc84ELc78EKDF16_S1_DF16_EEvlllT_PT11_llS4_llS2_PT12_llPT13_lli,"axG",@progbits,_ZN12_GLOBAL__N_135rocblas_gemm_batched_general_kernelIDF16_Li16ELi16ELi32ELi32ELi8ELi32ELi8ELi8ELi32ELc84ELc78EKDF16_S1_DF16_EEvlllT_PT11_llS4_llS2_PT12_llPT13_lli,comdat
.Lfunc_end21:
	.size	_ZN12_GLOBAL__N_135rocblas_gemm_batched_general_kernelIDF16_Li16ELi16ELi32ELi32ELi8ELi32ELi8ELi8ELi32ELc84ELc78EKDF16_S1_DF16_EEvlllT_PT11_llS4_llS2_PT12_llPT13_lli, .Lfunc_end21-_ZN12_GLOBAL__N_135rocblas_gemm_batched_general_kernelIDF16_Li16ELi16ELi32ELi32ELi8ELi32ELi8ELi8ELi32ELc84ELc78EKDF16_S1_DF16_EEvlllT_PT11_llS4_llS2_PT12_llPT13_lli
                                        ; -- End function
	.set _ZN12_GLOBAL__N_135rocblas_gemm_batched_general_kernelIDF16_Li16ELi16ELi32ELi32ELi8ELi32ELi8ELi8ELi32ELc84ELc78EKDF16_S1_DF16_EEvlllT_PT11_llS4_llS2_PT12_llPT13_lli.num_vgpr, 30
	.set _ZN12_GLOBAL__N_135rocblas_gemm_batched_general_kernelIDF16_Li16ELi16ELi32ELi32ELi8ELi32ELi8ELi8ELi32ELc84ELc78EKDF16_S1_DF16_EEvlllT_PT11_llS4_llS2_PT12_llPT13_lli.num_agpr, 0
	.set _ZN12_GLOBAL__N_135rocblas_gemm_batched_general_kernelIDF16_Li16ELi16ELi32ELi32ELi8ELi32ELi8ELi8ELi32ELc84ELc78EKDF16_S1_DF16_EEvlllT_PT11_llS4_llS2_PT12_llPT13_lli.numbered_sgpr, 28
	.set _ZN12_GLOBAL__N_135rocblas_gemm_batched_general_kernelIDF16_Li16ELi16ELi32ELi32ELi8ELi32ELi8ELi8ELi32ELc84ELc78EKDF16_S1_DF16_EEvlllT_PT11_llS4_llS2_PT12_llPT13_lli.num_named_barrier, 0
	.set _ZN12_GLOBAL__N_135rocblas_gemm_batched_general_kernelIDF16_Li16ELi16ELi32ELi32ELi8ELi32ELi8ELi8ELi32ELc84ELc78EKDF16_S1_DF16_EEvlllT_PT11_llS4_llS2_PT12_llPT13_lli.private_seg_size, 0
	.set _ZN12_GLOBAL__N_135rocblas_gemm_batched_general_kernelIDF16_Li16ELi16ELi32ELi32ELi8ELi32ELi8ELi8ELi32ELc84ELc78EKDF16_S1_DF16_EEvlllT_PT11_llS4_llS2_PT12_llPT13_lli.uses_vcc, 1
	.set _ZN12_GLOBAL__N_135rocblas_gemm_batched_general_kernelIDF16_Li16ELi16ELi32ELi32ELi8ELi32ELi8ELi8ELi32ELc84ELc78EKDF16_S1_DF16_EEvlllT_PT11_llS4_llS2_PT12_llPT13_lli.uses_flat_scratch, 0
	.set _ZN12_GLOBAL__N_135rocblas_gemm_batched_general_kernelIDF16_Li16ELi16ELi32ELi32ELi8ELi32ELi8ELi8ELi32ELc84ELc78EKDF16_S1_DF16_EEvlllT_PT11_llS4_llS2_PT12_llPT13_lli.has_dyn_sized_stack, 0
	.set _ZN12_GLOBAL__N_135rocblas_gemm_batched_general_kernelIDF16_Li16ELi16ELi32ELi32ELi8ELi32ELi8ELi8ELi32ELc84ELc78EKDF16_S1_DF16_EEvlllT_PT11_llS4_llS2_PT12_llPT13_lli.has_recursion, 0
	.set _ZN12_GLOBAL__N_135rocblas_gemm_batched_general_kernelIDF16_Li16ELi16ELi32ELi32ELi8ELi32ELi8ELi8ELi32ELc84ELc78EKDF16_S1_DF16_EEvlllT_PT11_llS4_llS2_PT12_llPT13_lli.has_indirect_call, 0
	.section	.AMDGPU.csdata,"",@progbits
; Kernel info:
; codeLenInByte = 1936
; TotalNumSgprs: 30
; NumVgprs: 30
; ScratchSize: 0
; MemoryBound: 0
; FloatMode: 240
; IeeeMode: 1
; LDSByteSize: 1024 bytes/workgroup (compile time only)
; SGPRBlocks: 0
; VGPRBlocks: 3
; NumSGPRsForWavesPerEU: 30
; NumVGPRsForWavesPerEU: 30
; Occupancy: 16
; WaveLimiterHint : 0
; COMPUTE_PGM_RSRC2:SCRATCH_EN: 0
; COMPUTE_PGM_RSRC2:USER_SGPR: 6
; COMPUTE_PGM_RSRC2:TRAP_HANDLER: 0
; COMPUTE_PGM_RSRC2:TGID_X_EN: 1
; COMPUTE_PGM_RSRC2:TGID_Y_EN: 1
; COMPUTE_PGM_RSRC2:TGID_Z_EN: 1
; COMPUTE_PGM_RSRC2:TIDIG_COMP_CNT: 1
	.section	.text._ZN12_GLOBAL__N_135rocblas_gemm_batched_general_kernelIDF16_Li16ELi16ELi32ELi32ELi8ELi32ELi8ELi8ELi32ELc78ELc84EKDF16_S1_DF16_EEvlllT_PT11_llS4_llS2_PT12_llPT13_lli,"axG",@progbits,_ZN12_GLOBAL__N_135rocblas_gemm_batched_general_kernelIDF16_Li16ELi16ELi32ELi32ELi8ELi32ELi8ELi8ELi32ELc78ELc84EKDF16_S1_DF16_EEvlllT_PT11_llS4_llS2_PT12_llPT13_lli,comdat
	.globl	_ZN12_GLOBAL__N_135rocblas_gemm_batched_general_kernelIDF16_Li16ELi16ELi32ELi32ELi8ELi32ELi8ELi8ELi32ELc78ELc84EKDF16_S1_DF16_EEvlllT_PT11_llS4_llS2_PT12_llPT13_lli ; -- Begin function _ZN12_GLOBAL__N_135rocblas_gemm_batched_general_kernelIDF16_Li16ELi16ELi32ELi32ELi8ELi32ELi8ELi8ELi32ELc78ELc84EKDF16_S1_DF16_EEvlllT_PT11_llS4_llS2_PT12_llPT13_lli
	.p2align	8
	.type	_ZN12_GLOBAL__N_135rocblas_gemm_batched_general_kernelIDF16_Li16ELi16ELi32ELi32ELi8ELi32ELi8ELi8ELi32ELc78ELc84EKDF16_S1_DF16_EEvlllT_PT11_llS4_llS2_PT12_llPT13_lli,@function
_ZN12_GLOBAL__N_135rocblas_gemm_batched_general_kernelIDF16_Li16ELi16ELi32ELi32ELi8ELi32ELi8ELi8ELi32ELc78ELc84EKDF16_S1_DF16_EEvlllT_PT11_llS4_llS2_PT12_llPT13_lli: ; @_ZN12_GLOBAL__N_135rocblas_gemm_batched_general_kernelIDF16_Li16ELi16ELi32ELi32ELi8ELi32ELi8ELi8ELi32ELc78ELc84EKDF16_S1_DF16_EEvlllT_PT11_llS4_llS2_PT12_llPT13_lli
; %bb.0:
	s_clause 0x1
	s_load_dwordx2 s[28:29], s[4:5], 0x10
	s_load_dwordx4 s[20:23], s[4:5], 0x0
	s_mov_b32 s0, s7
	v_mov_b32_e32 v7, 0
	s_ashr_i32 s7, s6, 31
	s_ashr_i32 s1, s0, 31
	s_lshl_b64 s[10:11], s[6:7], 5
	s_waitcnt lgkmcnt(0)
	v_cmp_lt_i64_e64 s2, s[28:29], 1
	s_and_b32 vcc_lo, exec_lo, s2
	s_lshl_b64 s[2:3], s[0:1], 5
	s_cbranch_vccnz .LBB22_7
; %bb.1:
	s_load_dwordx4 s[24:27], s[4:5], 0x40
	v_lshlrev_b32_e32 v2, 4, v1
	s_load_dwordx8 s[12:19], s[4:5], 0x20
	v_and_b32_e32 v6, 7, v0
	v_mov_b32_e32 v3, s11
	s_lshl_b64 s[30:31], s[0:1], 6
	v_add_nc_u32_e32 v4, v2, v0
	v_add_nc_u32_e32 v10, 0x200, v2
	v_lshlrev_b32_e32 v8, 1, v6
	v_lshlrev_b32_e32 v9, 1, v0
	v_and_b32_e32 v5, 31, v4
	v_lshrrev_b32_e32 v11, 5, v4
	v_lshrrev_b32_e32 v12, 3, v4
	v_or_b32_e32 v2, s10, v5
	v_lshlrev_b32_e32 v17, 1, v5
	v_add_co_u32 v13, s0, v12, s2
	s_waitcnt lgkmcnt(0)
	v_mad_u64_u32 v[4:5], null, s24, v6, 0
	v_add_co_ci_u32_e64 v14, null, 0, s3, s0
	v_cmp_gt_i64_e64 s0, s[20:21], v[2:3]
	v_mad_u64_u32 v[15:16], null, s14, v11, 0
	s_mul_i32 s9, s27, s8
	v_mov_b32_e32 v2, v5
	s_mul_hi_u32 s27, s26, s8
	s_mul_i32 s26, s26, s8
	s_add_i32 s27, s27, s9
	s_mul_i32 s17, s17, s8
	v_mad_u64_u32 v[2:3], null, s25, v6, v[2:3]
	v_mov_b32_e32 v3, v16
	s_lshl_b64 s[26:27], s[26:27], 1
	s_mul_hi_u32 s33, s16, s8
	s_add_u32 s9, s30, s26
	s_mul_i32 s16, s16, s8
	s_addc_u32 s26, s31, s27
	v_mov_b32_e32 v5, v2
	v_mad_u64_u32 v[2:3], null, s15, v11, v[3:4]
	s_add_i32 s17, s33, s17
	v_lshlrev_b32_e32 v18, 1, v12
	v_lshlrev_b64 v[3:4], 1, v[4:5]
	s_lshl_b64 s[16:17], s[16:17], 1
	v_lshl_or_b32 v8, v12, 4, v8
	v_cmp_gt_i64_e64 s1, s[22:23], v[13:14]
	v_mov_b32_e32 v16, v2
	v_lshl_or_b32 v12, v11, 6, v17
	v_add_co_u32 v5, vcc_lo, s9, v3
	v_add_co_ci_u32_e64 v4, null, s26, v4, vcc_lo
	v_lshlrev_b64 v[2:3], 1, v[15:16]
	s_lshl_b64 s[26:27], s[6:7], 6
	s_lshl_b64 s[6:7], s[24:25], 4
	s_add_u32 s9, s26, s16
	s_addc_u32 s16, s27, s17
	v_add_nc_u32_e32 v13, 0x200, v8
	v_add_co_u32 v2, vcc_lo, s9, v2
	v_add_co_ci_u32_e64 v3, null, s16, v3, vcc_lo
	v_add_co_u32 v5, vcc_lo, v5, v18
	v_add_co_ci_u32_e64 v4, null, 0, v4, vcc_lo
	;; [unrolled: 2-line block ×5, first 2 shown]
	v_mov_b32_e32 v8, 0
	s_lshl_b64 s[12:13], s[14:15], 4
	s_mov_b64 s[14:15], 0
	s_branch .LBB22_3
.LBB22_2:                               ;   in Loop: Header=BB22_3 Depth=1
	s_or_b32 exec_lo, exec_lo, s9
	s_waitcnt vmcnt(0)
	ds_write_b16 v13, v14
	s_waitcnt lgkmcnt(0)
	s_barrier
	buffer_gl0_inv
	ds_read_u16 v22, v9
	ds_read_u16 v23, v9 offset:64
	ds_read_u16 v24, v9 offset:128
	;; [unrolled: 1-line block ×7, first 2 shown]
	s_add_u32 s14, s14, 8
	s_addc_u32 s15, s15, 0
	v_add_co_u32 v2, vcc_lo, v2, s6
	v_cmp_lt_i64_e64 s9, s[14:15], s[28:29]
	v_add_co_ci_u32_e64 v3, null, s7, v3, vcc_lo
	v_add_co_u32 v4, vcc_lo, v4, s12
	v_add_co_ci_u32_e64 v5, null, s13, v5, vcc_lo
	s_and_b32 vcc_lo, exec_lo, s9
	s_waitcnt lgkmcnt(7)
	ds_read_u16_d16_hi v22, v9 offset:32
	ds_read_b128 v[14:17], v10
	ds_read_b128 v[18:21], v10 offset:256
	s_waitcnt lgkmcnt(9)
	ds_read_u16_d16_hi v23, v9 offset:96
	s_waitcnt lgkmcnt(9)
	ds_read_u16_d16_hi v24, v9 offset:160
	;; [unrolled: 2-line block ×7, first 2 shown]
	s_waitcnt lgkmcnt(0)
	s_barrier
	buffer_gl0_inv
	v_pk_fma_f16 v7, v22, v14, v7 op_sel_hi:[1,0,1]
	v_pk_fma_f16 v8, v22, v18, v8 op_sel_hi:[1,0,1]
	v_pk_fma_f16 v7, v23, v14, v7 op_sel:[0,1,0]
	v_pk_fma_f16 v8, v23, v18, v8 op_sel:[0,1,0]
	v_pk_fma_f16 v7, v24, v15, v7 op_sel_hi:[1,0,1]
	v_pk_fma_f16 v8, v24, v19, v8 op_sel_hi:[1,0,1]
	v_pk_fma_f16 v7, v25, v15, v7 op_sel:[0,1,0]
	v_pk_fma_f16 v8, v25, v19, v8 op_sel:[0,1,0]
	;; [unrolled: 4-line block ×4, first 2 shown]
	s_cbranch_vccz .LBB22_8
.LBB22_3:                               ; =>This Inner Loop Header: Depth=1
	v_add_co_u32 v14, s9, v11, s14
	v_add_co_ci_u32_e64 v15, null, 0, s15, s9
	v_cmp_gt_i64_e32 vcc_lo, s[28:29], v[14:15]
	v_mov_b32_e32 v14, 0
	v_mov_b32_e32 v15, 0
	s_and_b32 s16, s0, vcc_lo
	s_and_saveexec_b32 s9, s16
	s_cbranch_execz .LBB22_5
; %bb.4:                                ;   in Loop: Header=BB22_3 Depth=1
	global_load_ushort v15, v[4:5], off
.LBB22_5:                               ;   in Loop: Header=BB22_3 Depth=1
	s_or_b32 exec_lo, exec_lo, s9
	v_add_co_u32 v16, s9, v6, s14
	v_add_co_ci_u32_e64 v17, null, 0, s15, s9
	s_waitcnt vmcnt(0)
	ds_write_b16 v12, v15
	v_cmp_gt_i64_e32 vcc_lo, s[28:29], v[16:17]
	s_and_b32 s16, vcc_lo, s1
	s_and_saveexec_b32 s9, s16
	s_cbranch_execz .LBB22_2
; %bb.6:                                ;   in Loop: Header=BB22_3 Depth=1
	global_load_ushort v14, v[2:3], off
	s_branch .LBB22_2
.LBB22_7:
	v_mov_b32_e32 v8, 0
.LBB22_8:
	s_clause 0x3
	s_load_dwordx4 s[24:27], s[4:5], 0x78
	s_load_dword s6, s[4:5], 0x50
	s_load_dwordx8 s[12:19], s[4:5], 0x58
	s_load_dword s4, s[4:5], 0x18
	v_add_co_u32 v1, s0, s2, v1
	v_add_co_ci_u32_e64 v2, null, s3, 0, s0
	s_waitcnt lgkmcnt(0)
	s_mul_i32 s1, s27, s8
	s_mul_hi_u32 s2, s26, s8
	s_mul_i32 s0, s26, s8
	s_add_i32 s1, s2, s1
	v_cmp_neq_f16_e64 s2, s6, 0
	s_lshl_b64 s[26:27], s[0:1], 1
	v_cmp_gt_i64_e64 s0, s[22:23], v[1:2]
	s_add_u32 s3, s18, s26
	s_addc_u32 s5, s19, s27
	s_and_b32 vcc_lo, exec_lo, s2
	s_cbranch_vccnz .LBB22_21
; %bb.9:
	s_and_saveexec_b32 s7, s0
	s_cbranch_execz .LBB22_19
; %bb.10:
	v_mul_lo_u32 v5, v2, s24
	v_mul_lo_u32 v6, v1, s25
	v_mad_u64_u32 v[3:4], null, v1, s24, 0
	v_add3_u32 v4, v4, v6, v5
	v_add_co_u32 v5, s1, s10, v0
	v_add_co_ci_u32_e64 v6, null, s11, 0, s1
	v_lshlrev_b64 v[9:10], 1, v[3:4]
	v_cmp_gt_i64_e32 vcc_lo, s[20:21], v[5:6]
	v_lshlrev_b64 v[3:4], 1, v[5:6]
	v_add_co_u32 v9, s1, s3, v9
	v_add_co_ci_u32_e64 v10, null, s5, v10, s1
	s_and_saveexec_b32 s2, vcc_lo
	s_cbranch_execz .LBB22_12
; %bb.11:
	v_add_co_u32 v11, s1, v9, v3
	v_add_co_ci_u32_e64 v12, null, v10, v4, s1
	v_mul_f16_e32 v13, s4, v7
	global_store_short v[11:12], v13, off
.LBB22_12:
	s_or_b32 exec_lo, exec_lo, s2
	v_add_co_u32 v5, s1, v5, 16
	v_add_co_ci_u32_e64 v6, null, 0, v6, s1
	v_cmp_gt_i64_e64 s1, s[20:21], v[5:6]
	s_and_saveexec_b32 s9, s1
	s_cbranch_execz .LBB22_14
; %bb.13:
	v_add_co_u32 v5, s2, v9, v3
	v_add_co_ci_u32_e64 v6, null, v10, v4, s2
	v_mul_f16_sdwa v11, s4, v7 dst_sel:DWORD dst_unused:UNUSED_PAD src0_sel:DWORD src1_sel:WORD_1
	global_store_short v[5:6], v11, off offset:32
.LBB22_14:
	s_or_b32 exec_lo, exec_lo, s9
	v_add_co_u32 v5, s2, v1, 16
	v_add_co_ci_u32_e64 v6, null, 0, v2, s2
	v_cmp_gt_i64_e64 s2, s[22:23], v[5:6]
	s_and_b32 exec_lo, exec_lo, s2
	s_cbranch_execz .LBB22_19
; %bb.15:
	s_lshl_b64 s[18:19], s[24:25], 5
	v_add_co_u32 v5, s2, v9, s18
	v_add_co_ci_u32_e64 v6, null, s19, v10, s2
	v_add_co_u32 v3, s2, v5, v3
	v_add_co_ci_u32_e64 v4, null, v6, v4, s2
	s_and_saveexec_b32 s2, vcc_lo
	s_cbranch_execz .LBB22_17
; %bb.16:
	v_mul_f16_e32 v5, s4, v8
	global_store_short v[3:4], v5, off
.LBB22_17:
	s_or_b32 exec_lo, exec_lo, s2
	s_and_b32 exec_lo, exec_lo, s1
	s_cbranch_execz .LBB22_19
; %bb.18:
	v_mul_f16_sdwa v5, s4, v8 dst_sel:DWORD dst_unused:UNUSED_PAD src0_sel:DWORD src1_sel:WORD_1
	global_store_short v[3:4], v5, off offset:32
.LBB22_19:
	s_or_b32 exec_lo, exec_lo, s7
	s_cbranch_execz .LBB22_22
.LBB22_20:
	s_endpgm
.LBB22_21:
.LBB22_22:
	s_and_saveexec_b32 s1, s0
	s_cbranch_execz .LBB22_20
; %bb.23:
	v_mul_lo_u32 v5, v2, s14
	v_mul_lo_u32 v6, v1, s15
	v_mad_u64_u32 v[3:4], null, v1, s14, 0
	v_mul_lo_u32 v11, v2, s24
	v_mul_lo_u32 v12, v1, s25
	v_mad_u64_u32 v[9:10], null, v1, s24, 0
	s_mul_i32 s0, s17, s8
	s_mul_hi_u32 s1, s16, s8
	v_add3_u32 v4, v4, v6, v5
	s_add_i32 s1, s1, s0
	s_mul_i32 s0, s16, s8
	v_add_co_u32 v5, s2, s10, v0
	v_add3_u32 v10, v10, v12, v11
	v_lshlrev_b64 v[3:4], 1, v[3:4]
	s_lshl_b64 s[0:1], s[0:1], 1
	v_add_co_ci_u32_e64 v6, null, s11, 0, s2
	v_lshlrev_b64 v[10:11], 1, v[9:10]
	s_add_u32 s0, s12, s0
	s_addc_u32 s1, s13, s1
	v_add_co_u32 v0, s0, s0, v3
	v_add_co_ci_u32_e64 v9, null, s1, v4, s0
	v_add_co_u32 v10, s0, s3, v10
	v_cmp_gt_i64_e32 vcc_lo, s[20:21], v[5:6]
	v_lshlrev_b64 v[3:4], 1, v[5:6]
	v_add_co_ci_u32_e64 v11, null, s5, v11, s0
	s_and_saveexec_b32 s1, vcc_lo
	s_cbranch_execz .LBB22_25
; %bb.24:
	v_add_co_u32 v12, s0, v0, v3
	v_add_co_ci_u32_e64 v13, null, v9, v4, s0
	global_load_ushort v12, v[12:13], off
	s_waitcnt vmcnt(0)
	v_mul_f16_e32 v14, s6, v12
	v_add_co_u32 v12, s0, v10, v3
	v_add_co_ci_u32_e64 v13, null, v11, v4, s0
	v_fmac_f16_e32 v14, s4, v7
	global_store_short v[12:13], v14, off
.LBB22_25:
	s_or_b32 exec_lo, exec_lo, s1
	v_add_co_u32 v5, s0, v5, 16
	v_add_co_ci_u32_e64 v6, null, 0, v6, s0
	v_cmp_gt_i64_e64 s0, s[20:21], v[5:6]
	s_and_saveexec_b32 s2, s0
	s_cbranch_execz .LBB22_27
; %bb.26:
	v_add_co_u32 v5, s1, v0, v3
	v_add_co_ci_u32_e64 v6, null, v9, v4, s1
	global_load_ushort v5, v[5:6], off offset:32
	v_lshrrev_b32_e32 v6, 16, v7
	s_waitcnt vmcnt(0)
	v_mul_f16_e32 v7, s6, v5
	v_add_co_u32 v5, s1, v10, v3
	v_fmac_f16_e32 v7, s4, v6
	v_add_co_ci_u32_e64 v6, null, v11, v4, s1
	global_store_short v[5:6], v7, off offset:32
.LBB22_27:
	s_or_b32 exec_lo, exec_lo, s2
	v_add_co_u32 v1, s1, v1, 16
	v_add_co_ci_u32_e64 v2, null, 0, v2, s1
	v_cmp_gt_i64_e64 s1, s[22:23], v[1:2]
	s_and_b32 exec_lo, exec_lo, s1
	s_cbranch_execz .LBB22_20
; %bb.28:
	s_lshl_b64 s[2:3], s[14:15], 5
	v_add_co_u32 v0, s1, v0, s2
	v_add_co_ci_u32_e64 v1, null, s3, v9, s1
	s_lshl_b64 s[2:3], s[24:25], 5
	v_add_co_u32 v2, s1, v10, s2
	v_add_co_ci_u32_e64 v7, null, s3, v11, s1
	v_add_co_u32 v5, s1, v0, v3
	v_add_co_ci_u32_e64 v6, null, v1, v4, s1
	;; [unrolled: 2-line block ×3, first 2 shown]
	s_and_saveexec_b32 s1, vcc_lo
	s_cbranch_execz .LBB22_30
; %bb.29:
	global_load_ushort v2, v[5:6], off
	s_waitcnt vmcnt(0)
	v_mul_f16_e32 v2, s6, v2
	v_fmac_f16_e32 v2, s4, v8
	global_store_short v[0:1], v2, off
.LBB22_30:
	s_or_b32 exec_lo, exec_lo, s1
	s_and_b32 exec_lo, exec_lo, s0
	s_cbranch_execz .LBB22_20
; %bb.31:
	global_load_ushort v2, v[5:6], off offset:32
	v_lshrrev_b32_e32 v3, 16, v8
	s_waitcnt vmcnt(0)
	v_mul_f16_e32 v2, s6, v2
	v_fmac_f16_e32 v2, s4, v3
	global_store_short v[0:1], v2, off offset:32
	s_endpgm
	.section	.rodata,"a",@progbits
	.p2align	6, 0x0
	.amdhsa_kernel _ZN12_GLOBAL__N_135rocblas_gemm_batched_general_kernelIDF16_Li16ELi16ELi32ELi32ELi8ELi32ELi8ELi8ELi32ELc78ELc84EKDF16_S1_DF16_EEvlllT_PT11_llS4_llS2_PT12_llPT13_lli
		.amdhsa_group_segment_fixed_size 1024
		.amdhsa_private_segment_fixed_size 0
		.amdhsa_kernarg_size 140
		.amdhsa_user_sgpr_count 6
		.amdhsa_user_sgpr_private_segment_buffer 1
		.amdhsa_user_sgpr_dispatch_ptr 0
		.amdhsa_user_sgpr_queue_ptr 0
		.amdhsa_user_sgpr_kernarg_segment_ptr 1
		.amdhsa_user_sgpr_dispatch_id 0
		.amdhsa_user_sgpr_flat_scratch_init 0
		.amdhsa_user_sgpr_private_segment_size 0
		.amdhsa_wavefront_size32 1
		.amdhsa_uses_dynamic_stack 0
		.amdhsa_system_sgpr_private_segment_wavefront_offset 0
		.amdhsa_system_sgpr_workgroup_id_x 1
		.amdhsa_system_sgpr_workgroup_id_y 1
		.amdhsa_system_sgpr_workgroup_id_z 1
		.amdhsa_system_sgpr_workgroup_info 0
		.amdhsa_system_vgpr_workitem_id 1
		.amdhsa_next_free_vgpr 30
		.amdhsa_next_free_sgpr 34
		.amdhsa_reserve_vcc 1
		.amdhsa_reserve_flat_scratch 0
		.amdhsa_float_round_mode_32 0
		.amdhsa_float_round_mode_16_64 0
		.amdhsa_float_denorm_mode_32 3
		.amdhsa_float_denorm_mode_16_64 3
		.amdhsa_dx10_clamp 1
		.amdhsa_ieee_mode 1
		.amdhsa_fp16_overflow 0
		.amdhsa_workgroup_processor_mode 1
		.amdhsa_memory_ordered 1
		.amdhsa_forward_progress 1
		.amdhsa_shared_vgpr_count 0
		.amdhsa_exception_fp_ieee_invalid_op 0
		.amdhsa_exception_fp_denorm_src 0
		.amdhsa_exception_fp_ieee_div_zero 0
		.amdhsa_exception_fp_ieee_overflow 0
		.amdhsa_exception_fp_ieee_underflow 0
		.amdhsa_exception_fp_ieee_inexact 0
		.amdhsa_exception_int_div_zero 0
	.end_amdhsa_kernel
	.section	.text._ZN12_GLOBAL__N_135rocblas_gemm_batched_general_kernelIDF16_Li16ELi16ELi32ELi32ELi8ELi32ELi8ELi8ELi32ELc78ELc84EKDF16_S1_DF16_EEvlllT_PT11_llS4_llS2_PT12_llPT13_lli,"axG",@progbits,_ZN12_GLOBAL__N_135rocblas_gemm_batched_general_kernelIDF16_Li16ELi16ELi32ELi32ELi8ELi32ELi8ELi8ELi32ELc78ELc84EKDF16_S1_DF16_EEvlllT_PT11_llS4_llS2_PT12_llPT13_lli,comdat
.Lfunc_end22:
	.size	_ZN12_GLOBAL__N_135rocblas_gemm_batched_general_kernelIDF16_Li16ELi16ELi32ELi32ELi8ELi32ELi8ELi8ELi32ELc78ELc84EKDF16_S1_DF16_EEvlllT_PT11_llS4_llS2_PT12_llPT13_lli, .Lfunc_end22-_ZN12_GLOBAL__N_135rocblas_gemm_batched_general_kernelIDF16_Li16ELi16ELi32ELi32ELi8ELi32ELi8ELi8ELi32ELc78ELc84EKDF16_S1_DF16_EEvlllT_PT11_llS4_llS2_PT12_llPT13_lli
                                        ; -- End function
	.set _ZN12_GLOBAL__N_135rocblas_gemm_batched_general_kernelIDF16_Li16ELi16ELi32ELi32ELi8ELi32ELi8ELi8ELi32ELc78ELc84EKDF16_S1_DF16_EEvlllT_PT11_llS4_llS2_PT12_llPT13_lli.num_vgpr, 30
	.set _ZN12_GLOBAL__N_135rocblas_gemm_batched_general_kernelIDF16_Li16ELi16ELi32ELi32ELi8ELi32ELi8ELi8ELi32ELc78ELc84EKDF16_S1_DF16_EEvlllT_PT11_llS4_llS2_PT12_llPT13_lli.num_agpr, 0
	.set _ZN12_GLOBAL__N_135rocblas_gemm_batched_general_kernelIDF16_Li16ELi16ELi32ELi32ELi8ELi32ELi8ELi8ELi32ELc78ELc84EKDF16_S1_DF16_EEvlllT_PT11_llS4_llS2_PT12_llPT13_lli.numbered_sgpr, 34
	.set _ZN12_GLOBAL__N_135rocblas_gemm_batched_general_kernelIDF16_Li16ELi16ELi32ELi32ELi8ELi32ELi8ELi8ELi32ELc78ELc84EKDF16_S1_DF16_EEvlllT_PT11_llS4_llS2_PT12_llPT13_lli.num_named_barrier, 0
	.set _ZN12_GLOBAL__N_135rocblas_gemm_batched_general_kernelIDF16_Li16ELi16ELi32ELi32ELi8ELi32ELi8ELi8ELi32ELc78ELc84EKDF16_S1_DF16_EEvlllT_PT11_llS4_llS2_PT12_llPT13_lli.private_seg_size, 0
	.set _ZN12_GLOBAL__N_135rocblas_gemm_batched_general_kernelIDF16_Li16ELi16ELi32ELi32ELi8ELi32ELi8ELi8ELi32ELc78ELc84EKDF16_S1_DF16_EEvlllT_PT11_llS4_llS2_PT12_llPT13_lli.uses_vcc, 1
	.set _ZN12_GLOBAL__N_135rocblas_gemm_batched_general_kernelIDF16_Li16ELi16ELi32ELi32ELi8ELi32ELi8ELi8ELi32ELc78ELc84EKDF16_S1_DF16_EEvlllT_PT11_llS4_llS2_PT12_llPT13_lli.uses_flat_scratch, 0
	.set _ZN12_GLOBAL__N_135rocblas_gemm_batched_general_kernelIDF16_Li16ELi16ELi32ELi32ELi8ELi32ELi8ELi8ELi32ELc78ELc84EKDF16_S1_DF16_EEvlllT_PT11_llS4_llS2_PT12_llPT13_lli.has_dyn_sized_stack, 0
	.set _ZN12_GLOBAL__N_135rocblas_gemm_batched_general_kernelIDF16_Li16ELi16ELi32ELi32ELi8ELi32ELi8ELi8ELi32ELc78ELc84EKDF16_S1_DF16_EEvlllT_PT11_llS4_llS2_PT12_llPT13_lli.has_recursion, 0
	.set _ZN12_GLOBAL__N_135rocblas_gemm_batched_general_kernelIDF16_Li16ELi16ELi32ELi32ELi8ELi32ELi8ELi8ELi32ELc78ELc84EKDF16_S1_DF16_EEvlllT_PT11_llS4_llS2_PT12_llPT13_lli.has_indirect_call, 0
	.section	.AMDGPU.csdata,"",@progbits
; Kernel info:
; codeLenInByte = 1932
; TotalNumSgprs: 36
; NumVgprs: 30
; ScratchSize: 0
; MemoryBound: 0
; FloatMode: 240
; IeeeMode: 1
; LDSByteSize: 1024 bytes/workgroup (compile time only)
; SGPRBlocks: 0
; VGPRBlocks: 3
; NumSGPRsForWavesPerEU: 36
; NumVGPRsForWavesPerEU: 30
; Occupancy: 16
; WaveLimiterHint : 0
; COMPUTE_PGM_RSRC2:SCRATCH_EN: 0
; COMPUTE_PGM_RSRC2:USER_SGPR: 6
; COMPUTE_PGM_RSRC2:TRAP_HANDLER: 0
; COMPUTE_PGM_RSRC2:TGID_X_EN: 1
; COMPUTE_PGM_RSRC2:TGID_Y_EN: 1
; COMPUTE_PGM_RSRC2:TGID_Z_EN: 1
; COMPUTE_PGM_RSRC2:TIDIG_COMP_CNT: 1
	.section	.text._ZN12_GLOBAL__N_135rocblas_gemm_batched_general_kernelIDF16_Li16ELi16ELi32ELi32ELi8ELi32ELi8ELi8ELi32ELc84ELc84EKDF16_S1_DF16_EEvlllT_PT11_llS4_llS2_PT12_llPT13_lli,"axG",@progbits,_ZN12_GLOBAL__N_135rocblas_gemm_batched_general_kernelIDF16_Li16ELi16ELi32ELi32ELi8ELi32ELi8ELi8ELi32ELc84ELc84EKDF16_S1_DF16_EEvlllT_PT11_llS4_llS2_PT12_llPT13_lli,comdat
	.globl	_ZN12_GLOBAL__N_135rocblas_gemm_batched_general_kernelIDF16_Li16ELi16ELi32ELi32ELi8ELi32ELi8ELi8ELi32ELc84ELc84EKDF16_S1_DF16_EEvlllT_PT11_llS4_llS2_PT12_llPT13_lli ; -- Begin function _ZN12_GLOBAL__N_135rocblas_gemm_batched_general_kernelIDF16_Li16ELi16ELi32ELi32ELi8ELi32ELi8ELi8ELi32ELc84ELc84EKDF16_S1_DF16_EEvlllT_PT11_llS4_llS2_PT12_llPT13_lli
	.p2align	8
	.type	_ZN12_GLOBAL__N_135rocblas_gemm_batched_general_kernelIDF16_Li16ELi16ELi32ELi32ELi8ELi32ELi8ELi8ELi32ELc84ELc84EKDF16_S1_DF16_EEvlllT_PT11_llS4_llS2_PT12_llPT13_lli,@function
_ZN12_GLOBAL__N_135rocblas_gemm_batched_general_kernelIDF16_Li16ELi16ELi32ELi32ELi8ELi32ELi8ELi8ELi32ELc84ELc84EKDF16_S1_DF16_EEvlllT_PT11_llS4_llS2_PT12_llPT13_lli: ; @_ZN12_GLOBAL__N_135rocblas_gemm_batched_general_kernelIDF16_Li16ELi16ELi32ELi32ELi8ELi32ELi8ELi8ELi32ELc84ELc84EKDF16_S1_DF16_EEvlllT_PT11_llS4_llS2_PT12_llPT13_lli
; %bb.0:
	s_clause 0x1
	s_load_dwordx2 s[10:11], s[4:5], 0x10
	s_load_dwordx4 s[20:23], s[4:5], 0x0
	s_mov_b32 s0, s7
	v_mov_b32_e32 v7, 0
	s_ashr_i32 s7, s6, 31
	s_ashr_i32 s1, s0, 31
	s_lshl_b64 s[6:7], s[6:7], 5
	s_waitcnt lgkmcnt(0)
	v_cmp_lt_i64_e64 s2, s[10:11], 1
	s_and_b32 vcc_lo, exec_lo, s2
	s_lshl_b64 s[2:3], s[0:1], 5
	s_cbranch_vccnz .LBB23_7
; %bb.1:
	s_load_dwordx4 s[24:27], s[4:5], 0x40
	v_lshlrev_b32_e32 v2, 4, v1
	v_and_b32_e32 v6, 7, v0
	s_load_dwordx8 s[12:19], s[4:5], 0x20
	v_mov_b32_e32 v3, s7
	s_lshl_b64 s[28:29], s[0:1], 6
	v_add_nc_u32_e32 v4, v2, v0
	v_add_nc_u32_e32 v10, 0x200, v2
	v_lshlrev_b32_e32 v8, 1, v6
	v_lshlrev_b32_e32 v9, 1, v0
	v_and_b32_e32 v12, 31, v4
	v_lshrrev_b32_e32 v15, 3, v4
	v_lshrrev_b32_e32 v11, 5, v4
	v_or_b32_e32 v2, s6, v12
	v_add_co_u32 v13, s0, v15, s2
	v_add_co_ci_u32_e64 v14, null, 0, s3, s0
	s_waitcnt lgkmcnt(0)
	v_mad_u64_u32 v[4:5], null, s24, v6, 0
	v_add_co_u32 v17, s0, s6, v12
	v_add_co_ci_u32_e64 v18, null, s7, 0, s0
	v_cmp_gt_i64_e64 s0, s[20:21], v[2:3]
	v_lshl_or_b32 v8, v15, 4, v8
	v_mad_u64_u32 v[2:3], null, s25, v6, v[5:6]
	v_cmp_gt_i64_e64 s1, s[22:23], v[13:14]
	v_mul_lo_u32 v14, s14, v18
	v_add_nc_u32_e32 v13, 0x200, v8
	v_mul_lo_u32 v8, s15, v17
	s_mul_i32 s9, s27, s8
	s_mul_hi_u32 s27, s26, s8
	v_mov_b32_e32 v5, v2
	v_mad_u64_u32 v[2:3], null, s14, v17, 0
	s_mul_i32 s26, s26, s8
	s_add_i32 s27, s27, s9
	v_lshlrev_b64 v[4:5], 1, v[4:5]
	s_lshl_b64 s[14:15], s[26:27], 1
	s_mul_i32 s9, s17, s8
	s_add_u32 s14, s28, s14
	v_add3_u32 v3, v3, v14, v8
	s_mul_hi_u32 s17, s16, s8
	s_addc_u32 s15, s29, s15
	v_add_co_u32 v4, vcc_lo, s14, v4
	v_lshlrev_b64 v[2:3], 1, v[2:3]
	v_add_co_ci_u32_e64 v5, null, s15, v5, vcc_lo
	s_add_i32 s15, s17, s9
	s_mul_i32 s14, s16, s8
	v_lshlrev_b32_e32 v8, 1, v15
	s_lshl_b64 s[14:15], s[14:15], 1
	v_lshlrev_b32_e32 v14, 1, v11
	v_add_co_u32 v2, vcc_lo, v2, s14
	v_add_co_ci_u32_e64 v3, null, s15, v3, vcc_lo
	v_add_co_u32 v4, vcc_lo, v4, v8
	v_add_co_ci_u32_e64 v5, null, 0, v5, vcc_lo
	v_add_co_u32 v8, vcc_lo, v2, v14
	v_lshlrev_b32_e32 v16, 1, v12
	v_add_co_ci_u32_e64 v14, null, 0, v3, vcc_lo
	v_add_co_u32 v2, vcc_lo, s18, v4
	v_add_co_ci_u32_e64 v3, null, s19, v5, vcc_lo
	v_add_co_u32 v4, vcc_lo, s12, v8
	v_lshl_or_b32 v12, v11, 6, v16
	v_add_co_ci_u32_e64 v5, null, s13, v14, vcc_lo
	v_mov_b32_e32 v8, 0
	s_lshl_b64 s[12:13], s[24:25], 4
	s_mov_b64 s[14:15], 0
	s_branch .LBB23_3
.LBB23_2:                               ;   in Loop: Header=BB23_3 Depth=1
	s_or_b32 exec_lo, exec_lo, s9
	s_waitcnt vmcnt(0)
	ds_write_b16 v13, v14
	s_waitcnt lgkmcnt(0)
	s_barrier
	buffer_gl0_inv
	ds_read_u16 v22, v9
	ds_read_u16 v23, v9 offset:64
	ds_read_u16 v24, v9 offset:128
	;; [unrolled: 1-line block ×7, first 2 shown]
	s_add_u32 s14, s14, 8
	s_addc_u32 s15, s15, 0
	v_add_co_u32 v2, vcc_lo, v2, s12
	v_cmp_lt_i64_e64 s9, s[14:15], s[10:11]
	v_add_co_ci_u32_e64 v3, null, s13, v3, vcc_lo
	v_add_co_u32 v4, vcc_lo, v4, 16
	v_add_co_ci_u32_e64 v5, null, 0, v5, vcc_lo
	s_and_b32 vcc_lo, exec_lo, s9
	s_waitcnt lgkmcnt(7)
	ds_read_u16_d16_hi v22, v9 offset:32
	ds_read_b128 v[14:17], v10
	ds_read_b128 v[18:21], v10 offset:256
	s_waitcnt lgkmcnt(9)
	ds_read_u16_d16_hi v23, v9 offset:96
	s_waitcnt lgkmcnt(9)
	ds_read_u16_d16_hi v24, v9 offset:160
	;; [unrolled: 2-line block ×7, first 2 shown]
	s_waitcnt lgkmcnt(0)
	s_barrier
	buffer_gl0_inv
	v_pk_fma_f16 v7, v22, v14, v7 op_sel_hi:[1,0,1]
	v_pk_fma_f16 v8, v22, v18, v8 op_sel_hi:[1,0,1]
	v_pk_fma_f16 v7, v23, v14, v7 op_sel:[0,1,0]
	v_pk_fma_f16 v8, v23, v18, v8 op_sel:[0,1,0]
	v_pk_fma_f16 v7, v24, v15, v7 op_sel_hi:[1,0,1]
	v_pk_fma_f16 v8, v24, v19, v8 op_sel_hi:[1,0,1]
	v_pk_fma_f16 v7, v25, v15, v7 op_sel:[0,1,0]
	v_pk_fma_f16 v8, v25, v19, v8 op_sel:[0,1,0]
	;; [unrolled: 4-line block ×4, first 2 shown]
	s_cbranch_vccz .LBB23_8
.LBB23_3:                               ; =>This Inner Loop Header: Depth=1
	v_add_co_u32 v14, s9, v11, s14
	v_add_co_ci_u32_e64 v15, null, 0, s15, s9
	v_cmp_gt_i64_e32 vcc_lo, s[10:11], v[14:15]
	v_mov_b32_e32 v14, 0
	v_mov_b32_e32 v15, 0
	s_and_b32 s16, s0, vcc_lo
	s_and_saveexec_b32 s9, s16
	s_cbranch_execz .LBB23_5
; %bb.4:                                ;   in Loop: Header=BB23_3 Depth=1
	global_load_ushort v15, v[4:5], off
.LBB23_5:                               ;   in Loop: Header=BB23_3 Depth=1
	s_or_b32 exec_lo, exec_lo, s9
	v_add_co_u32 v16, s9, v6, s14
	v_add_co_ci_u32_e64 v17, null, 0, s15, s9
	s_waitcnt vmcnt(0)
	ds_write_b16 v12, v15
	v_cmp_gt_i64_e32 vcc_lo, s[10:11], v[16:17]
	s_and_b32 s16, vcc_lo, s1
	s_and_saveexec_b32 s9, s16
	s_cbranch_execz .LBB23_2
; %bb.6:                                ;   in Loop: Header=BB23_3 Depth=1
	global_load_ushort v14, v[2:3], off
	s_branch .LBB23_2
.LBB23_7:
	v_mov_b32_e32 v8, 0
.LBB23_8:
	s_clause 0x3
	s_load_dwordx4 s[24:27], s[4:5], 0x78
	s_load_dword s9, s[4:5], 0x50
	s_load_dwordx8 s[12:19], s[4:5], 0x58
	s_load_dword s4, s[4:5], 0x18
	v_add_co_u32 v1, s0, s2, v1
	v_add_co_ci_u32_e64 v2, null, s3, 0, s0
	s_waitcnt lgkmcnt(0)
	s_mul_i32 s1, s27, s8
	s_mul_hi_u32 s2, s26, s8
	s_mul_i32 s0, s26, s8
	s_add_i32 s1, s2, s1
	v_cmp_neq_f16_e64 s2, s9, 0
	s_lshl_b64 s[10:11], s[0:1], 1
	v_cmp_gt_i64_e64 s0, s[22:23], v[1:2]
	s_add_u32 s3, s18, s10
	s_addc_u32 s5, s19, s11
	s_and_b32 vcc_lo, exec_lo, s2
	s_cbranch_vccnz .LBB23_21
; %bb.9:
	s_and_saveexec_b32 s10, s0
	s_cbranch_execz .LBB23_19
; %bb.10:
	v_mul_lo_u32 v5, v2, s24
	v_mul_lo_u32 v6, v1, s25
	v_mad_u64_u32 v[3:4], null, v1, s24, 0
	v_add3_u32 v4, v4, v6, v5
	v_add_co_u32 v5, s1, s6, v0
	v_add_co_ci_u32_e64 v6, null, s7, 0, s1
	v_lshlrev_b64 v[9:10], 1, v[3:4]
	v_cmp_gt_i64_e32 vcc_lo, s[20:21], v[5:6]
	v_lshlrev_b64 v[3:4], 1, v[5:6]
	v_add_co_u32 v9, s1, s3, v9
	v_add_co_ci_u32_e64 v10, null, s5, v10, s1
	s_and_saveexec_b32 s2, vcc_lo
	s_cbranch_execz .LBB23_12
; %bb.11:
	v_add_co_u32 v11, s1, v9, v3
	v_add_co_ci_u32_e64 v12, null, v10, v4, s1
	v_mul_f16_e32 v13, s4, v7
	global_store_short v[11:12], v13, off
.LBB23_12:
	s_or_b32 exec_lo, exec_lo, s2
	v_add_co_u32 v5, s1, v5, 16
	v_add_co_ci_u32_e64 v6, null, 0, v6, s1
	v_cmp_gt_i64_e64 s1, s[20:21], v[5:6]
	s_and_saveexec_b32 s11, s1
	s_cbranch_execz .LBB23_14
; %bb.13:
	v_add_co_u32 v5, s2, v9, v3
	v_add_co_ci_u32_e64 v6, null, v10, v4, s2
	v_mul_f16_sdwa v11, s4, v7 dst_sel:DWORD dst_unused:UNUSED_PAD src0_sel:DWORD src1_sel:WORD_1
	global_store_short v[5:6], v11, off offset:32
.LBB23_14:
	s_or_b32 exec_lo, exec_lo, s11
	v_add_co_u32 v5, s2, v1, 16
	v_add_co_ci_u32_e64 v6, null, 0, v2, s2
	v_cmp_gt_i64_e64 s2, s[22:23], v[5:6]
	s_and_b32 exec_lo, exec_lo, s2
	s_cbranch_execz .LBB23_19
; %bb.15:
	s_lshl_b64 s[18:19], s[24:25], 5
	v_add_co_u32 v5, s2, v9, s18
	v_add_co_ci_u32_e64 v6, null, s19, v10, s2
	v_add_co_u32 v3, s2, v5, v3
	v_add_co_ci_u32_e64 v4, null, v6, v4, s2
	s_and_saveexec_b32 s2, vcc_lo
	s_cbranch_execz .LBB23_17
; %bb.16:
	v_mul_f16_e32 v5, s4, v8
	global_store_short v[3:4], v5, off
.LBB23_17:
	s_or_b32 exec_lo, exec_lo, s2
	s_and_b32 exec_lo, exec_lo, s1
	s_cbranch_execz .LBB23_19
; %bb.18:
	v_mul_f16_sdwa v5, s4, v8 dst_sel:DWORD dst_unused:UNUSED_PAD src0_sel:DWORD src1_sel:WORD_1
	global_store_short v[3:4], v5, off offset:32
.LBB23_19:
	s_or_b32 exec_lo, exec_lo, s10
	s_cbranch_execz .LBB23_22
.LBB23_20:
	s_endpgm
.LBB23_21:
.LBB23_22:
	s_and_saveexec_b32 s1, s0
	s_cbranch_execz .LBB23_20
; %bb.23:
	v_mul_lo_u32 v5, v2, s14
	v_mul_lo_u32 v6, v1, s15
	v_mad_u64_u32 v[3:4], null, v1, s14, 0
	v_mul_lo_u32 v11, v2, s24
	v_mul_lo_u32 v12, v1, s25
	v_mad_u64_u32 v[9:10], null, v1, s24, 0
	s_mul_i32 s0, s17, s8
	s_mul_hi_u32 s1, s16, s8
	v_add3_u32 v4, v4, v6, v5
	s_add_i32 s1, s1, s0
	s_mul_i32 s0, s16, s8
	v_add_co_u32 v5, s2, s6, v0
	v_add3_u32 v10, v10, v12, v11
	v_lshlrev_b64 v[3:4], 1, v[3:4]
	s_lshl_b64 s[0:1], s[0:1], 1
	v_add_co_ci_u32_e64 v6, null, s7, 0, s2
	v_lshlrev_b64 v[10:11], 1, v[9:10]
	s_add_u32 s0, s12, s0
	s_addc_u32 s1, s13, s1
	v_add_co_u32 v0, s0, s0, v3
	v_add_co_ci_u32_e64 v9, null, s1, v4, s0
	v_add_co_u32 v10, s0, s3, v10
	v_cmp_gt_i64_e32 vcc_lo, s[20:21], v[5:6]
	v_lshlrev_b64 v[3:4], 1, v[5:6]
	v_add_co_ci_u32_e64 v11, null, s5, v11, s0
	s_and_saveexec_b32 s1, vcc_lo
	s_cbranch_execz .LBB23_25
; %bb.24:
	v_add_co_u32 v12, s0, v0, v3
	v_add_co_ci_u32_e64 v13, null, v9, v4, s0
	global_load_ushort v12, v[12:13], off
	s_waitcnt vmcnt(0)
	v_mul_f16_e32 v14, s9, v12
	v_add_co_u32 v12, s0, v10, v3
	v_add_co_ci_u32_e64 v13, null, v11, v4, s0
	v_fmac_f16_e32 v14, s4, v7
	global_store_short v[12:13], v14, off
.LBB23_25:
	s_or_b32 exec_lo, exec_lo, s1
	v_add_co_u32 v5, s0, v5, 16
	v_add_co_ci_u32_e64 v6, null, 0, v6, s0
	v_cmp_gt_i64_e64 s0, s[20:21], v[5:6]
	s_and_saveexec_b32 s2, s0
	s_cbranch_execz .LBB23_27
; %bb.26:
	v_add_co_u32 v5, s1, v0, v3
	v_add_co_ci_u32_e64 v6, null, v9, v4, s1
	global_load_ushort v5, v[5:6], off offset:32
	v_lshrrev_b32_e32 v6, 16, v7
	s_waitcnt vmcnt(0)
	v_mul_f16_e32 v7, s9, v5
	v_add_co_u32 v5, s1, v10, v3
	v_fmac_f16_e32 v7, s4, v6
	v_add_co_ci_u32_e64 v6, null, v11, v4, s1
	global_store_short v[5:6], v7, off offset:32
.LBB23_27:
	s_or_b32 exec_lo, exec_lo, s2
	v_add_co_u32 v1, s1, v1, 16
	v_add_co_ci_u32_e64 v2, null, 0, v2, s1
	v_cmp_gt_i64_e64 s1, s[22:23], v[1:2]
	s_and_b32 exec_lo, exec_lo, s1
	s_cbranch_execz .LBB23_20
; %bb.28:
	s_lshl_b64 s[2:3], s[14:15], 5
	v_add_co_u32 v0, s1, v0, s2
	v_add_co_ci_u32_e64 v1, null, s3, v9, s1
	s_lshl_b64 s[2:3], s[24:25], 5
	v_add_co_u32 v2, s1, v10, s2
	v_add_co_ci_u32_e64 v7, null, s3, v11, s1
	v_add_co_u32 v5, s1, v0, v3
	v_add_co_ci_u32_e64 v6, null, v1, v4, s1
	;; [unrolled: 2-line block ×3, first 2 shown]
	s_and_saveexec_b32 s1, vcc_lo
	s_cbranch_execz .LBB23_30
; %bb.29:
	global_load_ushort v2, v[5:6], off
	s_waitcnt vmcnt(0)
	v_mul_f16_e32 v2, s9, v2
	v_fmac_f16_e32 v2, s4, v8
	global_store_short v[0:1], v2, off
.LBB23_30:
	s_or_b32 exec_lo, exec_lo, s1
	s_and_b32 exec_lo, exec_lo, s0
	s_cbranch_execz .LBB23_20
; %bb.31:
	global_load_ushort v2, v[5:6], off offset:32
	v_lshrrev_b32_e32 v3, 16, v8
	s_waitcnt vmcnt(0)
	v_mul_f16_e32 v2, s9, v2
	v_fmac_f16_e32 v2, s4, v3
	global_store_short v[0:1], v2, off offset:32
	s_endpgm
	.section	.rodata,"a",@progbits
	.p2align	6, 0x0
	.amdhsa_kernel _ZN12_GLOBAL__N_135rocblas_gemm_batched_general_kernelIDF16_Li16ELi16ELi32ELi32ELi8ELi32ELi8ELi8ELi32ELc84ELc84EKDF16_S1_DF16_EEvlllT_PT11_llS4_llS2_PT12_llPT13_lli
		.amdhsa_group_segment_fixed_size 1024
		.amdhsa_private_segment_fixed_size 0
		.amdhsa_kernarg_size 140
		.amdhsa_user_sgpr_count 6
		.amdhsa_user_sgpr_private_segment_buffer 1
		.amdhsa_user_sgpr_dispatch_ptr 0
		.amdhsa_user_sgpr_queue_ptr 0
		.amdhsa_user_sgpr_kernarg_segment_ptr 1
		.amdhsa_user_sgpr_dispatch_id 0
		.amdhsa_user_sgpr_flat_scratch_init 0
		.amdhsa_user_sgpr_private_segment_size 0
		.amdhsa_wavefront_size32 1
		.amdhsa_uses_dynamic_stack 0
		.amdhsa_system_sgpr_private_segment_wavefront_offset 0
		.amdhsa_system_sgpr_workgroup_id_x 1
		.amdhsa_system_sgpr_workgroup_id_y 1
		.amdhsa_system_sgpr_workgroup_id_z 1
		.amdhsa_system_sgpr_workgroup_info 0
		.amdhsa_system_vgpr_workitem_id 1
		.amdhsa_next_free_vgpr 30
		.amdhsa_next_free_sgpr 30
		.amdhsa_reserve_vcc 1
		.amdhsa_reserve_flat_scratch 0
		.amdhsa_float_round_mode_32 0
		.amdhsa_float_round_mode_16_64 0
		.amdhsa_float_denorm_mode_32 3
		.amdhsa_float_denorm_mode_16_64 3
		.amdhsa_dx10_clamp 1
		.amdhsa_ieee_mode 1
		.amdhsa_fp16_overflow 0
		.amdhsa_workgroup_processor_mode 1
		.amdhsa_memory_ordered 1
		.amdhsa_forward_progress 1
		.amdhsa_shared_vgpr_count 0
		.amdhsa_exception_fp_ieee_invalid_op 0
		.amdhsa_exception_fp_denorm_src 0
		.amdhsa_exception_fp_ieee_div_zero 0
		.amdhsa_exception_fp_ieee_overflow 0
		.amdhsa_exception_fp_ieee_underflow 0
		.amdhsa_exception_fp_ieee_inexact 0
		.amdhsa_exception_int_div_zero 0
	.end_amdhsa_kernel
	.section	.text._ZN12_GLOBAL__N_135rocblas_gemm_batched_general_kernelIDF16_Li16ELi16ELi32ELi32ELi8ELi32ELi8ELi8ELi32ELc84ELc84EKDF16_S1_DF16_EEvlllT_PT11_llS4_llS2_PT12_llPT13_lli,"axG",@progbits,_ZN12_GLOBAL__N_135rocblas_gemm_batched_general_kernelIDF16_Li16ELi16ELi32ELi32ELi8ELi32ELi8ELi8ELi32ELc84ELc84EKDF16_S1_DF16_EEvlllT_PT11_llS4_llS2_PT12_llPT13_lli,comdat
.Lfunc_end23:
	.size	_ZN12_GLOBAL__N_135rocblas_gemm_batched_general_kernelIDF16_Li16ELi16ELi32ELi32ELi8ELi32ELi8ELi8ELi32ELc84ELc84EKDF16_S1_DF16_EEvlllT_PT11_llS4_llS2_PT12_llPT13_lli, .Lfunc_end23-_ZN12_GLOBAL__N_135rocblas_gemm_batched_general_kernelIDF16_Li16ELi16ELi32ELi32ELi8ELi32ELi8ELi8ELi32ELc84ELc84EKDF16_S1_DF16_EEvlllT_PT11_llS4_llS2_PT12_llPT13_lli
                                        ; -- End function
	.set _ZN12_GLOBAL__N_135rocblas_gemm_batched_general_kernelIDF16_Li16ELi16ELi32ELi32ELi8ELi32ELi8ELi8ELi32ELc84ELc84EKDF16_S1_DF16_EEvlllT_PT11_llS4_llS2_PT12_llPT13_lli.num_vgpr, 30
	.set _ZN12_GLOBAL__N_135rocblas_gemm_batched_general_kernelIDF16_Li16ELi16ELi32ELi32ELi8ELi32ELi8ELi8ELi32ELc84ELc84EKDF16_S1_DF16_EEvlllT_PT11_llS4_llS2_PT12_llPT13_lli.num_agpr, 0
	.set _ZN12_GLOBAL__N_135rocblas_gemm_batched_general_kernelIDF16_Li16ELi16ELi32ELi32ELi8ELi32ELi8ELi8ELi32ELc84ELc84EKDF16_S1_DF16_EEvlllT_PT11_llS4_llS2_PT12_llPT13_lli.numbered_sgpr, 30
	.set _ZN12_GLOBAL__N_135rocblas_gemm_batched_general_kernelIDF16_Li16ELi16ELi32ELi32ELi8ELi32ELi8ELi8ELi32ELc84ELc84EKDF16_S1_DF16_EEvlllT_PT11_llS4_llS2_PT12_llPT13_lli.num_named_barrier, 0
	.set _ZN12_GLOBAL__N_135rocblas_gemm_batched_general_kernelIDF16_Li16ELi16ELi32ELi32ELi8ELi32ELi8ELi8ELi32ELc84ELc84EKDF16_S1_DF16_EEvlllT_PT11_llS4_llS2_PT12_llPT13_lli.private_seg_size, 0
	.set _ZN12_GLOBAL__N_135rocblas_gemm_batched_general_kernelIDF16_Li16ELi16ELi32ELi32ELi8ELi32ELi8ELi8ELi32ELc84ELc84EKDF16_S1_DF16_EEvlllT_PT11_llS4_llS2_PT12_llPT13_lli.uses_vcc, 1
	.set _ZN12_GLOBAL__N_135rocblas_gemm_batched_general_kernelIDF16_Li16ELi16ELi32ELi32ELi8ELi32ELi8ELi8ELi32ELc84ELc84EKDF16_S1_DF16_EEvlllT_PT11_llS4_llS2_PT12_llPT13_lli.uses_flat_scratch, 0
	.set _ZN12_GLOBAL__N_135rocblas_gemm_batched_general_kernelIDF16_Li16ELi16ELi32ELi32ELi8ELi32ELi8ELi8ELi32ELc84ELc84EKDF16_S1_DF16_EEvlllT_PT11_llS4_llS2_PT12_llPT13_lli.has_dyn_sized_stack, 0
	.set _ZN12_GLOBAL__N_135rocblas_gemm_batched_general_kernelIDF16_Li16ELi16ELi32ELi32ELi8ELi32ELi8ELi8ELi32ELc84ELc84EKDF16_S1_DF16_EEvlllT_PT11_llS4_llS2_PT12_llPT13_lli.has_recursion, 0
	.set _ZN12_GLOBAL__N_135rocblas_gemm_batched_general_kernelIDF16_Li16ELi16ELi32ELi32ELi8ELi32ELi8ELi8ELi32ELc84ELc84EKDF16_S1_DF16_EEvlllT_PT11_llS4_llS2_PT12_llPT13_lli.has_indirect_call, 0
	.section	.AMDGPU.csdata,"",@progbits
; Kernel info:
; codeLenInByte = 1940
; TotalNumSgprs: 32
; NumVgprs: 30
; ScratchSize: 0
; MemoryBound: 0
; FloatMode: 240
; IeeeMode: 1
; LDSByteSize: 1024 bytes/workgroup (compile time only)
; SGPRBlocks: 0
; VGPRBlocks: 3
; NumSGPRsForWavesPerEU: 32
; NumVGPRsForWavesPerEU: 30
; Occupancy: 16
; WaveLimiterHint : 0
; COMPUTE_PGM_RSRC2:SCRATCH_EN: 0
; COMPUTE_PGM_RSRC2:USER_SGPR: 6
; COMPUTE_PGM_RSRC2:TRAP_HANDLER: 0
; COMPUTE_PGM_RSRC2:TGID_X_EN: 1
; COMPUTE_PGM_RSRC2:TGID_Y_EN: 1
; COMPUTE_PGM_RSRC2:TGID_Z_EN: 1
; COMPUTE_PGM_RSRC2:TIDIG_COMP_CNT: 1
	.section	.text._ZN12_GLOBAL__N_135rocblas_gemm_batched_general_kernelIDF16_Li16ELi16ELi32ELi32ELi8ELi32ELi8ELi8ELi32ELc67ELc67EKDF16_S1_DF16_EEvlllT_PT11_llS4_llS2_PT12_llPT13_lli,"axG",@progbits,_ZN12_GLOBAL__N_135rocblas_gemm_batched_general_kernelIDF16_Li16ELi16ELi32ELi32ELi8ELi32ELi8ELi8ELi32ELc67ELc67EKDF16_S1_DF16_EEvlllT_PT11_llS4_llS2_PT12_llPT13_lli,comdat
	.globl	_ZN12_GLOBAL__N_135rocblas_gemm_batched_general_kernelIDF16_Li16ELi16ELi32ELi32ELi8ELi32ELi8ELi8ELi32ELc67ELc67EKDF16_S1_DF16_EEvlllT_PT11_llS4_llS2_PT12_llPT13_lli ; -- Begin function _ZN12_GLOBAL__N_135rocblas_gemm_batched_general_kernelIDF16_Li16ELi16ELi32ELi32ELi8ELi32ELi8ELi8ELi32ELc67ELc67EKDF16_S1_DF16_EEvlllT_PT11_llS4_llS2_PT12_llPT13_lli
	.p2align	8
	.type	_ZN12_GLOBAL__N_135rocblas_gemm_batched_general_kernelIDF16_Li16ELi16ELi32ELi32ELi8ELi32ELi8ELi8ELi32ELc67ELc67EKDF16_S1_DF16_EEvlllT_PT11_llS4_llS2_PT12_llPT13_lli,@function
_ZN12_GLOBAL__N_135rocblas_gemm_batched_general_kernelIDF16_Li16ELi16ELi32ELi32ELi8ELi32ELi8ELi8ELi32ELc67ELc67EKDF16_S1_DF16_EEvlllT_PT11_llS4_llS2_PT12_llPT13_lli: ; @_ZN12_GLOBAL__N_135rocblas_gemm_batched_general_kernelIDF16_Li16ELi16ELi32ELi32ELi8ELi32ELi8ELi8ELi32ELc67ELc67EKDF16_S1_DF16_EEvlllT_PT11_llS4_llS2_PT12_llPT13_lli
; %bb.0:
	s_clause 0x1
	s_load_dwordx2 s[10:11], s[4:5], 0x10
	s_load_dwordx4 s[20:23], s[4:5], 0x0
	s_mov_b32 s0, s7
	v_mov_b32_e32 v7, 0
	s_ashr_i32 s7, s6, 31
	s_ashr_i32 s1, s0, 31
	s_lshl_b64 s[6:7], s[6:7], 5
	s_waitcnt lgkmcnt(0)
	v_cmp_lt_i64_e64 s2, s[10:11], 1
	s_and_b32 vcc_lo, exec_lo, s2
	s_lshl_b64 s[2:3], s[0:1], 5
	s_cbranch_vccnz .LBB24_7
; %bb.1:
	s_load_dwordx4 s[24:27], s[4:5], 0x40
	v_lshlrev_b32_e32 v2, 4, v1
	v_and_b32_e32 v6, 7, v0
	s_load_dwordx8 s[12:19], s[4:5], 0x20
	v_mov_b32_e32 v3, s7
	s_lshl_b64 s[28:29], s[0:1], 6
	v_add_nc_u32_e32 v4, v2, v0
	v_add_nc_u32_e32 v10, 0x200, v2
	v_lshlrev_b32_e32 v8, 1, v6
	v_lshlrev_b32_e32 v9, 1, v0
	v_and_b32_e32 v12, 31, v4
	v_lshrrev_b32_e32 v15, 3, v4
	v_lshrrev_b32_e32 v11, 5, v4
	v_or_b32_e32 v2, s6, v12
	v_add_co_u32 v13, s0, v15, s2
	v_add_co_ci_u32_e64 v14, null, 0, s3, s0
	s_waitcnt lgkmcnt(0)
	v_mad_u64_u32 v[4:5], null, s24, v6, 0
	v_add_co_u32 v17, s0, s6, v12
	v_add_co_ci_u32_e64 v18, null, s7, 0, s0
	v_cmp_gt_i64_e64 s0, s[20:21], v[2:3]
	v_lshl_or_b32 v8, v15, 4, v8
	v_mad_u64_u32 v[2:3], null, s25, v6, v[5:6]
	v_cmp_gt_i64_e64 s1, s[22:23], v[13:14]
	v_mul_lo_u32 v14, s14, v18
	v_add_nc_u32_e32 v13, 0x200, v8
	v_mul_lo_u32 v8, s15, v17
	s_mul_i32 s9, s27, s8
	s_mul_hi_u32 s27, s26, s8
	v_mov_b32_e32 v5, v2
	v_mad_u64_u32 v[2:3], null, s14, v17, 0
	s_mul_i32 s26, s26, s8
	s_add_i32 s27, s27, s9
	v_lshlrev_b64 v[4:5], 1, v[4:5]
	s_lshl_b64 s[14:15], s[26:27], 1
	s_mul_i32 s9, s17, s8
	s_add_u32 s14, s28, s14
	v_add3_u32 v3, v3, v14, v8
	s_mul_hi_u32 s17, s16, s8
	s_addc_u32 s15, s29, s15
	v_add_co_u32 v4, vcc_lo, s14, v4
	v_lshlrev_b64 v[2:3], 1, v[2:3]
	v_add_co_ci_u32_e64 v5, null, s15, v5, vcc_lo
	s_add_i32 s15, s17, s9
	s_mul_i32 s14, s16, s8
	v_lshlrev_b32_e32 v8, 1, v15
	s_lshl_b64 s[14:15], s[14:15], 1
	v_lshlrev_b32_e32 v14, 1, v11
	v_add_co_u32 v2, vcc_lo, v2, s14
	v_add_co_ci_u32_e64 v3, null, s15, v3, vcc_lo
	v_add_co_u32 v4, vcc_lo, v4, v8
	v_add_co_ci_u32_e64 v5, null, 0, v5, vcc_lo
	v_add_co_u32 v8, vcc_lo, v2, v14
	v_lshlrev_b32_e32 v16, 1, v12
	v_add_co_ci_u32_e64 v14, null, 0, v3, vcc_lo
	v_add_co_u32 v2, vcc_lo, s18, v4
	v_add_co_ci_u32_e64 v3, null, s19, v5, vcc_lo
	v_add_co_u32 v4, vcc_lo, s12, v8
	v_lshl_or_b32 v12, v11, 6, v16
	v_add_co_ci_u32_e64 v5, null, s13, v14, vcc_lo
	v_mov_b32_e32 v8, 0
	s_lshl_b64 s[12:13], s[24:25], 4
	s_mov_b64 s[14:15], 0
	s_branch .LBB24_3
.LBB24_2:                               ;   in Loop: Header=BB24_3 Depth=1
	s_or_b32 exec_lo, exec_lo, s9
	s_waitcnt vmcnt(0)
	ds_write_b16 v13, v14
	s_waitcnt lgkmcnt(0)
	s_barrier
	buffer_gl0_inv
	ds_read_u16 v22, v9
	ds_read_u16 v23, v9 offset:64
	ds_read_u16 v24, v9 offset:128
	;; [unrolled: 1-line block ×7, first 2 shown]
	s_add_u32 s14, s14, 8
	s_addc_u32 s15, s15, 0
	v_add_co_u32 v2, vcc_lo, v2, s12
	v_cmp_lt_i64_e64 s9, s[14:15], s[10:11]
	v_add_co_ci_u32_e64 v3, null, s13, v3, vcc_lo
	v_add_co_u32 v4, vcc_lo, v4, 16
	v_add_co_ci_u32_e64 v5, null, 0, v5, vcc_lo
	s_and_b32 vcc_lo, exec_lo, s9
	s_waitcnt lgkmcnt(7)
	ds_read_u16_d16_hi v22, v9 offset:32
	ds_read_b128 v[14:17], v10
	ds_read_b128 v[18:21], v10 offset:256
	s_waitcnt lgkmcnt(9)
	ds_read_u16_d16_hi v23, v9 offset:96
	s_waitcnt lgkmcnt(9)
	ds_read_u16_d16_hi v24, v9 offset:160
	;; [unrolled: 2-line block ×7, first 2 shown]
	s_waitcnt lgkmcnt(0)
	s_barrier
	buffer_gl0_inv
	v_pk_fma_f16 v7, v22, v14, v7 op_sel_hi:[1,0,1]
	v_pk_fma_f16 v8, v22, v18, v8 op_sel_hi:[1,0,1]
	v_pk_fma_f16 v7, v23, v14, v7 op_sel:[0,1,0]
	v_pk_fma_f16 v8, v23, v18, v8 op_sel:[0,1,0]
	v_pk_fma_f16 v7, v24, v15, v7 op_sel_hi:[1,0,1]
	v_pk_fma_f16 v8, v24, v19, v8 op_sel_hi:[1,0,1]
	v_pk_fma_f16 v7, v25, v15, v7 op_sel:[0,1,0]
	v_pk_fma_f16 v8, v25, v19, v8 op_sel:[0,1,0]
	v_pk_fma_f16 v7, v26, v16, v7 op_sel_hi:[1,0,1]
	v_pk_fma_f16 v8, v26, v20, v8 op_sel_hi:[1,0,1]
	v_pk_fma_f16 v7, v27, v16, v7 op_sel:[0,1,0]
	v_pk_fma_f16 v8, v27, v20, v8 op_sel:[0,1,0]
	v_pk_fma_f16 v7, v28, v17, v7 op_sel_hi:[1,0,1]
	v_pk_fma_f16 v8, v28, v21, v8 op_sel_hi:[1,0,1]
	v_pk_fma_f16 v7, v29, v17, v7 op_sel:[0,1,0]
	v_pk_fma_f16 v8, v29, v21, v8 op_sel:[0,1,0]
	s_cbranch_vccz .LBB24_8
.LBB24_3:                               ; =>This Inner Loop Header: Depth=1
	v_add_co_u32 v14, s9, v11, s14
	v_add_co_ci_u32_e64 v15, null, 0, s15, s9
	v_cmp_gt_i64_e32 vcc_lo, s[10:11], v[14:15]
	v_mov_b32_e32 v14, 0
	v_mov_b32_e32 v15, 0
	s_and_b32 s16, s0, vcc_lo
	s_and_saveexec_b32 s9, s16
	s_cbranch_execz .LBB24_5
; %bb.4:                                ;   in Loop: Header=BB24_3 Depth=1
	global_load_ushort v15, v[4:5], off
.LBB24_5:                               ;   in Loop: Header=BB24_3 Depth=1
	s_or_b32 exec_lo, exec_lo, s9
	v_add_co_u32 v16, s9, v6, s14
	v_add_co_ci_u32_e64 v17, null, 0, s15, s9
	s_waitcnt vmcnt(0)
	ds_write_b16 v12, v15
	v_cmp_gt_i64_e32 vcc_lo, s[10:11], v[16:17]
	s_and_b32 s16, vcc_lo, s1
	s_and_saveexec_b32 s9, s16
	s_cbranch_execz .LBB24_2
; %bb.6:                                ;   in Loop: Header=BB24_3 Depth=1
	global_load_ushort v14, v[2:3], off
	s_branch .LBB24_2
.LBB24_7:
	v_mov_b32_e32 v8, 0
.LBB24_8:
	s_clause 0x3
	s_load_dwordx4 s[24:27], s[4:5], 0x78
	s_load_dword s9, s[4:5], 0x50
	s_load_dwordx8 s[12:19], s[4:5], 0x58
	s_load_dword s4, s[4:5], 0x18
	v_add_co_u32 v1, s0, s2, v1
	v_add_co_ci_u32_e64 v2, null, s3, 0, s0
	s_waitcnt lgkmcnt(0)
	s_mul_i32 s1, s27, s8
	s_mul_hi_u32 s2, s26, s8
	s_mul_i32 s0, s26, s8
	s_add_i32 s1, s2, s1
	v_cmp_neq_f16_e64 s2, s9, 0
	s_lshl_b64 s[10:11], s[0:1], 1
	v_cmp_gt_i64_e64 s0, s[22:23], v[1:2]
	s_add_u32 s3, s18, s10
	s_addc_u32 s5, s19, s11
	s_and_b32 vcc_lo, exec_lo, s2
	s_cbranch_vccnz .LBB24_21
; %bb.9:
	s_and_saveexec_b32 s10, s0
	s_cbranch_execz .LBB24_19
; %bb.10:
	v_mul_lo_u32 v5, v2, s24
	v_mul_lo_u32 v6, v1, s25
	v_mad_u64_u32 v[3:4], null, v1, s24, 0
	v_add3_u32 v4, v4, v6, v5
	v_add_co_u32 v5, s1, s6, v0
	v_add_co_ci_u32_e64 v6, null, s7, 0, s1
	v_lshlrev_b64 v[9:10], 1, v[3:4]
	v_cmp_gt_i64_e32 vcc_lo, s[20:21], v[5:6]
	v_lshlrev_b64 v[3:4], 1, v[5:6]
	v_add_co_u32 v9, s1, s3, v9
	v_add_co_ci_u32_e64 v10, null, s5, v10, s1
	s_and_saveexec_b32 s2, vcc_lo
	s_cbranch_execz .LBB24_12
; %bb.11:
	v_add_co_u32 v11, s1, v9, v3
	v_add_co_ci_u32_e64 v12, null, v10, v4, s1
	v_mul_f16_e32 v13, s4, v7
	global_store_short v[11:12], v13, off
.LBB24_12:
	s_or_b32 exec_lo, exec_lo, s2
	v_add_co_u32 v5, s1, v5, 16
	v_add_co_ci_u32_e64 v6, null, 0, v6, s1
	v_cmp_gt_i64_e64 s1, s[20:21], v[5:6]
	s_and_saveexec_b32 s11, s1
	s_cbranch_execz .LBB24_14
; %bb.13:
	v_add_co_u32 v5, s2, v9, v3
	v_add_co_ci_u32_e64 v6, null, v10, v4, s2
	v_mul_f16_sdwa v11, s4, v7 dst_sel:DWORD dst_unused:UNUSED_PAD src0_sel:DWORD src1_sel:WORD_1
	global_store_short v[5:6], v11, off offset:32
.LBB24_14:
	s_or_b32 exec_lo, exec_lo, s11
	v_add_co_u32 v5, s2, v1, 16
	v_add_co_ci_u32_e64 v6, null, 0, v2, s2
	v_cmp_gt_i64_e64 s2, s[22:23], v[5:6]
	s_and_b32 exec_lo, exec_lo, s2
	s_cbranch_execz .LBB24_19
; %bb.15:
	s_lshl_b64 s[18:19], s[24:25], 5
	v_add_co_u32 v5, s2, v9, s18
	v_add_co_ci_u32_e64 v6, null, s19, v10, s2
	v_add_co_u32 v3, s2, v5, v3
	v_add_co_ci_u32_e64 v4, null, v6, v4, s2
	s_and_saveexec_b32 s2, vcc_lo
	s_cbranch_execz .LBB24_17
; %bb.16:
	v_mul_f16_e32 v5, s4, v8
	global_store_short v[3:4], v5, off
.LBB24_17:
	s_or_b32 exec_lo, exec_lo, s2
	s_and_b32 exec_lo, exec_lo, s1
	s_cbranch_execz .LBB24_19
; %bb.18:
	v_mul_f16_sdwa v5, s4, v8 dst_sel:DWORD dst_unused:UNUSED_PAD src0_sel:DWORD src1_sel:WORD_1
	global_store_short v[3:4], v5, off offset:32
.LBB24_19:
	s_or_b32 exec_lo, exec_lo, s10
	s_cbranch_execz .LBB24_22
.LBB24_20:
	s_endpgm
.LBB24_21:
.LBB24_22:
	s_and_saveexec_b32 s1, s0
	s_cbranch_execz .LBB24_20
; %bb.23:
	v_mul_lo_u32 v5, v2, s14
	v_mul_lo_u32 v6, v1, s15
	v_mad_u64_u32 v[3:4], null, v1, s14, 0
	v_mul_lo_u32 v11, v2, s24
	v_mul_lo_u32 v12, v1, s25
	v_mad_u64_u32 v[9:10], null, v1, s24, 0
	s_mul_i32 s0, s17, s8
	s_mul_hi_u32 s1, s16, s8
	v_add3_u32 v4, v4, v6, v5
	s_add_i32 s1, s1, s0
	s_mul_i32 s0, s16, s8
	v_add_co_u32 v5, s2, s6, v0
	v_add3_u32 v10, v10, v12, v11
	v_lshlrev_b64 v[3:4], 1, v[3:4]
	s_lshl_b64 s[0:1], s[0:1], 1
	v_add_co_ci_u32_e64 v6, null, s7, 0, s2
	v_lshlrev_b64 v[10:11], 1, v[9:10]
	s_add_u32 s0, s12, s0
	s_addc_u32 s1, s13, s1
	v_add_co_u32 v0, s0, s0, v3
	v_add_co_ci_u32_e64 v9, null, s1, v4, s0
	v_add_co_u32 v10, s0, s3, v10
	v_cmp_gt_i64_e32 vcc_lo, s[20:21], v[5:6]
	v_lshlrev_b64 v[3:4], 1, v[5:6]
	v_add_co_ci_u32_e64 v11, null, s5, v11, s0
	s_and_saveexec_b32 s1, vcc_lo
	s_cbranch_execz .LBB24_25
; %bb.24:
	v_add_co_u32 v12, s0, v0, v3
	v_add_co_ci_u32_e64 v13, null, v9, v4, s0
	global_load_ushort v12, v[12:13], off
	s_waitcnt vmcnt(0)
	v_mul_f16_e32 v14, s9, v12
	v_add_co_u32 v12, s0, v10, v3
	v_add_co_ci_u32_e64 v13, null, v11, v4, s0
	v_fmac_f16_e32 v14, s4, v7
	global_store_short v[12:13], v14, off
.LBB24_25:
	s_or_b32 exec_lo, exec_lo, s1
	v_add_co_u32 v5, s0, v5, 16
	v_add_co_ci_u32_e64 v6, null, 0, v6, s0
	v_cmp_gt_i64_e64 s0, s[20:21], v[5:6]
	s_and_saveexec_b32 s2, s0
	s_cbranch_execz .LBB24_27
; %bb.26:
	v_add_co_u32 v5, s1, v0, v3
	v_add_co_ci_u32_e64 v6, null, v9, v4, s1
	global_load_ushort v5, v[5:6], off offset:32
	v_lshrrev_b32_e32 v6, 16, v7
	s_waitcnt vmcnt(0)
	v_mul_f16_e32 v7, s9, v5
	v_add_co_u32 v5, s1, v10, v3
	v_fmac_f16_e32 v7, s4, v6
	v_add_co_ci_u32_e64 v6, null, v11, v4, s1
	global_store_short v[5:6], v7, off offset:32
.LBB24_27:
	s_or_b32 exec_lo, exec_lo, s2
	v_add_co_u32 v1, s1, v1, 16
	v_add_co_ci_u32_e64 v2, null, 0, v2, s1
	v_cmp_gt_i64_e64 s1, s[22:23], v[1:2]
	s_and_b32 exec_lo, exec_lo, s1
	s_cbranch_execz .LBB24_20
; %bb.28:
	s_lshl_b64 s[2:3], s[14:15], 5
	v_add_co_u32 v0, s1, v0, s2
	v_add_co_ci_u32_e64 v1, null, s3, v9, s1
	s_lshl_b64 s[2:3], s[24:25], 5
	v_add_co_u32 v2, s1, v10, s2
	v_add_co_ci_u32_e64 v7, null, s3, v11, s1
	v_add_co_u32 v5, s1, v0, v3
	v_add_co_ci_u32_e64 v6, null, v1, v4, s1
	;; [unrolled: 2-line block ×3, first 2 shown]
	s_and_saveexec_b32 s1, vcc_lo
	s_cbranch_execz .LBB24_30
; %bb.29:
	global_load_ushort v2, v[5:6], off
	s_waitcnt vmcnt(0)
	v_mul_f16_e32 v2, s9, v2
	v_fmac_f16_e32 v2, s4, v8
	global_store_short v[0:1], v2, off
.LBB24_30:
	s_or_b32 exec_lo, exec_lo, s1
	s_and_b32 exec_lo, exec_lo, s0
	s_cbranch_execz .LBB24_20
; %bb.31:
	global_load_ushort v2, v[5:6], off offset:32
	v_lshrrev_b32_e32 v3, 16, v8
	s_waitcnt vmcnt(0)
	v_mul_f16_e32 v2, s9, v2
	v_fmac_f16_e32 v2, s4, v3
	global_store_short v[0:1], v2, off offset:32
	s_endpgm
	.section	.rodata,"a",@progbits
	.p2align	6, 0x0
	.amdhsa_kernel _ZN12_GLOBAL__N_135rocblas_gemm_batched_general_kernelIDF16_Li16ELi16ELi32ELi32ELi8ELi32ELi8ELi8ELi32ELc67ELc67EKDF16_S1_DF16_EEvlllT_PT11_llS4_llS2_PT12_llPT13_lli
		.amdhsa_group_segment_fixed_size 1024
		.amdhsa_private_segment_fixed_size 0
		.amdhsa_kernarg_size 140
		.amdhsa_user_sgpr_count 6
		.amdhsa_user_sgpr_private_segment_buffer 1
		.amdhsa_user_sgpr_dispatch_ptr 0
		.amdhsa_user_sgpr_queue_ptr 0
		.amdhsa_user_sgpr_kernarg_segment_ptr 1
		.amdhsa_user_sgpr_dispatch_id 0
		.amdhsa_user_sgpr_flat_scratch_init 0
		.amdhsa_user_sgpr_private_segment_size 0
		.amdhsa_wavefront_size32 1
		.amdhsa_uses_dynamic_stack 0
		.amdhsa_system_sgpr_private_segment_wavefront_offset 0
		.amdhsa_system_sgpr_workgroup_id_x 1
		.amdhsa_system_sgpr_workgroup_id_y 1
		.amdhsa_system_sgpr_workgroup_id_z 1
		.amdhsa_system_sgpr_workgroup_info 0
		.amdhsa_system_vgpr_workitem_id 1
		.amdhsa_next_free_vgpr 30
		.amdhsa_next_free_sgpr 30
		.amdhsa_reserve_vcc 1
		.amdhsa_reserve_flat_scratch 0
		.amdhsa_float_round_mode_32 0
		.amdhsa_float_round_mode_16_64 0
		.amdhsa_float_denorm_mode_32 3
		.amdhsa_float_denorm_mode_16_64 3
		.amdhsa_dx10_clamp 1
		.amdhsa_ieee_mode 1
		.amdhsa_fp16_overflow 0
		.amdhsa_workgroup_processor_mode 1
		.amdhsa_memory_ordered 1
		.amdhsa_forward_progress 1
		.amdhsa_shared_vgpr_count 0
		.amdhsa_exception_fp_ieee_invalid_op 0
		.amdhsa_exception_fp_denorm_src 0
		.amdhsa_exception_fp_ieee_div_zero 0
		.amdhsa_exception_fp_ieee_overflow 0
		.amdhsa_exception_fp_ieee_underflow 0
		.amdhsa_exception_fp_ieee_inexact 0
		.amdhsa_exception_int_div_zero 0
	.end_amdhsa_kernel
	.section	.text._ZN12_GLOBAL__N_135rocblas_gemm_batched_general_kernelIDF16_Li16ELi16ELi32ELi32ELi8ELi32ELi8ELi8ELi32ELc67ELc67EKDF16_S1_DF16_EEvlllT_PT11_llS4_llS2_PT12_llPT13_lli,"axG",@progbits,_ZN12_GLOBAL__N_135rocblas_gemm_batched_general_kernelIDF16_Li16ELi16ELi32ELi32ELi8ELi32ELi8ELi8ELi32ELc67ELc67EKDF16_S1_DF16_EEvlllT_PT11_llS4_llS2_PT12_llPT13_lli,comdat
.Lfunc_end24:
	.size	_ZN12_GLOBAL__N_135rocblas_gemm_batched_general_kernelIDF16_Li16ELi16ELi32ELi32ELi8ELi32ELi8ELi8ELi32ELc67ELc67EKDF16_S1_DF16_EEvlllT_PT11_llS4_llS2_PT12_llPT13_lli, .Lfunc_end24-_ZN12_GLOBAL__N_135rocblas_gemm_batched_general_kernelIDF16_Li16ELi16ELi32ELi32ELi8ELi32ELi8ELi8ELi32ELc67ELc67EKDF16_S1_DF16_EEvlllT_PT11_llS4_llS2_PT12_llPT13_lli
                                        ; -- End function
	.set _ZN12_GLOBAL__N_135rocblas_gemm_batched_general_kernelIDF16_Li16ELi16ELi32ELi32ELi8ELi32ELi8ELi8ELi32ELc67ELc67EKDF16_S1_DF16_EEvlllT_PT11_llS4_llS2_PT12_llPT13_lli.num_vgpr, 30
	.set _ZN12_GLOBAL__N_135rocblas_gemm_batched_general_kernelIDF16_Li16ELi16ELi32ELi32ELi8ELi32ELi8ELi8ELi32ELc67ELc67EKDF16_S1_DF16_EEvlllT_PT11_llS4_llS2_PT12_llPT13_lli.num_agpr, 0
	.set _ZN12_GLOBAL__N_135rocblas_gemm_batched_general_kernelIDF16_Li16ELi16ELi32ELi32ELi8ELi32ELi8ELi8ELi32ELc67ELc67EKDF16_S1_DF16_EEvlllT_PT11_llS4_llS2_PT12_llPT13_lli.numbered_sgpr, 30
	.set _ZN12_GLOBAL__N_135rocblas_gemm_batched_general_kernelIDF16_Li16ELi16ELi32ELi32ELi8ELi32ELi8ELi8ELi32ELc67ELc67EKDF16_S1_DF16_EEvlllT_PT11_llS4_llS2_PT12_llPT13_lli.num_named_barrier, 0
	.set _ZN12_GLOBAL__N_135rocblas_gemm_batched_general_kernelIDF16_Li16ELi16ELi32ELi32ELi8ELi32ELi8ELi8ELi32ELc67ELc67EKDF16_S1_DF16_EEvlllT_PT11_llS4_llS2_PT12_llPT13_lli.private_seg_size, 0
	.set _ZN12_GLOBAL__N_135rocblas_gemm_batched_general_kernelIDF16_Li16ELi16ELi32ELi32ELi8ELi32ELi8ELi8ELi32ELc67ELc67EKDF16_S1_DF16_EEvlllT_PT11_llS4_llS2_PT12_llPT13_lli.uses_vcc, 1
	.set _ZN12_GLOBAL__N_135rocblas_gemm_batched_general_kernelIDF16_Li16ELi16ELi32ELi32ELi8ELi32ELi8ELi8ELi32ELc67ELc67EKDF16_S1_DF16_EEvlllT_PT11_llS4_llS2_PT12_llPT13_lli.uses_flat_scratch, 0
	.set _ZN12_GLOBAL__N_135rocblas_gemm_batched_general_kernelIDF16_Li16ELi16ELi32ELi32ELi8ELi32ELi8ELi8ELi32ELc67ELc67EKDF16_S1_DF16_EEvlllT_PT11_llS4_llS2_PT12_llPT13_lli.has_dyn_sized_stack, 0
	.set _ZN12_GLOBAL__N_135rocblas_gemm_batched_general_kernelIDF16_Li16ELi16ELi32ELi32ELi8ELi32ELi8ELi8ELi32ELc67ELc67EKDF16_S1_DF16_EEvlllT_PT11_llS4_llS2_PT12_llPT13_lli.has_recursion, 0
	.set _ZN12_GLOBAL__N_135rocblas_gemm_batched_general_kernelIDF16_Li16ELi16ELi32ELi32ELi8ELi32ELi8ELi8ELi32ELc67ELc67EKDF16_S1_DF16_EEvlllT_PT11_llS4_llS2_PT12_llPT13_lli.has_indirect_call, 0
	.section	.AMDGPU.csdata,"",@progbits
; Kernel info:
; codeLenInByte = 1940
; TotalNumSgprs: 32
; NumVgprs: 30
; ScratchSize: 0
; MemoryBound: 0
; FloatMode: 240
; IeeeMode: 1
; LDSByteSize: 1024 bytes/workgroup (compile time only)
; SGPRBlocks: 0
; VGPRBlocks: 3
; NumSGPRsForWavesPerEU: 32
; NumVGPRsForWavesPerEU: 30
; Occupancy: 16
; WaveLimiterHint : 0
; COMPUTE_PGM_RSRC2:SCRATCH_EN: 0
; COMPUTE_PGM_RSRC2:USER_SGPR: 6
; COMPUTE_PGM_RSRC2:TRAP_HANDLER: 0
; COMPUTE_PGM_RSRC2:TGID_X_EN: 1
; COMPUTE_PGM_RSRC2:TGID_Y_EN: 1
; COMPUTE_PGM_RSRC2:TGID_Z_EN: 1
; COMPUTE_PGM_RSRC2:TIDIG_COMP_CNT: 1
	.section	.text._ZN12_GLOBAL__N_135rocblas_gemm_batched_general_kernelIDF16_Li16ELi16ELi32ELi32ELi8ELi32ELi8ELi8ELi32ELc67ELc78EKDF16_S1_DF16_EEvlllT_PT11_llS4_llS2_PT12_llPT13_lli,"axG",@progbits,_ZN12_GLOBAL__N_135rocblas_gemm_batched_general_kernelIDF16_Li16ELi16ELi32ELi32ELi8ELi32ELi8ELi8ELi32ELc67ELc78EKDF16_S1_DF16_EEvlllT_PT11_llS4_llS2_PT12_llPT13_lli,comdat
	.globl	_ZN12_GLOBAL__N_135rocblas_gemm_batched_general_kernelIDF16_Li16ELi16ELi32ELi32ELi8ELi32ELi8ELi8ELi32ELc67ELc78EKDF16_S1_DF16_EEvlllT_PT11_llS4_llS2_PT12_llPT13_lli ; -- Begin function _ZN12_GLOBAL__N_135rocblas_gemm_batched_general_kernelIDF16_Li16ELi16ELi32ELi32ELi8ELi32ELi8ELi8ELi32ELc67ELc78EKDF16_S1_DF16_EEvlllT_PT11_llS4_llS2_PT12_llPT13_lli
	.p2align	8
	.type	_ZN12_GLOBAL__N_135rocblas_gemm_batched_general_kernelIDF16_Li16ELi16ELi32ELi32ELi8ELi32ELi8ELi8ELi32ELc67ELc78EKDF16_S1_DF16_EEvlllT_PT11_llS4_llS2_PT12_llPT13_lli,@function
_ZN12_GLOBAL__N_135rocblas_gemm_batched_general_kernelIDF16_Li16ELi16ELi32ELi32ELi8ELi32ELi8ELi8ELi32ELc67ELc78EKDF16_S1_DF16_EEvlllT_PT11_llS4_llS2_PT12_llPT13_lli: ; @_ZN12_GLOBAL__N_135rocblas_gemm_batched_general_kernelIDF16_Li16ELi16ELi32ELi32ELi8ELi32ELi8ELi8ELi32ELc67ELc78EKDF16_S1_DF16_EEvlllT_PT11_llS4_llS2_PT12_llPT13_lli
; %bb.0:
	s_clause 0x1
	s_load_dwordx2 s[10:11], s[4:5], 0x10
	s_load_dwordx4 s[20:23], s[4:5], 0x0
	s_mov_b32 s0, s7
	v_mov_b32_e32 v7, 0
	s_ashr_i32 s7, s6, 31
	s_ashr_i32 s1, s0, 31
	s_lshl_b64 s[6:7], s[6:7], 5
	s_waitcnt lgkmcnt(0)
	v_cmp_lt_i64_e64 s2, s[10:11], 1
	s_and_b32 vcc_lo, exec_lo, s2
	s_lshl_b64 s[2:3], s[0:1], 5
	s_cbranch_vccnz .LBB25_7
; %bb.1:
	v_lshlrev_b32_e32 v8, 4, v1
	s_clause 0x1
	s_load_dwordx4 s[24:27], s[4:5], 0x40
	s_load_dwordx8 s[12:19], s[4:5], 0x20
	v_and_b32_e32 v6, 7, v0
	v_mov_b32_e32 v3, s7
	v_add_nc_u32_e32 v2, v8, v0
	v_lshlrev_b32_e32 v14, 1, v6
	v_and_b32_e32 v11, 31, v2
	v_lshrrev_b32_e32 v10, 3, v2
	v_lshrrev_b32_e32 v9, 5, v2
	v_lshlrev_b32_e32 v12, 1, v11
	v_add_co_u32 v4, s0, v10, s2
	v_or_b32_e32 v2, s6, v11
	v_add_co_ci_u32_e64 v5, null, 0, s3, s0
	v_lshl_or_b32 v13, v10, 4, v14
	v_lshl_or_b32 v10, v9, 6, v12
	v_add_co_u32 v12, s1, s6, v11
	v_add_co_ci_u32_e64 v17, null, s7, 0, s1
	v_cmp_gt_i64_e64 s0, s[20:21], v[2:3]
	s_waitcnt lgkmcnt(0)
	v_mul_lo_u32 v15, s25, v4
	v_mul_lo_u32 v16, s24, v5
	v_mad_u64_u32 v[2:3], null, s24, v4, 0
	v_cmp_gt_i64_e64 s1, s[22:23], v[4:5]
	v_mul_lo_u32 v18, s15, v12
	v_mul_lo_u32 v17, s14, v17
	v_mad_u64_u32 v[4:5], null, s14, v12, 0
	s_mul_i32 s9, s27, s8
	v_add3_u32 v3, v3, v16, v15
	s_mul_hi_u32 s14, s26, s8
	v_add_nc_u32_e32 v11, 0x200, v13
	s_add_i32 s15, s14, s9
	s_mul_i32 s14, s26, s8
	v_add3_u32 v5, v5, v17, v18
	v_lshlrev_b64 v[2:3], 1, v[2:3]
	s_lshl_b64 s[14:15], s[14:15], 1
	s_mul_i32 s9, s17, s8
	s_mul_hi_u32 s17, s16, s8
	v_lshlrev_b64 v[4:5], 1, v[4:5]
	s_add_i32 s17, s17, s9
	s_mul_i32 s16, s16, s8
	v_add_co_u32 v2, vcc_lo, v2, s14
	v_add_co_ci_u32_e64 v3, null, s15, v3, vcc_lo
	s_lshl_b64 s[14:15], s[16:17], 1
	v_add_nc_u32_e32 v13, 0x200, v8
	v_add_co_u32 v4, vcc_lo, v4, s14
	v_lshlrev_b32_e32 v8, 1, v9
	v_add_co_ci_u32_e64 v5, null, s15, v5, vcc_lo
	v_add_co_u32 v2, vcc_lo, v2, v14
	v_add_co_ci_u32_e64 v3, null, 0, v3, vcc_lo
	v_add_co_u32 v4, vcc_lo, v4, v8
	;; [unrolled: 2-line block ×4, first 2 shown]
	v_lshlrev_b32_e32 v12, 1, v0
	v_add_co_ci_u32_e64 v5, null, s13, v5, vcc_lo
	v_mov_b32_e32 v8, 0
	s_mov_b64 s[12:13], 0
	s_branch .LBB25_3
.LBB25_2:                               ;   in Loop: Header=BB25_3 Depth=1
	s_or_b32 exec_lo, exec_lo, s9
	s_waitcnt vmcnt(0)
	ds_write_b16 v11, v14
	s_waitcnt lgkmcnt(0)
	s_barrier
	buffer_gl0_inv
	ds_read_u16 v22, v12
	ds_read_u16 v23, v12 offset:64
	ds_read_u16 v24, v12 offset:128
	;; [unrolled: 1-line block ×7, first 2 shown]
	s_add_u32 s12, s12, 8
	s_addc_u32 s13, s13, 0
	v_add_co_u32 v2, vcc_lo, v2, 16
	v_cmp_lt_i64_e64 s9, s[12:13], s[10:11]
	v_add_co_ci_u32_e64 v3, null, 0, v3, vcc_lo
	v_add_co_u32 v4, vcc_lo, v4, 16
	v_add_co_ci_u32_e64 v5, null, 0, v5, vcc_lo
	s_and_b32 vcc_lo, exec_lo, s9
	s_waitcnt lgkmcnt(7)
	ds_read_u16_d16_hi v22, v12 offset:32
	ds_read_b128 v[14:17], v13
	ds_read_b128 v[18:21], v13 offset:256
	s_waitcnt lgkmcnt(9)
	ds_read_u16_d16_hi v23, v12 offset:96
	s_waitcnt lgkmcnt(9)
	ds_read_u16_d16_hi v24, v12 offset:160
	;; [unrolled: 2-line block ×7, first 2 shown]
	s_waitcnt lgkmcnt(0)
	s_barrier
	buffer_gl0_inv
	v_pk_fma_f16 v7, v22, v14, v7 op_sel_hi:[1,0,1]
	v_pk_fma_f16 v8, v22, v18, v8 op_sel_hi:[1,0,1]
	v_pk_fma_f16 v7, v23, v14, v7 op_sel:[0,1,0]
	v_pk_fma_f16 v8, v23, v18, v8 op_sel:[0,1,0]
	v_pk_fma_f16 v7, v24, v15, v7 op_sel_hi:[1,0,1]
	v_pk_fma_f16 v8, v24, v19, v8 op_sel_hi:[1,0,1]
	v_pk_fma_f16 v7, v25, v15, v7 op_sel:[0,1,0]
	v_pk_fma_f16 v8, v25, v19, v8 op_sel:[0,1,0]
	;; [unrolled: 4-line block ×4, first 2 shown]
	s_cbranch_vccz .LBB25_8
.LBB25_3:                               ; =>This Inner Loop Header: Depth=1
	v_add_co_u32 v14, s9, v9, s12
	v_add_co_ci_u32_e64 v15, null, 0, s13, s9
	v_cmp_gt_i64_e32 vcc_lo, s[10:11], v[14:15]
	v_mov_b32_e32 v14, 0
	v_mov_b32_e32 v15, 0
	s_and_b32 s14, s0, vcc_lo
	s_and_saveexec_b32 s9, s14
	s_cbranch_execz .LBB25_5
; %bb.4:                                ;   in Loop: Header=BB25_3 Depth=1
	global_load_ushort v15, v[4:5], off
.LBB25_5:                               ;   in Loop: Header=BB25_3 Depth=1
	s_or_b32 exec_lo, exec_lo, s9
	v_add_co_u32 v16, s9, v6, s12
	v_add_co_ci_u32_e64 v17, null, 0, s13, s9
	s_waitcnt vmcnt(0)
	ds_write_b16 v10, v15
	v_cmp_gt_i64_e32 vcc_lo, s[10:11], v[16:17]
	s_and_b32 s14, vcc_lo, s1
	s_and_saveexec_b32 s9, s14
	s_cbranch_execz .LBB25_2
; %bb.6:                                ;   in Loop: Header=BB25_3 Depth=1
	global_load_ushort v14, v[2:3], off
	s_branch .LBB25_2
.LBB25_7:
	v_mov_b32_e32 v8, 0
.LBB25_8:
	s_clause 0x3
	s_load_dwordx4 s[24:27], s[4:5], 0x78
	s_load_dword s9, s[4:5], 0x50
	s_load_dwordx8 s[12:19], s[4:5], 0x58
	s_load_dword s4, s[4:5], 0x18
	v_add_co_u32 v1, s0, s2, v1
	v_add_co_ci_u32_e64 v2, null, s3, 0, s0
	s_waitcnt lgkmcnt(0)
	s_mul_i32 s1, s27, s8
	s_mul_hi_u32 s2, s26, s8
	s_mul_i32 s0, s26, s8
	s_add_i32 s1, s2, s1
	v_cmp_neq_f16_e64 s2, s9, 0
	s_lshl_b64 s[10:11], s[0:1], 1
	v_cmp_gt_i64_e64 s0, s[22:23], v[1:2]
	s_add_u32 s3, s18, s10
	s_addc_u32 s5, s19, s11
	s_and_b32 vcc_lo, exec_lo, s2
	s_cbranch_vccnz .LBB25_21
; %bb.9:
	s_and_saveexec_b32 s10, s0
	s_cbranch_execz .LBB25_19
; %bb.10:
	v_mul_lo_u32 v5, v2, s24
	v_mul_lo_u32 v6, v1, s25
	v_mad_u64_u32 v[3:4], null, v1, s24, 0
	v_add3_u32 v4, v4, v6, v5
	v_add_co_u32 v5, s1, s6, v0
	v_add_co_ci_u32_e64 v6, null, s7, 0, s1
	v_lshlrev_b64 v[9:10], 1, v[3:4]
	v_cmp_gt_i64_e32 vcc_lo, s[20:21], v[5:6]
	v_lshlrev_b64 v[3:4], 1, v[5:6]
	v_add_co_u32 v9, s1, s3, v9
	v_add_co_ci_u32_e64 v10, null, s5, v10, s1
	s_and_saveexec_b32 s2, vcc_lo
	s_cbranch_execz .LBB25_12
; %bb.11:
	v_add_co_u32 v11, s1, v9, v3
	v_add_co_ci_u32_e64 v12, null, v10, v4, s1
	v_mul_f16_e32 v13, s4, v7
	global_store_short v[11:12], v13, off
.LBB25_12:
	s_or_b32 exec_lo, exec_lo, s2
	v_add_co_u32 v5, s1, v5, 16
	v_add_co_ci_u32_e64 v6, null, 0, v6, s1
	v_cmp_gt_i64_e64 s1, s[20:21], v[5:6]
	s_and_saveexec_b32 s11, s1
	s_cbranch_execz .LBB25_14
; %bb.13:
	v_add_co_u32 v5, s2, v9, v3
	v_add_co_ci_u32_e64 v6, null, v10, v4, s2
	v_mul_f16_sdwa v11, s4, v7 dst_sel:DWORD dst_unused:UNUSED_PAD src0_sel:DWORD src1_sel:WORD_1
	global_store_short v[5:6], v11, off offset:32
.LBB25_14:
	s_or_b32 exec_lo, exec_lo, s11
	v_add_co_u32 v5, s2, v1, 16
	v_add_co_ci_u32_e64 v6, null, 0, v2, s2
	v_cmp_gt_i64_e64 s2, s[22:23], v[5:6]
	s_and_b32 exec_lo, exec_lo, s2
	s_cbranch_execz .LBB25_19
; %bb.15:
	s_lshl_b64 s[18:19], s[24:25], 5
	v_add_co_u32 v5, s2, v9, s18
	v_add_co_ci_u32_e64 v6, null, s19, v10, s2
	v_add_co_u32 v3, s2, v5, v3
	v_add_co_ci_u32_e64 v4, null, v6, v4, s2
	s_and_saveexec_b32 s2, vcc_lo
	s_cbranch_execz .LBB25_17
; %bb.16:
	v_mul_f16_e32 v5, s4, v8
	global_store_short v[3:4], v5, off
.LBB25_17:
	s_or_b32 exec_lo, exec_lo, s2
	s_and_b32 exec_lo, exec_lo, s1
	s_cbranch_execz .LBB25_19
; %bb.18:
	v_mul_f16_sdwa v5, s4, v8 dst_sel:DWORD dst_unused:UNUSED_PAD src0_sel:DWORD src1_sel:WORD_1
	global_store_short v[3:4], v5, off offset:32
.LBB25_19:
	s_or_b32 exec_lo, exec_lo, s10
	s_cbranch_execz .LBB25_22
.LBB25_20:
	s_endpgm
.LBB25_21:
.LBB25_22:
	s_and_saveexec_b32 s1, s0
	s_cbranch_execz .LBB25_20
; %bb.23:
	v_mul_lo_u32 v5, v2, s14
	v_mul_lo_u32 v6, v1, s15
	v_mad_u64_u32 v[3:4], null, v1, s14, 0
	v_mul_lo_u32 v11, v2, s24
	v_mul_lo_u32 v12, v1, s25
	v_mad_u64_u32 v[9:10], null, v1, s24, 0
	s_mul_i32 s0, s17, s8
	s_mul_hi_u32 s1, s16, s8
	v_add3_u32 v4, v4, v6, v5
	s_add_i32 s1, s1, s0
	s_mul_i32 s0, s16, s8
	v_add_co_u32 v5, s2, s6, v0
	v_add3_u32 v10, v10, v12, v11
	v_lshlrev_b64 v[3:4], 1, v[3:4]
	s_lshl_b64 s[0:1], s[0:1], 1
	v_add_co_ci_u32_e64 v6, null, s7, 0, s2
	v_lshlrev_b64 v[10:11], 1, v[9:10]
	s_add_u32 s0, s12, s0
	s_addc_u32 s1, s13, s1
	v_add_co_u32 v0, s0, s0, v3
	v_add_co_ci_u32_e64 v9, null, s1, v4, s0
	v_add_co_u32 v10, s0, s3, v10
	v_cmp_gt_i64_e32 vcc_lo, s[20:21], v[5:6]
	v_lshlrev_b64 v[3:4], 1, v[5:6]
	v_add_co_ci_u32_e64 v11, null, s5, v11, s0
	s_and_saveexec_b32 s1, vcc_lo
	s_cbranch_execz .LBB25_25
; %bb.24:
	v_add_co_u32 v12, s0, v0, v3
	v_add_co_ci_u32_e64 v13, null, v9, v4, s0
	global_load_ushort v12, v[12:13], off
	s_waitcnt vmcnt(0)
	v_mul_f16_e32 v14, s9, v12
	v_add_co_u32 v12, s0, v10, v3
	v_add_co_ci_u32_e64 v13, null, v11, v4, s0
	v_fmac_f16_e32 v14, s4, v7
	global_store_short v[12:13], v14, off
.LBB25_25:
	s_or_b32 exec_lo, exec_lo, s1
	v_add_co_u32 v5, s0, v5, 16
	v_add_co_ci_u32_e64 v6, null, 0, v6, s0
	v_cmp_gt_i64_e64 s0, s[20:21], v[5:6]
	s_and_saveexec_b32 s2, s0
	s_cbranch_execz .LBB25_27
; %bb.26:
	v_add_co_u32 v5, s1, v0, v3
	v_add_co_ci_u32_e64 v6, null, v9, v4, s1
	global_load_ushort v5, v[5:6], off offset:32
	v_lshrrev_b32_e32 v6, 16, v7
	s_waitcnt vmcnt(0)
	v_mul_f16_e32 v7, s9, v5
	v_add_co_u32 v5, s1, v10, v3
	v_fmac_f16_e32 v7, s4, v6
	v_add_co_ci_u32_e64 v6, null, v11, v4, s1
	global_store_short v[5:6], v7, off offset:32
.LBB25_27:
	s_or_b32 exec_lo, exec_lo, s2
	v_add_co_u32 v1, s1, v1, 16
	v_add_co_ci_u32_e64 v2, null, 0, v2, s1
	v_cmp_gt_i64_e64 s1, s[22:23], v[1:2]
	s_and_b32 exec_lo, exec_lo, s1
	s_cbranch_execz .LBB25_20
; %bb.28:
	s_lshl_b64 s[2:3], s[14:15], 5
	v_add_co_u32 v0, s1, v0, s2
	v_add_co_ci_u32_e64 v1, null, s3, v9, s1
	s_lshl_b64 s[2:3], s[24:25], 5
	v_add_co_u32 v2, s1, v10, s2
	v_add_co_ci_u32_e64 v7, null, s3, v11, s1
	v_add_co_u32 v5, s1, v0, v3
	v_add_co_ci_u32_e64 v6, null, v1, v4, s1
	;; [unrolled: 2-line block ×3, first 2 shown]
	s_and_saveexec_b32 s1, vcc_lo
	s_cbranch_execz .LBB25_30
; %bb.29:
	global_load_ushort v2, v[5:6], off
	s_waitcnt vmcnt(0)
	v_mul_f16_e32 v2, s9, v2
	v_fmac_f16_e32 v2, s4, v8
	global_store_short v[0:1], v2, off
.LBB25_30:
	s_or_b32 exec_lo, exec_lo, s1
	s_and_b32 exec_lo, exec_lo, s0
	s_cbranch_execz .LBB25_20
; %bb.31:
	global_load_ushort v2, v[5:6], off offset:32
	v_lshrrev_b32_e32 v3, 16, v8
	s_waitcnt vmcnt(0)
	v_mul_f16_e32 v2, s9, v2
	v_fmac_f16_e32 v2, s4, v3
	global_store_short v[0:1], v2, off offset:32
	s_endpgm
	.section	.rodata,"a",@progbits
	.p2align	6, 0x0
	.amdhsa_kernel _ZN12_GLOBAL__N_135rocblas_gemm_batched_general_kernelIDF16_Li16ELi16ELi32ELi32ELi8ELi32ELi8ELi8ELi32ELc67ELc78EKDF16_S1_DF16_EEvlllT_PT11_llS4_llS2_PT12_llPT13_lli
		.amdhsa_group_segment_fixed_size 1024
		.amdhsa_private_segment_fixed_size 0
		.amdhsa_kernarg_size 140
		.amdhsa_user_sgpr_count 6
		.amdhsa_user_sgpr_private_segment_buffer 1
		.amdhsa_user_sgpr_dispatch_ptr 0
		.amdhsa_user_sgpr_queue_ptr 0
		.amdhsa_user_sgpr_kernarg_segment_ptr 1
		.amdhsa_user_sgpr_dispatch_id 0
		.amdhsa_user_sgpr_flat_scratch_init 0
		.amdhsa_user_sgpr_private_segment_size 0
		.amdhsa_wavefront_size32 1
		.amdhsa_uses_dynamic_stack 0
		.amdhsa_system_sgpr_private_segment_wavefront_offset 0
		.amdhsa_system_sgpr_workgroup_id_x 1
		.amdhsa_system_sgpr_workgroup_id_y 1
		.amdhsa_system_sgpr_workgroup_id_z 1
		.amdhsa_system_sgpr_workgroup_info 0
		.amdhsa_system_vgpr_workitem_id 1
		.amdhsa_next_free_vgpr 30
		.amdhsa_next_free_sgpr 28
		.amdhsa_reserve_vcc 1
		.amdhsa_reserve_flat_scratch 0
		.amdhsa_float_round_mode_32 0
		.amdhsa_float_round_mode_16_64 0
		.amdhsa_float_denorm_mode_32 3
		.amdhsa_float_denorm_mode_16_64 3
		.amdhsa_dx10_clamp 1
		.amdhsa_ieee_mode 1
		.amdhsa_fp16_overflow 0
		.amdhsa_workgroup_processor_mode 1
		.amdhsa_memory_ordered 1
		.amdhsa_forward_progress 1
		.amdhsa_shared_vgpr_count 0
		.amdhsa_exception_fp_ieee_invalid_op 0
		.amdhsa_exception_fp_denorm_src 0
		.amdhsa_exception_fp_ieee_div_zero 0
		.amdhsa_exception_fp_ieee_overflow 0
		.amdhsa_exception_fp_ieee_underflow 0
		.amdhsa_exception_fp_ieee_inexact 0
		.amdhsa_exception_int_div_zero 0
	.end_amdhsa_kernel
	.section	.text._ZN12_GLOBAL__N_135rocblas_gemm_batched_general_kernelIDF16_Li16ELi16ELi32ELi32ELi8ELi32ELi8ELi8ELi32ELc67ELc78EKDF16_S1_DF16_EEvlllT_PT11_llS4_llS2_PT12_llPT13_lli,"axG",@progbits,_ZN12_GLOBAL__N_135rocblas_gemm_batched_general_kernelIDF16_Li16ELi16ELi32ELi32ELi8ELi32ELi8ELi8ELi32ELc67ELc78EKDF16_S1_DF16_EEvlllT_PT11_llS4_llS2_PT12_llPT13_lli,comdat
.Lfunc_end25:
	.size	_ZN12_GLOBAL__N_135rocblas_gemm_batched_general_kernelIDF16_Li16ELi16ELi32ELi32ELi8ELi32ELi8ELi8ELi32ELc67ELc78EKDF16_S1_DF16_EEvlllT_PT11_llS4_llS2_PT12_llPT13_lli, .Lfunc_end25-_ZN12_GLOBAL__N_135rocblas_gemm_batched_general_kernelIDF16_Li16ELi16ELi32ELi32ELi8ELi32ELi8ELi8ELi32ELc67ELc78EKDF16_S1_DF16_EEvlllT_PT11_llS4_llS2_PT12_llPT13_lli
                                        ; -- End function
	.set _ZN12_GLOBAL__N_135rocblas_gemm_batched_general_kernelIDF16_Li16ELi16ELi32ELi32ELi8ELi32ELi8ELi8ELi32ELc67ELc78EKDF16_S1_DF16_EEvlllT_PT11_llS4_llS2_PT12_llPT13_lli.num_vgpr, 30
	.set _ZN12_GLOBAL__N_135rocblas_gemm_batched_general_kernelIDF16_Li16ELi16ELi32ELi32ELi8ELi32ELi8ELi8ELi32ELc67ELc78EKDF16_S1_DF16_EEvlllT_PT11_llS4_llS2_PT12_llPT13_lli.num_agpr, 0
	.set _ZN12_GLOBAL__N_135rocblas_gemm_batched_general_kernelIDF16_Li16ELi16ELi32ELi32ELi8ELi32ELi8ELi8ELi32ELc67ELc78EKDF16_S1_DF16_EEvlllT_PT11_llS4_llS2_PT12_llPT13_lli.numbered_sgpr, 28
	.set _ZN12_GLOBAL__N_135rocblas_gemm_batched_general_kernelIDF16_Li16ELi16ELi32ELi32ELi8ELi32ELi8ELi8ELi32ELc67ELc78EKDF16_S1_DF16_EEvlllT_PT11_llS4_llS2_PT12_llPT13_lli.num_named_barrier, 0
	.set _ZN12_GLOBAL__N_135rocblas_gemm_batched_general_kernelIDF16_Li16ELi16ELi32ELi32ELi8ELi32ELi8ELi8ELi32ELc67ELc78EKDF16_S1_DF16_EEvlllT_PT11_llS4_llS2_PT12_llPT13_lli.private_seg_size, 0
	.set _ZN12_GLOBAL__N_135rocblas_gemm_batched_general_kernelIDF16_Li16ELi16ELi32ELi32ELi8ELi32ELi8ELi8ELi32ELc67ELc78EKDF16_S1_DF16_EEvlllT_PT11_llS4_llS2_PT12_llPT13_lli.uses_vcc, 1
	.set _ZN12_GLOBAL__N_135rocblas_gemm_batched_general_kernelIDF16_Li16ELi16ELi32ELi32ELi8ELi32ELi8ELi8ELi32ELc67ELc78EKDF16_S1_DF16_EEvlllT_PT11_llS4_llS2_PT12_llPT13_lli.uses_flat_scratch, 0
	.set _ZN12_GLOBAL__N_135rocblas_gemm_batched_general_kernelIDF16_Li16ELi16ELi32ELi32ELi8ELi32ELi8ELi8ELi32ELc67ELc78EKDF16_S1_DF16_EEvlllT_PT11_llS4_llS2_PT12_llPT13_lli.has_dyn_sized_stack, 0
	.set _ZN12_GLOBAL__N_135rocblas_gemm_batched_general_kernelIDF16_Li16ELi16ELi32ELi32ELi8ELi32ELi8ELi8ELi32ELc67ELc78EKDF16_S1_DF16_EEvlllT_PT11_llS4_llS2_PT12_llPT13_lli.has_recursion, 0
	.set _ZN12_GLOBAL__N_135rocblas_gemm_batched_general_kernelIDF16_Li16ELi16ELi32ELi32ELi8ELi32ELi8ELi8ELi32ELc67ELc78EKDF16_S1_DF16_EEvlllT_PT11_llS4_llS2_PT12_llPT13_lli.has_indirect_call, 0
	.section	.AMDGPU.csdata,"",@progbits
; Kernel info:
; codeLenInByte = 1936
; TotalNumSgprs: 30
; NumVgprs: 30
; ScratchSize: 0
; MemoryBound: 0
; FloatMode: 240
; IeeeMode: 1
; LDSByteSize: 1024 bytes/workgroup (compile time only)
; SGPRBlocks: 0
; VGPRBlocks: 3
; NumSGPRsForWavesPerEU: 30
; NumVGPRsForWavesPerEU: 30
; Occupancy: 16
; WaveLimiterHint : 0
; COMPUTE_PGM_RSRC2:SCRATCH_EN: 0
; COMPUTE_PGM_RSRC2:USER_SGPR: 6
; COMPUTE_PGM_RSRC2:TRAP_HANDLER: 0
; COMPUTE_PGM_RSRC2:TGID_X_EN: 1
; COMPUTE_PGM_RSRC2:TGID_Y_EN: 1
; COMPUTE_PGM_RSRC2:TGID_Z_EN: 1
; COMPUTE_PGM_RSRC2:TIDIG_COMP_CNT: 1
	.section	.text._ZN12_GLOBAL__N_135rocblas_gemm_batched_general_kernelIDF16_Li16ELi16ELi32ELi32ELi8ELi32ELi8ELi8ELi32ELc67ELc84EKDF16_S1_DF16_EEvlllT_PT11_llS4_llS2_PT12_llPT13_lli,"axG",@progbits,_ZN12_GLOBAL__N_135rocblas_gemm_batched_general_kernelIDF16_Li16ELi16ELi32ELi32ELi8ELi32ELi8ELi8ELi32ELc67ELc84EKDF16_S1_DF16_EEvlllT_PT11_llS4_llS2_PT12_llPT13_lli,comdat
	.globl	_ZN12_GLOBAL__N_135rocblas_gemm_batched_general_kernelIDF16_Li16ELi16ELi32ELi32ELi8ELi32ELi8ELi8ELi32ELc67ELc84EKDF16_S1_DF16_EEvlllT_PT11_llS4_llS2_PT12_llPT13_lli ; -- Begin function _ZN12_GLOBAL__N_135rocblas_gemm_batched_general_kernelIDF16_Li16ELi16ELi32ELi32ELi8ELi32ELi8ELi8ELi32ELc67ELc84EKDF16_S1_DF16_EEvlllT_PT11_llS4_llS2_PT12_llPT13_lli
	.p2align	8
	.type	_ZN12_GLOBAL__N_135rocblas_gemm_batched_general_kernelIDF16_Li16ELi16ELi32ELi32ELi8ELi32ELi8ELi8ELi32ELc67ELc84EKDF16_S1_DF16_EEvlllT_PT11_llS4_llS2_PT12_llPT13_lli,@function
_ZN12_GLOBAL__N_135rocblas_gemm_batched_general_kernelIDF16_Li16ELi16ELi32ELi32ELi8ELi32ELi8ELi8ELi32ELc67ELc84EKDF16_S1_DF16_EEvlllT_PT11_llS4_llS2_PT12_llPT13_lli: ; @_ZN12_GLOBAL__N_135rocblas_gemm_batched_general_kernelIDF16_Li16ELi16ELi32ELi32ELi8ELi32ELi8ELi8ELi32ELc67ELc84EKDF16_S1_DF16_EEvlllT_PT11_llS4_llS2_PT12_llPT13_lli
; %bb.0:
	s_clause 0x1
	s_load_dwordx2 s[10:11], s[4:5], 0x10
	s_load_dwordx4 s[20:23], s[4:5], 0x0
	s_mov_b32 s0, s7
	v_mov_b32_e32 v7, 0
	s_ashr_i32 s7, s6, 31
	s_ashr_i32 s1, s0, 31
	s_lshl_b64 s[6:7], s[6:7], 5
	s_waitcnt lgkmcnt(0)
	v_cmp_lt_i64_e64 s2, s[10:11], 1
	s_and_b32 vcc_lo, exec_lo, s2
	s_lshl_b64 s[2:3], s[0:1], 5
	s_cbranch_vccnz .LBB26_7
; %bb.1:
	s_load_dwordx4 s[24:27], s[4:5], 0x40
	v_lshlrev_b32_e32 v2, 4, v1
	v_and_b32_e32 v6, 7, v0
	s_load_dwordx8 s[12:19], s[4:5], 0x20
	v_mov_b32_e32 v3, s7
	s_lshl_b64 s[28:29], s[0:1], 6
	v_add_nc_u32_e32 v4, v2, v0
	v_add_nc_u32_e32 v10, 0x200, v2
	v_lshlrev_b32_e32 v8, 1, v6
	v_lshlrev_b32_e32 v9, 1, v0
	v_and_b32_e32 v12, 31, v4
	v_lshrrev_b32_e32 v15, 3, v4
	v_lshrrev_b32_e32 v11, 5, v4
	v_or_b32_e32 v2, s6, v12
	v_add_co_u32 v13, s0, v15, s2
	v_add_co_ci_u32_e64 v14, null, 0, s3, s0
	s_waitcnt lgkmcnt(0)
	v_mad_u64_u32 v[4:5], null, s24, v6, 0
	v_add_co_u32 v17, s0, s6, v12
	v_add_co_ci_u32_e64 v18, null, s7, 0, s0
	v_cmp_gt_i64_e64 s0, s[20:21], v[2:3]
	v_lshl_or_b32 v8, v15, 4, v8
	v_mad_u64_u32 v[2:3], null, s25, v6, v[5:6]
	v_cmp_gt_i64_e64 s1, s[22:23], v[13:14]
	v_mul_lo_u32 v14, s14, v18
	v_add_nc_u32_e32 v13, 0x200, v8
	v_mul_lo_u32 v8, s15, v17
	s_mul_i32 s9, s27, s8
	s_mul_hi_u32 s27, s26, s8
	v_mov_b32_e32 v5, v2
	v_mad_u64_u32 v[2:3], null, s14, v17, 0
	s_mul_i32 s26, s26, s8
	s_add_i32 s27, s27, s9
	v_lshlrev_b64 v[4:5], 1, v[4:5]
	s_lshl_b64 s[14:15], s[26:27], 1
	s_mul_i32 s9, s17, s8
	s_add_u32 s14, s28, s14
	v_add3_u32 v3, v3, v14, v8
	s_mul_hi_u32 s17, s16, s8
	s_addc_u32 s15, s29, s15
	v_add_co_u32 v4, vcc_lo, s14, v4
	v_lshlrev_b64 v[2:3], 1, v[2:3]
	v_add_co_ci_u32_e64 v5, null, s15, v5, vcc_lo
	s_add_i32 s15, s17, s9
	s_mul_i32 s14, s16, s8
	v_lshlrev_b32_e32 v8, 1, v15
	s_lshl_b64 s[14:15], s[14:15], 1
	v_lshlrev_b32_e32 v14, 1, v11
	v_add_co_u32 v2, vcc_lo, v2, s14
	v_add_co_ci_u32_e64 v3, null, s15, v3, vcc_lo
	v_add_co_u32 v4, vcc_lo, v4, v8
	v_add_co_ci_u32_e64 v5, null, 0, v5, vcc_lo
	v_add_co_u32 v8, vcc_lo, v2, v14
	v_lshlrev_b32_e32 v16, 1, v12
	v_add_co_ci_u32_e64 v14, null, 0, v3, vcc_lo
	v_add_co_u32 v2, vcc_lo, s18, v4
	v_add_co_ci_u32_e64 v3, null, s19, v5, vcc_lo
	v_add_co_u32 v4, vcc_lo, s12, v8
	v_lshl_or_b32 v12, v11, 6, v16
	v_add_co_ci_u32_e64 v5, null, s13, v14, vcc_lo
	v_mov_b32_e32 v8, 0
	s_lshl_b64 s[12:13], s[24:25], 4
	s_mov_b64 s[14:15], 0
	s_branch .LBB26_3
.LBB26_2:                               ;   in Loop: Header=BB26_3 Depth=1
	s_or_b32 exec_lo, exec_lo, s9
	s_waitcnt vmcnt(0)
	ds_write_b16 v13, v14
	s_waitcnt lgkmcnt(0)
	s_barrier
	buffer_gl0_inv
	ds_read_u16 v22, v9
	ds_read_u16 v23, v9 offset:64
	ds_read_u16 v24, v9 offset:128
	;; [unrolled: 1-line block ×7, first 2 shown]
	s_add_u32 s14, s14, 8
	s_addc_u32 s15, s15, 0
	v_add_co_u32 v2, vcc_lo, v2, s12
	v_cmp_lt_i64_e64 s9, s[14:15], s[10:11]
	v_add_co_ci_u32_e64 v3, null, s13, v3, vcc_lo
	v_add_co_u32 v4, vcc_lo, v4, 16
	v_add_co_ci_u32_e64 v5, null, 0, v5, vcc_lo
	s_and_b32 vcc_lo, exec_lo, s9
	s_waitcnt lgkmcnt(7)
	ds_read_u16_d16_hi v22, v9 offset:32
	ds_read_b128 v[14:17], v10
	ds_read_b128 v[18:21], v10 offset:256
	s_waitcnt lgkmcnt(9)
	ds_read_u16_d16_hi v23, v9 offset:96
	s_waitcnt lgkmcnt(9)
	ds_read_u16_d16_hi v24, v9 offset:160
	;; [unrolled: 2-line block ×7, first 2 shown]
	s_waitcnt lgkmcnt(0)
	s_barrier
	buffer_gl0_inv
	v_pk_fma_f16 v7, v22, v14, v7 op_sel_hi:[1,0,1]
	v_pk_fma_f16 v8, v22, v18, v8 op_sel_hi:[1,0,1]
	v_pk_fma_f16 v7, v23, v14, v7 op_sel:[0,1,0]
	v_pk_fma_f16 v8, v23, v18, v8 op_sel:[0,1,0]
	v_pk_fma_f16 v7, v24, v15, v7 op_sel_hi:[1,0,1]
	v_pk_fma_f16 v8, v24, v19, v8 op_sel_hi:[1,0,1]
	v_pk_fma_f16 v7, v25, v15, v7 op_sel:[0,1,0]
	v_pk_fma_f16 v8, v25, v19, v8 op_sel:[0,1,0]
	;; [unrolled: 4-line block ×4, first 2 shown]
	s_cbranch_vccz .LBB26_8
.LBB26_3:                               ; =>This Inner Loop Header: Depth=1
	v_add_co_u32 v14, s9, v11, s14
	v_add_co_ci_u32_e64 v15, null, 0, s15, s9
	v_cmp_gt_i64_e32 vcc_lo, s[10:11], v[14:15]
	v_mov_b32_e32 v14, 0
	v_mov_b32_e32 v15, 0
	s_and_b32 s16, s0, vcc_lo
	s_and_saveexec_b32 s9, s16
	s_cbranch_execz .LBB26_5
; %bb.4:                                ;   in Loop: Header=BB26_3 Depth=1
	global_load_ushort v15, v[4:5], off
.LBB26_5:                               ;   in Loop: Header=BB26_3 Depth=1
	s_or_b32 exec_lo, exec_lo, s9
	v_add_co_u32 v16, s9, v6, s14
	v_add_co_ci_u32_e64 v17, null, 0, s15, s9
	s_waitcnt vmcnt(0)
	ds_write_b16 v12, v15
	v_cmp_gt_i64_e32 vcc_lo, s[10:11], v[16:17]
	s_and_b32 s16, vcc_lo, s1
	s_and_saveexec_b32 s9, s16
	s_cbranch_execz .LBB26_2
; %bb.6:                                ;   in Loop: Header=BB26_3 Depth=1
	global_load_ushort v14, v[2:3], off
	s_branch .LBB26_2
.LBB26_7:
	v_mov_b32_e32 v8, 0
.LBB26_8:
	s_clause 0x3
	s_load_dwordx4 s[24:27], s[4:5], 0x78
	s_load_dword s9, s[4:5], 0x50
	s_load_dwordx8 s[12:19], s[4:5], 0x58
	s_load_dword s4, s[4:5], 0x18
	v_add_co_u32 v1, s0, s2, v1
	v_add_co_ci_u32_e64 v2, null, s3, 0, s0
	s_waitcnt lgkmcnt(0)
	s_mul_i32 s1, s27, s8
	s_mul_hi_u32 s2, s26, s8
	s_mul_i32 s0, s26, s8
	s_add_i32 s1, s2, s1
	v_cmp_neq_f16_e64 s2, s9, 0
	s_lshl_b64 s[10:11], s[0:1], 1
	v_cmp_gt_i64_e64 s0, s[22:23], v[1:2]
	s_add_u32 s3, s18, s10
	s_addc_u32 s5, s19, s11
	s_and_b32 vcc_lo, exec_lo, s2
	s_cbranch_vccnz .LBB26_21
; %bb.9:
	s_and_saveexec_b32 s10, s0
	s_cbranch_execz .LBB26_19
; %bb.10:
	v_mul_lo_u32 v5, v2, s24
	v_mul_lo_u32 v6, v1, s25
	v_mad_u64_u32 v[3:4], null, v1, s24, 0
	v_add3_u32 v4, v4, v6, v5
	v_add_co_u32 v5, s1, s6, v0
	v_add_co_ci_u32_e64 v6, null, s7, 0, s1
	v_lshlrev_b64 v[9:10], 1, v[3:4]
	v_cmp_gt_i64_e32 vcc_lo, s[20:21], v[5:6]
	v_lshlrev_b64 v[3:4], 1, v[5:6]
	v_add_co_u32 v9, s1, s3, v9
	v_add_co_ci_u32_e64 v10, null, s5, v10, s1
	s_and_saveexec_b32 s2, vcc_lo
	s_cbranch_execz .LBB26_12
; %bb.11:
	v_add_co_u32 v11, s1, v9, v3
	v_add_co_ci_u32_e64 v12, null, v10, v4, s1
	v_mul_f16_e32 v13, s4, v7
	global_store_short v[11:12], v13, off
.LBB26_12:
	s_or_b32 exec_lo, exec_lo, s2
	v_add_co_u32 v5, s1, v5, 16
	v_add_co_ci_u32_e64 v6, null, 0, v6, s1
	v_cmp_gt_i64_e64 s1, s[20:21], v[5:6]
	s_and_saveexec_b32 s11, s1
	s_cbranch_execz .LBB26_14
; %bb.13:
	v_add_co_u32 v5, s2, v9, v3
	v_add_co_ci_u32_e64 v6, null, v10, v4, s2
	v_mul_f16_sdwa v11, s4, v7 dst_sel:DWORD dst_unused:UNUSED_PAD src0_sel:DWORD src1_sel:WORD_1
	global_store_short v[5:6], v11, off offset:32
.LBB26_14:
	s_or_b32 exec_lo, exec_lo, s11
	v_add_co_u32 v5, s2, v1, 16
	v_add_co_ci_u32_e64 v6, null, 0, v2, s2
	v_cmp_gt_i64_e64 s2, s[22:23], v[5:6]
	s_and_b32 exec_lo, exec_lo, s2
	s_cbranch_execz .LBB26_19
; %bb.15:
	s_lshl_b64 s[18:19], s[24:25], 5
	v_add_co_u32 v5, s2, v9, s18
	v_add_co_ci_u32_e64 v6, null, s19, v10, s2
	v_add_co_u32 v3, s2, v5, v3
	v_add_co_ci_u32_e64 v4, null, v6, v4, s2
	s_and_saveexec_b32 s2, vcc_lo
	s_cbranch_execz .LBB26_17
; %bb.16:
	v_mul_f16_e32 v5, s4, v8
	global_store_short v[3:4], v5, off
.LBB26_17:
	s_or_b32 exec_lo, exec_lo, s2
	s_and_b32 exec_lo, exec_lo, s1
	s_cbranch_execz .LBB26_19
; %bb.18:
	v_mul_f16_sdwa v5, s4, v8 dst_sel:DWORD dst_unused:UNUSED_PAD src0_sel:DWORD src1_sel:WORD_1
	global_store_short v[3:4], v5, off offset:32
.LBB26_19:
	s_or_b32 exec_lo, exec_lo, s10
	s_cbranch_execz .LBB26_22
.LBB26_20:
	s_endpgm
.LBB26_21:
.LBB26_22:
	s_and_saveexec_b32 s1, s0
	s_cbranch_execz .LBB26_20
; %bb.23:
	v_mul_lo_u32 v5, v2, s14
	v_mul_lo_u32 v6, v1, s15
	v_mad_u64_u32 v[3:4], null, v1, s14, 0
	v_mul_lo_u32 v11, v2, s24
	v_mul_lo_u32 v12, v1, s25
	v_mad_u64_u32 v[9:10], null, v1, s24, 0
	s_mul_i32 s0, s17, s8
	s_mul_hi_u32 s1, s16, s8
	v_add3_u32 v4, v4, v6, v5
	s_add_i32 s1, s1, s0
	s_mul_i32 s0, s16, s8
	v_add_co_u32 v5, s2, s6, v0
	v_add3_u32 v10, v10, v12, v11
	v_lshlrev_b64 v[3:4], 1, v[3:4]
	s_lshl_b64 s[0:1], s[0:1], 1
	v_add_co_ci_u32_e64 v6, null, s7, 0, s2
	v_lshlrev_b64 v[10:11], 1, v[9:10]
	s_add_u32 s0, s12, s0
	s_addc_u32 s1, s13, s1
	v_add_co_u32 v0, s0, s0, v3
	v_add_co_ci_u32_e64 v9, null, s1, v4, s0
	v_add_co_u32 v10, s0, s3, v10
	v_cmp_gt_i64_e32 vcc_lo, s[20:21], v[5:6]
	v_lshlrev_b64 v[3:4], 1, v[5:6]
	v_add_co_ci_u32_e64 v11, null, s5, v11, s0
	s_and_saveexec_b32 s1, vcc_lo
	s_cbranch_execz .LBB26_25
; %bb.24:
	v_add_co_u32 v12, s0, v0, v3
	v_add_co_ci_u32_e64 v13, null, v9, v4, s0
	global_load_ushort v12, v[12:13], off
	s_waitcnt vmcnt(0)
	v_mul_f16_e32 v14, s9, v12
	v_add_co_u32 v12, s0, v10, v3
	v_add_co_ci_u32_e64 v13, null, v11, v4, s0
	v_fmac_f16_e32 v14, s4, v7
	global_store_short v[12:13], v14, off
.LBB26_25:
	s_or_b32 exec_lo, exec_lo, s1
	v_add_co_u32 v5, s0, v5, 16
	v_add_co_ci_u32_e64 v6, null, 0, v6, s0
	v_cmp_gt_i64_e64 s0, s[20:21], v[5:6]
	s_and_saveexec_b32 s2, s0
	s_cbranch_execz .LBB26_27
; %bb.26:
	v_add_co_u32 v5, s1, v0, v3
	v_add_co_ci_u32_e64 v6, null, v9, v4, s1
	global_load_ushort v5, v[5:6], off offset:32
	v_lshrrev_b32_e32 v6, 16, v7
	s_waitcnt vmcnt(0)
	v_mul_f16_e32 v7, s9, v5
	v_add_co_u32 v5, s1, v10, v3
	v_fmac_f16_e32 v7, s4, v6
	v_add_co_ci_u32_e64 v6, null, v11, v4, s1
	global_store_short v[5:6], v7, off offset:32
.LBB26_27:
	s_or_b32 exec_lo, exec_lo, s2
	v_add_co_u32 v1, s1, v1, 16
	v_add_co_ci_u32_e64 v2, null, 0, v2, s1
	v_cmp_gt_i64_e64 s1, s[22:23], v[1:2]
	s_and_b32 exec_lo, exec_lo, s1
	s_cbranch_execz .LBB26_20
; %bb.28:
	s_lshl_b64 s[2:3], s[14:15], 5
	v_add_co_u32 v0, s1, v0, s2
	v_add_co_ci_u32_e64 v1, null, s3, v9, s1
	s_lshl_b64 s[2:3], s[24:25], 5
	v_add_co_u32 v2, s1, v10, s2
	v_add_co_ci_u32_e64 v7, null, s3, v11, s1
	v_add_co_u32 v5, s1, v0, v3
	v_add_co_ci_u32_e64 v6, null, v1, v4, s1
	;; [unrolled: 2-line block ×3, first 2 shown]
	s_and_saveexec_b32 s1, vcc_lo
	s_cbranch_execz .LBB26_30
; %bb.29:
	global_load_ushort v2, v[5:6], off
	s_waitcnt vmcnt(0)
	v_mul_f16_e32 v2, s9, v2
	v_fmac_f16_e32 v2, s4, v8
	global_store_short v[0:1], v2, off
.LBB26_30:
	s_or_b32 exec_lo, exec_lo, s1
	s_and_b32 exec_lo, exec_lo, s0
	s_cbranch_execz .LBB26_20
; %bb.31:
	global_load_ushort v2, v[5:6], off offset:32
	v_lshrrev_b32_e32 v3, 16, v8
	s_waitcnt vmcnt(0)
	v_mul_f16_e32 v2, s9, v2
	v_fmac_f16_e32 v2, s4, v3
	global_store_short v[0:1], v2, off offset:32
	s_endpgm
	.section	.rodata,"a",@progbits
	.p2align	6, 0x0
	.amdhsa_kernel _ZN12_GLOBAL__N_135rocblas_gemm_batched_general_kernelIDF16_Li16ELi16ELi32ELi32ELi8ELi32ELi8ELi8ELi32ELc67ELc84EKDF16_S1_DF16_EEvlllT_PT11_llS4_llS2_PT12_llPT13_lli
		.amdhsa_group_segment_fixed_size 1024
		.amdhsa_private_segment_fixed_size 0
		.amdhsa_kernarg_size 140
		.amdhsa_user_sgpr_count 6
		.amdhsa_user_sgpr_private_segment_buffer 1
		.amdhsa_user_sgpr_dispatch_ptr 0
		.amdhsa_user_sgpr_queue_ptr 0
		.amdhsa_user_sgpr_kernarg_segment_ptr 1
		.amdhsa_user_sgpr_dispatch_id 0
		.amdhsa_user_sgpr_flat_scratch_init 0
		.amdhsa_user_sgpr_private_segment_size 0
		.amdhsa_wavefront_size32 1
		.amdhsa_uses_dynamic_stack 0
		.amdhsa_system_sgpr_private_segment_wavefront_offset 0
		.amdhsa_system_sgpr_workgroup_id_x 1
		.amdhsa_system_sgpr_workgroup_id_y 1
		.amdhsa_system_sgpr_workgroup_id_z 1
		.amdhsa_system_sgpr_workgroup_info 0
		.amdhsa_system_vgpr_workitem_id 1
		.amdhsa_next_free_vgpr 30
		.amdhsa_next_free_sgpr 30
		.amdhsa_reserve_vcc 1
		.amdhsa_reserve_flat_scratch 0
		.amdhsa_float_round_mode_32 0
		.amdhsa_float_round_mode_16_64 0
		.amdhsa_float_denorm_mode_32 3
		.amdhsa_float_denorm_mode_16_64 3
		.amdhsa_dx10_clamp 1
		.amdhsa_ieee_mode 1
		.amdhsa_fp16_overflow 0
		.amdhsa_workgroup_processor_mode 1
		.amdhsa_memory_ordered 1
		.amdhsa_forward_progress 1
		.amdhsa_shared_vgpr_count 0
		.amdhsa_exception_fp_ieee_invalid_op 0
		.amdhsa_exception_fp_denorm_src 0
		.amdhsa_exception_fp_ieee_div_zero 0
		.amdhsa_exception_fp_ieee_overflow 0
		.amdhsa_exception_fp_ieee_underflow 0
		.amdhsa_exception_fp_ieee_inexact 0
		.amdhsa_exception_int_div_zero 0
	.end_amdhsa_kernel
	.section	.text._ZN12_GLOBAL__N_135rocblas_gemm_batched_general_kernelIDF16_Li16ELi16ELi32ELi32ELi8ELi32ELi8ELi8ELi32ELc67ELc84EKDF16_S1_DF16_EEvlllT_PT11_llS4_llS2_PT12_llPT13_lli,"axG",@progbits,_ZN12_GLOBAL__N_135rocblas_gemm_batched_general_kernelIDF16_Li16ELi16ELi32ELi32ELi8ELi32ELi8ELi8ELi32ELc67ELc84EKDF16_S1_DF16_EEvlllT_PT11_llS4_llS2_PT12_llPT13_lli,comdat
.Lfunc_end26:
	.size	_ZN12_GLOBAL__N_135rocblas_gemm_batched_general_kernelIDF16_Li16ELi16ELi32ELi32ELi8ELi32ELi8ELi8ELi32ELc67ELc84EKDF16_S1_DF16_EEvlllT_PT11_llS4_llS2_PT12_llPT13_lli, .Lfunc_end26-_ZN12_GLOBAL__N_135rocblas_gemm_batched_general_kernelIDF16_Li16ELi16ELi32ELi32ELi8ELi32ELi8ELi8ELi32ELc67ELc84EKDF16_S1_DF16_EEvlllT_PT11_llS4_llS2_PT12_llPT13_lli
                                        ; -- End function
	.set _ZN12_GLOBAL__N_135rocblas_gemm_batched_general_kernelIDF16_Li16ELi16ELi32ELi32ELi8ELi32ELi8ELi8ELi32ELc67ELc84EKDF16_S1_DF16_EEvlllT_PT11_llS4_llS2_PT12_llPT13_lli.num_vgpr, 30
	.set _ZN12_GLOBAL__N_135rocblas_gemm_batched_general_kernelIDF16_Li16ELi16ELi32ELi32ELi8ELi32ELi8ELi8ELi32ELc67ELc84EKDF16_S1_DF16_EEvlllT_PT11_llS4_llS2_PT12_llPT13_lli.num_agpr, 0
	.set _ZN12_GLOBAL__N_135rocblas_gemm_batched_general_kernelIDF16_Li16ELi16ELi32ELi32ELi8ELi32ELi8ELi8ELi32ELc67ELc84EKDF16_S1_DF16_EEvlllT_PT11_llS4_llS2_PT12_llPT13_lli.numbered_sgpr, 30
	.set _ZN12_GLOBAL__N_135rocblas_gemm_batched_general_kernelIDF16_Li16ELi16ELi32ELi32ELi8ELi32ELi8ELi8ELi32ELc67ELc84EKDF16_S1_DF16_EEvlllT_PT11_llS4_llS2_PT12_llPT13_lli.num_named_barrier, 0
	.set _ZN12_GLOBAL__N_135rocblas_gemm_batched_general_kernelIDF16_Li16ELi16ELi32ELi32ELi8ELi32ELi8ELi8ELi32ELc67ELc84EKDF16_S1_DF16_EEvlllT_PT11_llS4_llS2_PT12_llPT13_lli.private_seg_size, 0
	.set _ZN12_GLOBAL__N_135rocblas_gemm_batched_general_kernelIDF16_Li16ELi16ELi32ELi32ELi8ELi32ELi8ELi8ELi32ELc67ELc84EKDF16_S1_DF16_EEvlllT_PT11_llS4_llS2_PT12_llPT13_lli.uses_vcc, 1
	.set _ZN12_GLOBAL__N_135rocblas_gemm_batched_general_kernelIDF16_Li16ELi16ELi32ELi32ELi8ELi32ELi8ELi8ELi32ELc67ELc84EKDF16_S1_DF16_EEvlllT_PT11_llS4_llS2_PT12_llPT13_lli.uses_flat_scratch, 0
	.set _ZN12_GLOBAL__N_135rocblas_gemm_batched_general_kernelIDF16_Li16ELi16ELi32ELi32ELi8ELi32ELi8ELi8ELi32ELc67ELc84EKDF16_S1_DF16_EEvlllT_PT11_llS4_llS2_PT12_llPT13_lli.has_dyn_sized_stack, 0
	.set _ZN12_GLOBAL__N_135rocblas_gemm_batched_general_kernelIDF16_Li16ELi16ELi32ELi32ELi8ELi32ELi8ELi8ELi32ELc67ELc84EKDF16_S1_DF16_EEvlllT_PT11_llS4_llS2_PT12_llPT13_lli.has_recursion, 0
	.set _ZN12_GLOBAL__N_135rocblas_gemm_batched_general_kernelIDF16_Li16ELi16ELi32ELi32ELi8ELi32ELi8ELi8ELi32ELc67ELc84EKDF16_S1_DF16_EEvlllT_PT11_llS4_llS2_PT12_llPT13_lli.has_indirect_call, 0
	.section	.AMDGPU.csdata,"",@progbits
; Kernel info:
; codeLenInByte = 1940
; TotalNumSgprs: 32
; NumVgprs: 30
; ScratchSize: 0
; MemoryBound: 0
; FloatMode: 240
; IeeeMode: 1
; LDSByteSize: 1024 bytes/workgroup (compile time only)
; SGPRBlocks: 0
; VGPRBlocks: 3
; NumSGPRsForWavesPerEU: 32
; NumVGPRsForWavesPerEU: 30
; Occupancy: 16
; WaveLimiterHint : 0
; COMPUTE_PGM_RSRC2:SCRATCH_EN: 0
; COMPUTE_PGM_RSRC2:USER_SGPR: 6
; COMPUTE_PGM_RSRC2:TRAP_HANDLER: 0
; COMPUTE_PGM_RSRC2:TGID_X_EN: 1
; COMPUTE_PGM_RSRC2:TGID_Y_EN: 1
; COMPUTE_PGM_RSRC2:TGID_Z_EN: 1
; COMPUTE_PGM_RSRC2:TIDIG_COMP_CNT: 1
	.section	.text._ZN12_GLOBAL__N_135rocblas_gemm_batched_general_kernelIDF16_Li16ELi16ELi32ELi32ELi8ELi32ELi8ELi8ELi32ELc78ELc67EKDF16_S1_DF16_EEvlllT_PT11_llS4_llS2_PT12_llPT13_lli,"axG",@progbits,_ZN12_GLOBAL__N_135rocblas_gemm_batched_general_kernelIDF16_Li16ELi16ELi32ELi32ELi8ELi32ELi8ELi8ELi32ELc78ELc67EKDF16_S1_DF16_EEvlllT_PT11_llS4_llS2_PT12_llPT13_lli,comdat
	.globl	_ZN12_GLOBAL__N_135rocblas_gemm_batched_general_kernelIDF16_Li16ELi16ELi32ELi32ELi8ELi32ELi8ELi8ELi32ELc78ELc67EKDF16_S1_DF16_EEvlllT_PT11_llS4_llS2_PT12_llPT13_lli ; -- Begin function _ZN12_GLOBAL__N_135rocblas_gemm_batched_general_kernelIDF16_Li16ELi16ELi32ELi32ELi8ELi32ELi8ELi8ELi32ELc78ELc67EKDF16_S1_DF16_EEvlllT_PT11_llS4_llS2_PT12_llPT13_lli
	.p2align	8
	.type	_ZN12_GLOBAL__N_135rocblas_gemm_batched_general_kernelIDF16_Li16ELi16ELi32ELi32ELi8ELi32ELi8ELi8ELi32ELc78ELc67EKDF16_S1_DF16_EEvlllT_PT11_llS4_llS2_PT12_llPT13_lli,@function
_ZN12_GLOBAL__N_135rocblas_gemm_batched_general_kernelIDF16_Li16ELi16ELi32ELi32ELi8ELi32ELi8ELi8ELi32ELc78ELc67EKDF16_S1_DF16_EEvlllT_PT11_llS4_llS2_PT12_llPT13_lli: ; @_ZN12_GLOBAL__N_135rocblas_gemm_batched_general_kernelIDF16_Li16ELi16ELi32ELi32ELi8ELi32ELi8ELi8ELi32ELc78ELc67EKDF16_S1_DF16_EEvlllT_PT11_llS4_llS2_PT12_llPT13_lli
; %bb.0:
	s_clause 0x1
	s_load_dwordx2 s[28:29], s[4:5], 0x10
	s_load_dwordx4 s[20:23], s[4:5], 0x0
	s_mov_b32 s0, s7
	v_mov_b32_e32 v7, 0
	s_ashr_i32 s7, s6, 31
	s_ashr_i32 s1, s0, 31
	s_lshl_b64 s[10:11], s[6:7], 5
	s_waitcnt lgkmcnt(0)
	v_cmp_lt_i64_e64 s2, s[28:29], 1
	s_and_b32 vcc_lo, exec_lo, s2
	s_lshl_b64 s[2:3], s[0:1], 5
	s_cbranch_vccnz .LBB27_7
; %bb.1:
	s_load_dwordx4 s[24:27], s[4:5], 0x40
	v_lshlrev_b32_e32 v2, 4, v1
	s_load_dwordx8 s[12:19], s[4:5], 0x20
	v_and_b32_e32 v6, 7, v0
	v_mov_b32_e32 v3, s11
	s_lshl_b64 s[30:31], s[0:1], 6
	v_add_nc_u32_e32 v4, v2, v0
	v_add_nc_u32_e32 v10, 0x200, v2
	v_lshlrev_b32_e32 v8, 1, v6
	v_lshlrev_b32_e32 v9, 1, v0
	v_and_b32_e32 v5, 31, v4
	v_lshrrev_b32_e32 v11, 5, v4
	v_lshrrev_b32_e32 v12, 3, v4
	v_or_b32_e32 v2, s10, v5
	v_lshlrev_b32_e32 v17, 1, v5
	v_add_co_u32 v13, s0, v12, s2
	s_waitcnt lgkmcnt(0)
	v_mad_u64_u32 v[4:5], null, s24, v6, 0
	v_add_co_ci_u32_e64 v14, null, 0, s3, s0
	v_cmp_gt_i64_e64 s0, s[20:21], v[2:3]
	v_mad_u64_u32 v[15:16], null, s14, v11, 0
	s_mul_i32 s9, s27, s8
	v_mov_b32_e32 v2, v5
	s_mul_hi_u32 s27, s26, s8
	s_mul_i32 s26, s26, s8
	s_add_i32 s27, s27, s9
	s_mul_i32 s17, s17, s8
	v_mad_u64_u32 v[2:3], null, s25, v6, v[2:3]
	v_mov_b32_e32 v3, v16
	s_lshl_b64 s[26:27], s[26:27], 1
	s_mul_hi_u32 s33, s16, s8
	s_add_u32 s9, s30, s26
	s_mul_i32 s16, s16, s8
	s_addc_u32 s26, s31, s27
	v_mov_b32_e32 v5, v2
	v_mad_u64_u32 v[2:3], null, s15, v11, v[3:4]
	s_add_i32 s17, s33, s17
	v_lshlrev_b32_e32 v18, 1, v12
	v_lshlrev_b64 v[3:4], 1, v[4:5]
	s_lshl_b64 s[16:17], s[16:17], 1
	v_lshl_or_b32 v8, v12, 4, v8
	v_cmp_gt_i64_e64 s1, s[22:23], v[13:14]
	v_mov_b32_e32 v16, v2
	v_lshl_or_b32 v12, v11, 6, v17
	v_add_co_u32 v5, vcc_lo, s9, v3
	v_add_co_ci_u32_e64 v4, null, s26, v4, vcc_lo
	v_lshlrev_b64 v[2:3], 1, v[15:16]
	s_lshl_b64 s[26:27], s[6:7], 6
	s_lshl_b64 s[6:7], s[24:25], 4
	s_add_u32 s9, s26, s16
	s_addc_u32 s16, s27, s17
	v_add_nc_u32_e32 v13, 0x200, v8
	v_add_co_u32 v2, vcc_lo, s9, v2
	v_add_co_ci_u32_e64 v3, null, s16, v3, vcc_lo
	v_add_co_u32 v5, vcc_lo, v5, v18
	v_add_co_ci_u32_e64 v4, null, 0, v4, vcc_lo
	;; [unrolled: 2-line block ×5, first 2 shown]
	v_mov_b32_e32 v8, 0
	s_lshl_b64 s[12:13], s[14:15], 4
	s_mov_b64 s[14:15], 0
	s_branch .LBB27_3
.LBB27_2:                               ;   in Loop: Header=BB27_3 Depth=1
	s_or_b32 exec_lo, exec_lo, s9
	s_waitcnt vmcnt(0)
	ds_write_b16 v13, v14
	s_waitcnt lgkmcnt(0)
	s_barrier
	buffer_gl0_inv
	ds_read_u16 v22, v9
	ds_read_u16 v23, v9 offset:64
	ds_read_u16 v24, v9 offset:128
	;; [unrolled: 1-line block ×7, first 2 shown]
	s_add_u32 s14, s14, 8
	s_addc_u32 s15, s15, 0
	v_add_co_u32 v2, vcc_lo, v2, s6
	v_cmp_lt_i64_e64 s9, s[14:15], s[28:29]
	v_add_co_ci_u32_e64 v3, null, s7, v3, vcc_lo
	v_add_co_u32 v4, vcc_lo, v4, s12
	v_add_co_ci_u32_e64 v5, null, s13, v5, vcc_lo
	s_and_b32 vcc_lo, exec_lo, s9
	s_waitcnt lgkmcnt(7)
	ds_read_u16_d16_hi v22, v9 offset:32
	ds_read_b128 v[14:17], v10
	ds_read_b128 v[18:21], v10 offset:256
	s_waitcnt lgkmcnt(9)
	ds_read_u16_d16_hi v23, v9 offset:96
	s_waitcnt lgkmcnt(9)
	ds_read_u16_d16_hi v24, v9 offset:160
	;; [unrolled: 2-line block ×7, first 2 shown]
	s_waitcnt lgkmcnt(0)
	s_barrier
	buffer_gl0_inv
	v_pk_fma_f16 v7, v22, v14, v7 op_sel_hi:[1,0,1]
	v_pk_fma_f16 v8, v22, v18, v8 op_sel_hi:[1,0,1]
	v_pk_fma_f16 v7, v23, v14, v7 op_sel:[0,1,0]
	v_pk_fma_f16 v8, v23, v18, v8 op_sel:[0,1,0]
	v_pk_fma_f16 v7, v24, v15, v7 op_sel_hi:[1,0,1]
	v_pk_fma_f16 v8, v24, v19, v8 op_sel_hi:[1,0,1]
	v_pk_fma_f16 v7, v25, v15, v7 op_sel:[0,1,0]
	v_pk_fma_f16 v8, v25, v19, v8 op_sel:[0,1,0]
	;; [unrolled: 4-line block ×4, first 2 shown]
	s_cbranch_vccz .LBB27_8
.LBB27_3:                               ; =>This Inner Loop Header: Depth=1
	v_add_co_u32 v14, s9, v11, s14
	v_add_co_ci_u32_e64 v15, null, 0, s15, s9
	v_cmp_gt_i64_e32 vcc_lo, s[28:29], v[14:15]
	v_mov_b32_e32 v14, 0
	v_mov_b32_e32 v15, 0
	s_and_b32 s16, s0, vcc_lo
	s_and_saveexec_b32 s9, s16
	s_cbranch_execz .LBB27_5
; %bb.4:                                ;   in Loop: Header=BB27_3 Depth=1
	global_load_ushort v15, v[4:5], off
.LBB27_5:                               ;   in Loop: Header=BB27_3 Depth=1
	s_or_b32 exec_lo, exec_lo, s9
	v_add_co_u32 v16, s9, v6, s14
	v_add_co_ci_u32_e64 v17, null, 0, s15, s9
	s_waitcnt vmcnt(0)
	ds_write_b16 v12, v15
	v_cmp_gt_i64_e32 vcc_lo, s[28:29], v[16:17]
	s_and_b32 s16, vcc_lo, s1
	s_and_saveexec_b32 s9, s16
	s_cbranch_execz .LBB27_2
; %bb.6:                                ;   in Loop: Header=BB27_3 Depth=1
	global_load_ushort v14, v[2:3], off
	s_branch .LBB27_2
.LBB27_7:
	v_mov_b32_e32 v8, 0
.LBB27_8:
	s_clause 0x3
	s_load_dwordx4 s[24:27], s[4:5], 0x78
	s_load_dword s6, s[4:5], 0x50
	s_load_dwordx8 s[12:19], s[4:5], 0x58
	s_load_dword s4, s[4:5], 0x18
	v_add_co_u32 v1, s0, s2, v1
	v_add_co_ci_u32_e64 v2, null, s3, 0, s0
	s_waitcnt lgkmcnt(0)
	s_mul_i32 s1, s27, s8
	s_mul_hi_u32 s2, s26, s8
	s_mul_i32 s0, s26, s8
	s_add_i32 s1, s2, s1
	v_cmp_neq_f16_e64 s2, s6, 0
	s_lshl_b64 s[26:27], s[0:1], 1
	v_cmp_gt_i64_e64 s0, s[22:23], v[1:2]
	s_add_u32 s3, s18, s26
	s_addc_u32 s5, s19, s27
	s_and_b32 vcc_lo, exec_lo, s2
	s_cbranch_vccnz .LBB27_21
; %bb.9:
	s_and_saveexec_b32 s7, s0
	s_cbranch_execz .LBB27_19
; %bb.10:
	v_mul_lo_u32 v5, v2, s24
	v_mul_lo_u32 v6, v1, s25
	v_mad_u64_u32 v[3:4], null, v1, s24, 0
	v_add3_u32 v4, v4, v6, v5
	v_add_co_u32 v5, s1, s10, v0
	v_add_co_ci_u32_e64 v6, null, s11, 0, s1
	v_lshlrev_b64 v[9:10], 1, v[3:4]
	v_cmp_gt_i64_e32 vcc_lo, s[20:21], v[5:6]
	v_lshlrev_b64 v[3:4], 1, v[5:6]
	v_add_co_u32 v9, s1, s3, v9
	v_add_co_ci_u32_e64 v10, null, s5, v10, s1
	s_and_saveexec_b32 s2, vcc_lo
	s_cbranch_execz .LBB27_12
; %bb.11:
	v_add_co_u32 v11, s1, v9, v3
	v_add_co_ci_u32_e64 v12, null, v10, v4, s1
	v_mul_f16_e32 v13, s4, v7
	global_store_short v[11:12], v13, off
.LBB27_12:
	s_or_b32 exec_lo, exec_lo, s2
	v_add_co_u32 v5, s1, v5, 16
	v_add_co_ci_u32_e64 v6, null, 0, v6, s1
	v_cmp_gt_i64_e64 s1, s[20:21], v[5:6]
	s_and_saveexec_b32 s9, s1
	s_cbranch_execz .LBB27_14
; %bb.13:
	v_add_co_u32 v5, s2, v9, v3
	v_add_co_ci_u32_e64 v6, null, v10, v4, s2
	v_mul_f16_sdwa v11, s4, v7 dst_sel:DWORD dst_unused:UNUSED_PAD src0_sel:DWORD src1_sel:WORD_1
	global_store_short v[5:6], v11, off offset:32
.LBB27_14:
	s_or_b32 exec_lo, exec_lo, s9
	v_add_co_u32 v5, s2, v1, 16
	v_add_co_ci_u32_e64 v6, null, 0, v2, s2
	v_cmp_gt_i64_e64 s2, s[22:23], v[5:6]
	s_and_b32 exec_lo, exec_lo, s2
	s_cbranch_execz .LBB27_19
; %bb.15:
	s_lshl_b64 s[18:19], s[24:25], 5
	v_add_co_u32 v5, s2, v9, s18
	v_add_co_ci_u32_e64 v6, null, s19, v10, s2
	v_add_co_u32 v3, s2, v5, v3
	v_add_co_ci_u32_e64 v4, null, v6, v4, s2
	s_and_saveexec_b32 s2, vcc_lo
	s_cbranch_execz .LBB27_17
; %bb.16:
	v_mul_f16_e32 v5, s4, v8
	global_store_short v[3:4], v5, off
.LBB27_17:
	s_or_b32 exec_lo, exec_lo, s2
	s_and_b32 exec_lo, exec_lo, s1
	s_cbranch_execz .LBB27_19
; %bb.18:
	v_mul_f16_sdwa v5, s4, v8 dst_sel:DWORD dst_unused:UNUSED_PAD src0_sel:DWORD src1_sel:WORD_1
	global_store_short v[3:4], v5, off offset:32
.LBB27_19:
	s_or_b32 exec_lo, exec_lo, s7
	s_cbranch_execz .LBB27_22
.LBB27_20:
	s_endpgm
.LBB27_21:
.LBB27_22:
	s_and_saveexec_b32 s1, s0
	s_cbranch_execz .LBB27_20
; %bb.23:
	v_mul_lo_u32 v5, v2, s14
	v_mul_lo_u32 v6, v1, s15
	v_mad_u64_u32 v[3:4], null, v1, s14, 0
	v_mul_lo_u32 v11, v2, s24
	v_mul_lo_u32 v12, v1, s25
	v_mad_u64_u32 v[9:10], null, v1, s24, 0
	s_mul_i32 s0, s17, s8
	s_mul_hi_u32 s1, s16, s8
	v_add3_u32 v4, v4, v6, v5
	s_add_i32 s1, s1, s0
	s_mul_i32 s0, s16, s8
	v_add_co_u32 v5, s2, s10, v0
	v_add3_u32 v10, v10, v12, v11
	v_lshlrev_b64 v[3:4], 1, v[3:4]
	s_lshl_b64 s[0:1], s[0:1], 1
	v_add_co_ci_u32_e64 v6, null, s11, 0, s2
	v_lshlrev_b64 v[10:11], 1, v[9:10]
	s_add_u32 s0, s12, s0
	s_addc_u32 s1, s13, s1
	v_add_co_u32 v0, s0, s0, v3
	v_add_co_ci_u32_e64 v9, null, s1, v4, s0
	v_add_co_u32 v10, s0, s3, v10
	v_cmp_gt_i64_e32 vcc_lo, s[20:21], v[5:6]
	v_lshlrev_b64 v[3:4], 1, v[5:6]
	v_add_co_ci_u32_e64 v11, null, s5, v11, s0
	s_and_saveexec_b32 s1, vcc_lo
	s_cbranch_execz .LBB27_25
; %bb.24:
	v_add_co_u32 v12, s0, v0, v3
	v_add_co_ci_u32_e64 v13, null, v9, v4, s0
	global_load_ushort v12, v[12:13], off
	s_waitcnt vmcnt(0)
	v_mul_f16_e32 v14, s6, v12
	v_add_co_u32 v12, s0, v10, v3
	v_add_co_ci_u32_e64 v13, null, v11, v4, s0
	v_fmac_f16_e32 v14, s4, v7
	global_store_short v[12:13], v14, off
.LBB27_25:
	s_or_b32 exec_lo, exec_lo, s1
	v_add_co_u32 v5, s0, v5, 16
	v_add_co_ci_u32_e64 v6, null, 0, v6, s0
	v_cmp_gt_i64_e64 s0, s[20:21], v[5:6]
	s_and_saveexec_b32 s2, s0
	s_cbranch_execz .LBB27_27
; %bb.26:
	v_add_co_u32 v5, s1, v0, v3
	v_add_co_ci_u32_e64 v6, null, v9, v4, s1
	global_load_ushort v5, v[5:6], off offset:32
	v_lshrrev_b32_e32 v6, 16, v7
	s_waitcnt vmcnt(0)
	v_mul_f16_e32 v7, s6, v5
	v_add_co_u32 v5, s1, v10, v3
	v_fmac_f16_e32 v7, s4, v6
	v_add_co_ci_u32_e64 v6, null, v11, v4, s1
	global_store_short v[5:6], v7, off offset:32
.LBB27_27:
	s_or_b32 exec_lo, exec_lo, s2
	v_add_co_u32 v1, s1, v1, 16
	v_add_co_ci_u32_e64 v2, null, 0, v2, s1
	v_cmp_gt_i64_e64 s1, s[22:23], v[1:2]
	s_and_b32 exec_lo, exec_lo, s1
	s_cbranch_execz .LBB27_20
; %bb.28:
	s_lshl_b64 s[2:3], s[14:15], 5
	v_add_co_u32 v0, s1, v0, s2
	v_add_co_ci_u32_e64 v1, null, s3, v9, s1
	s_lshl_b64 s[2:3], s[24:25], 5
	v_add_co_u32 v2, s1, v10, s2
	v_add_co_ci_u32_e64 v7, null, s3, v11, s1
	v_add_co_u32 v5, s1, v0, v3
	v_add_co_ci_u32_e64 v6, null, v1, v4, s1
	;; [unrolled: 2-line block ×3, first 2 shown]
	s_and_saveexec_b32 s1, vcc_lo
	s_cbranch_execz .LBB27_30
; %bb.29:
	global_load_ushort v2, v[5:6], off
	s_waitcnt vmcnt(0)
	v_mul_f16_e32 v2, s6, v2
	v_fmac_f16_e32 v2, s4, v8
	global_store_short v[0:1], v2, off
.LBB27_30:
	s_or_b32 exec_lo, exec_lo, s1
	s_and_b32 exec_lo, exec_lo, s0
	s_cbranch_execz .LBB27_20
; %bb.31:
	global_load_ushort v2, v[5:6], off offset:32
	v_lshrrev_b32_e32 v3, 16, v8
	s_waitcnt vmcnt(0)
	v_mul_f16_e32 v2, s6, v2
	v_fmac_f16_e32 v2, s4, v3
	global_store_short v[0:1], v2, off offset:32
	s_endpgm
	.section	.rodata,"a",@progbits
	.p2align	6, 0x0
	.amdhsa_kernel _ZN12_GLOBAL__N_135rocblas_gemm_batched_general_kernelIDF16_Li16ELi16ELi32ELi32ELi8ELi32ELi8ELi8ELi32ELc78ELc67EKDF16_S1_DF16_EEvlllT_PT11_llS4_llS2_PT12_llPT13_lli
		.amdhsa_group_segment_fixed_size 1024
		.amdhsa_private_segment_fixed_size 0
		.amdhsa_kernarg_size 140
		.amdhsa_user_sgpr_count 6
		.amdhsa_user_sgpr_private_segment_buffer 1
		.amdhsa_user_sgpr_dispatch_ptr 0
		.amdhsa_user_sgpr_queue_ptr 0
		.amdhsa_user_sgpr_kernarg_segment_ptr 1
		.amdhsa_user_sgpr_dispatch_id 0
		.amdhsa_user_sgpr_flat_scratch_init 0
		.amdhsa_user_sgpr_private_segment_size 0
		.amdhsa_wavefront_size32 1
		.amdhsa_uses_dynamic_stack 0
		.amdhsa_system_sgpr_private_segment_wavefront_offset 0
		.amdhsa_system_sgpr_workgroup_id_x 1
		.amdhsa_system_sgpr_workgroup_id_y 1
		.amdhsa_system_sgpr_workgroup_id_z 1
		.amdhsa_system_sgpr_workgroup_info 0
		.amdhsa_system_vgpr_workitem_id 1
		.amdhsa_next_free_vgpr 30
		.amdhsa_next_free_sgpr 34
		.amdhsa_reserve_vcc 1
		.amdhsa_reserve_flat_scratch 0
		.amdhsa_float_round_mode_32 0
		.amdhsa_float_round_mode_16_64 0
		.amdhsa_float_denorm_mode_32 3
		.amdhsa_float_denorm_mode_16_64 3
		.amdhsa_dx10_clamp 1
		.amdhsa_ieee_mode 1
		.amdhsa_fp16_overflow 0
		.amdhsa_workgroup_processor_mode 1
		.amdhsa_memory_ordered 1
		.amdhsa_forward_progress 1
		.amdhsa_shared_vgpr_count 0
		.amdhsa_exception_fp_ieee_invalid_op 0
		.amdhsa_exception_fp_denorm_src 0
		.amdhsa_exception_fp_ieee_div_zero 0
		.amdhsa_exception_fp_ieee_overflow 0
		.amdhsa_exception_fp_ieee_underflow 0
		.amdhsa_exception_fp_ieee_inexact 0
		.amdhsa_exception_int_div_zero 0
	.end_amdhsa_kernel
	.section	.text._ZN12_GLOBAL__N_135rocblas_gemm_batched_general_kernelIDF16_Li16ELi16ELi32ELi32ELi8ELi32ELi8ELi8ELi32ELc78ELc67EKDF16_S1_DF16_EEvlllT_PT11_llS4_llS2_PT12_llPT13_lli,"axG",@progbits,_ZN12_GLOBAL__N_135rocblas_gemm_batched_general_kernelIDF16_Li16ELi16ELi32ELi32ELi8ELi32ELi8ELi8ELi32ELc78ELc67EKDF16_S1_DF16_EEvlllT_PT11_llS4_llS2_PT12_llPT13_lli,comdat
.Lfunc_end27:
	.size	_ZN12_GLOBAL__N_135rocblas_gemm_batched_general_kernelIDF16_Li16ELi16ELi32ELi32ELi8ELi32ELi8ELi8ELi32ELc78ELc67EKDF16_S1_DF16_EEvlllT_PT11_llS4_llS2_PT12_llPT13_lli, .Lfunc_end27-_ZN12_GLOBAL__N_135rocblas_gemm_batched_general_kernelIDF16_Li16ELi16ELi32ELi32ELi8ELi32ELi8ELi8ELi32ELc78ELc67EKDF16_S1_DF16_EEvlllT_PT11_llS4_llS2_PT12_llPT13_lli
                                        ; -- End function
	.set _ZN12_GLOBAL__N_135rocblas_gemm_batched_general_kernelIDF16_Li16ELi16ELi32ELi32ELi8ELi32ELi8ELi8ELi32ELc78ELc67EKDF16_S1_DF16_EEvlllT_PT11_llS4_llS2_PT12_llPT13_lli.num_vgpr, 30
	.set _ZN12_GLOBAL__N_135rocblas_gemm_batched_general_kernelIDF16_Li16ELi16ELi32ELi32ELi8ELi32ELi8ELi8ELi32ELc78ELc67EKDF16_S1_DF16_EEvlllT_PT11_llS4_llS2_PT12_llPT13_lli.num_agpr, 0
	.set _ZN12_GLOBAL__N_135rocblas_gemm_batched_general_kernelIDF16_Li16ELi16ELi32ELi32ELi8ELi32ELi8ELi8ELi32ELc78ELc67EKDF16_S1_DF16_EEvlllT_PT11_llS4_llS2_PT12_llPT13_lli.numbered_sgpr, 34
	.set _ZN12_GLOBAL__N_135rocblas_gemm_batched_general_kernelIDF16_Li16ELi16ELi32ELi32ELi8ELi32ELi8ELi8ELi32ELc78ELc67EKDF16_S1_DF16_EEvlllT_PT11_llS4_llS2_PT12_llPT13_lli.num_named_barrier, 0
	.set _ZN12_GLOBAL__N_135rocblas_gemm_batched_general_kernelIDF16_Li16ELi16ELi32ELi32ELi8ELi32ELi8ELi8ELi32ELc78ELc67EKDF16_S1_DF16_EEvlllT_PT11_llS4_llS2_PT12_llPT13_lli.private_seg_size, 0
	.set _ZN12_GLOBAL__N_135rocblas_gemm_batched_general_kernelIDF16_Li16ELi16ELi32ELi32ELi8ELi32ELi8ELi8ELi32ELc78ELc67EKDF16_S1_DF16_EEvlllT_PT11_llS4_llS2_PT12_llPT13_lli.uses_vcc, 1
	.set _ZN12_GLOBAL__N_135rocblas_gemm_batched_general_kernelIDF16_Li16ELi16ELi32ELi32ELi8ELi32ELi8ELi8ELi32ELc78ELc67EKDF16_S1_DF16_EEvlllT_PT11_llS4_llS2_PT12_llPT13_lli.uses_flat_scratch, 0
	.set _ZN12_GLOBAL__N_135rocblas_gemm_batched_general_kernelIDF16_Li16ELi16ELi32ELi32ELi8ELi32ELi8ELi8ELi32ELc78ELc67EKDF16_S1_DF16_EEvlllT_PT11_llS4_llS2_PT12_llPT13_lli.has_dyn_sized_stack, 0
	.set _ZN12_GLOBAL__N_135rocblas_gemm_batched_general_kernelIDF16_Li16ELi16ELi32ELi32ELi8ELi32ELi8ELi8ELi32ELc78ELc67EKDF16_S1_DF16_EEvlllT_PT11_llS4_llS2_PT12_llPT13_lli.has_recursion, 0
	.set _ZN12_GLOBAL__N_135rocblas_gemm_batched_general_kernelIDF16_Li16ELi16ELi32ELi32ELi8ELi32ELi8ELi8ELi32ELc78ELc67EKDF16_S1_DF16_EEvlllT_PT11_llS4_llS2_PT12_llPT13_lli.has_indirect_call, 0
	.section	.AMDGPU.csdata,"",@progbits
; Kernel info:
; codeLenInByte = 1932
; TotalNumSgprs: 36
; NumVgprs: 30
; ScratchSize: 0
; MemoryBound: 0
; FloatMode: 240
; IeeeMode: 1
; LDSByteSize: 1024 bytes/workgroup (compile time only)
; SGPRBlocks: 0
; VGPRBlocks: 3
; NumSGPRsForWavesPerEU: 36
; NumVGPRsForWavesPerEU: 30
; Occupancy: 16
; WaveLimiterHint : 0
; COMPUTE_PGM_RSRC2:SCRATCH_EN: 0
; COMPUTE_PGM_RSRC2:USER_SGPR: 6
; COMPUTE_PGM_RSRC2:TRAP_HANDLER: 0
; COMPUTE_PGM_RSRC2:TGID_X_EN: 1
; COMPUTE_PGM_RSRC2:TGID_Y_EN: 1
; COMPUTE_PGM_RSRC2:TGID_Z_EN: 1
; COMPUTE_PGM_RSRC2:TIDIG_COMP_CNT: 1
	.section	.text._ZN12_GLOBAL__N_135rocblas_gemm_batched_general_kernelIDF16_Li16ELi16ELi32ELi32ELi8ELi32ELi8ELi8ELi32ELc84ELc67EKDF16_S1_DF16_EEvlllT_PT11_llS4_llS2_PT12_llPT13_lli,"axG",@progbits,_ZN12_GLOBAL__N_135rocblas_gemm_batched_general_kernelIDF16_Li16ELi16ELi32ELi32ELi8ELi32ELi8ELi8ELi32ELc84ELc67EKDF16_S1_DF16_EEvlllT_PT11_llS4_llS2_PT12_llPT13_lli,comdat
	.globl	_ZN12_GLOBAL__N_135rocblas_gemm_batched_general_kernelIDF16_Li16ELi16ELi32ELi32ELi8ELi32ELi8ELi8ELi32ELc84ELc67EKDF16_S1_DF16_EEvlllT_PT11_llS4_llS2_PT12_llPT13_lli ; -- Begin function _ZN12_GLOBAL__N_135rocblas_gemm_batched_general_kernelIDF16_Li16ELi16ELi32ELi32ELi8ELi32ELi8ELi8ELi32ELc84ELc67EKDF16_S1_DF16_EEvlllT_PT11_llS4_llS2_PT12_llPT13_lli
	.p2align	8
	.type	_ZN12_GLOBAL__N_135rocblas_gemm_batched_general_kernelIDF16_Li16ELi16ELi32ELi32ELi8ELi32ELi8ELi8ELi32ELc84ELc67EKDF16_S1_DF16_EEvlllT_PT11_llS4_llS2_PT12_llPT13_lli,@function
_ZN12_GLOBAL__N_135rocblas_gemm_batched_general_kernelIDF16_Li16ELi16ELi32ELi32ELi8ELi32ELi8ELi8ELi32ELc84ELc67EKDF16_S1_DF16_EEvlllT_PT11_llS4_llS2_PT12_llPT13_lli: ; @_ZN12_GLOBAL__N_135rocblas_gemm_batched_general_kernelIDF16_Li16ELi16ELi32ELi32ELi8ELi32ELi8ELi8ELi32ELc84ELc67EKDF16_S1_DF16_EEvlllT_PT11_llS4_llS2_PT12_llPT13_lli
; %bb.0:
	s_clause 0x1
	s_load_dwordx2 s[10:11], s[4:5], 0x10
	s_load_dwordx4 s[20:23], s[4:5], 0x0
	s_mov_b32 s0, s7
	v_mov_b32_e32 v7, 0
	s_ashr_i32 s7, s6, 31
	s_ashr_i32 s1, s0, 31
	s_lshl_b64 s[6:7], s[6:7], 5
	s_waitcnt lgkmcnt(0)
	v_cmp_lt_i64_e64 s2, s[10:11], 1
	s_and_b32 vcc_lo, exec_lo, s2
	s_lshl_b64 s[2:3], s[0:1], 5
	s_cbranch_vccnz .LBB28_7
; %bb.1:
	s_load_dwordx4 s[24:27], s[4:5], 0x40
	v_lshlrev_b32_e32 v2, 4, v1
	v_and_b32_e32 v6, 7, v0
	s_load_dwordx8 s[12:19], s[4:5], 0x20
	v_mov_b32_e32 v3, s7
	s_lshl_b64 s[28:29], s[0:1], 6
	v_add_nc_u32_e32 v4, v2, v0
	v_add_nc_u32_e32 v10, 0x200, v2
	v_lshlrev_b32_e32 v8, 1, v6
	v_lshlrev_b32_e32 v9, 1, v0
	v_and_b32_e32 v12, 31, v4
	v_lshrrev_b32_e32 v15, 3, v4
	v_lshrrev_b32_e32 v11, 5, v4
	v_or_b32_e32 v2, s6, v12
	v_add_co_u32 v13, s0, v15, s2
	v_add_co_ci_u32_e64 v14, null, 0, s3, s0
	s_waitcnt lgkmcnt(0)
	v_mad_u64_u32 v[4:5], null, s24, v6, 0
	v_add_co_u32 v17, s0, s6, v12
	v_add_co_ci_u32_e64 v18, null, s7, 0, s0
	v_cmp_gt_i64_e64 s0, s[20:21], v[2:3]
	v_lshl_or_b32 v8, v15, 4, v8
	v_mad_u64_u32 v[2:3], null, s25, v6, v[5:6]
	v_cmp_gt_i64_e64 s1, s[22:23], v[13:14]
	v_mul_lo_u32 v14, s14, v18
	v_add_nc_u32_e32 v13, 0x200, v8
	v_mul_lo_u32 v8, s15, v17
	s_mul_i32 s9, s27, s8
	s_mul_hi_u32 s27, s26, s8
	v_mov_b32_e32 v5, v2
	v_mad_u64_u32 v[2:3], null, s14, v17, 0
	s_mul_i32 s26, s26, s8
	s_add_i32 s27, s27, s9
	v_lshlrev_b64 v[4:5], 1, v[4:5]
	s_lshl_b64 s[14:15], s[26:27], 1
	s_mul_i32 s9, s17, s8
	s_add_u32 s14, s28, s14
	v_add3_u32 v3, v3, v14, v8
	s_mul_hi_u32 s17, s16, s8
	s_addc_u32 s15, s29, s15
	v_add_co_u32 v4, vcc_lo, s14, v4
	v_lshlrev_b64 v[2:3], 1, v[2:3]
	v_add_co_ci_u32_e64 v5, null, s15, v5, vcc_lo
	s_add_i32 s15, s17, s9
	s_mul_i32 s14, s16, s8
	v_lshlrev_b32_e32 v8, 1, v15
	s_lshl_b64 s[14:15], s[14:15], 1
	v_lshlrev_b32_e32 v14, 1, v11
	v_add_co_u32 v2, vcc_lo, v2, s14
	v_add_co_ci_u32_e64 v3, null, s15, v3, vcc_lo
	v_add_co_u32 v4, vcc_lo, v4, v8
	v_add_co_ci_u32_e64 v5, null, 0, v5, vcc_lo
	v_add_co_u32 v8, vcc_lo, v2, v14
	v_lshlrev_b32_e32 v16, 1, v12
	v_add_co_ci_u32_e64 v14, null, 0, v3, vcc_lo
	v_add_co_u32 v2, vcc_lo, s18, v4
	v_add_co_ci_u32_e64 v3, null, s19, v5, vcc_lo
	v_add_co_u32 v4, vcc_lo, s12, v8
	v_lshl_or_b32 v12, v11, 6, v16
	v_add_co_ci_u32_e64 v5, null, s13, v14, vcc_lo
	v_mov_b32_e32 v8, 0
	s_lshl_b64 s[12:13], s[24:25], 4
	s_mov_b64 s[14:15], 0
	s_branch .LBB28_3
.LBB28_2:                               ;   in Loop: Header=BB28_3 Depth=1
	s_or_b32 exec_lo, exec_lo, s9
	s_waitcnt vmcnt(0)
	ds_write_b16 v13, v14
	s_waitcnt lgkmcnt(0)
	s_barrier
	buffer_gl0_inv
	ds_read_u16 v22, v9
	ds_read_u16 v23, v9 offset:64
	ds_read_u16 v24, v9 offset:128
	;; [unrolled: 1-line block ×7, first 2 shown]
	s_add_u32 s14, s14, 8
	s_addc_u32 s15, s15, 0
	v_add_co_u32 v2, vcc_lo, v2, s12
	v_cmp_lt_i64_e64 s9, s[14:15], s[10:11]
	v_add_co_ci_u32_e64 v3, null, s13, v3, vcc_lo
	v_add_co_u32 v4, vcc_lo, v4, 16
	v_add_co_ci_u32_e64 v5, null, 0, v5, vcc_lo
	s_and_b32 vcc_lo, exec_lo, s9
	s_waitcnt lgkmcnt(7)
	ds_read_u16_d16_hi v22, v9 offset:32
	ds_read_b128 v[14:17], v10
	ds_read_b128 v[18:21], v10 offset:256
	s_waitcnt lgkmcnt(9)
	ds_read_u16_d16_hi v23, v9 offset:96
	s_waitcnt lgkmcnt(9)
	ds_read_u16_d16_hi v24, v9 offset:160
	;; [unrolled: 2-line block ×7, first 2 shown]
	s_waitcnt lgkmcnt(0)
	s_barrier
	buffer_gl0_inv
	v_pk_fma_f16 v7, v22, v14, v7 op_sel_hi:[1,0,1]
	v_pk_fma_f16 v8, v22, v18, v8 op_sel_hi:[1,0,1]
	v_pk_fma_f16 v7, v23, v14, v7 op_sel:[0,1,0]
	v_pk_fma_f16 v8, v23, v18, v8 op_sel:[0,1,0]
	v_pk_fma_f16 v7, v24, v15, v7 op_sel_hi:[1,0,1]
	v_pk_fma_f16 v8, v24, v19, v8 op_sel_hi:[1,0,1]
	v_pk_fma_f16 v7, v25, v15, v7 op_sel:[0,1,0]
	v_pk_fma_f16 v8, v25, v19, v8 op_sel:[0,1,0]
	;; [unrolled: 4-line block ×4, first 2 shown]
	s_cbranch_vccz .LBB28_8
.LBB28_3:                               ; =>This Inner Loop Header: Depth=1
	v_add_co_u32 v14, s9, v11, s14
	v_add_co_ci_u32_e64 v15, null, 0, s15, s9
	v_cmp_gt_i64_e32 vcc_lo, s[10:11], v[14:15]
	v_mov_b32_e32 v14, 0
	v_mov_b32_e32 v15, 0
	s_and_b32 s16, s0, vcc_lo
	s_and_saveexec_b32 s9, s16
	s_cbranch_execz .LBB28_5
; %bb.4:                                ;   in Loop: Header=BB28_3 Depth=1
	global_load_ushort v15, v[4:5], off
.LBB28_5:                               ;   in Loop: Header=BB28_3 Depth=1
	s_or_b32 exec_lo, exec_lo, s9
	v_add_co_u32 v16, s9, v6, s14
	v_add_co_ci_u32_e64 v17, null, 0, s15, s9
	s_waitcnt vmcnt(0)
	ds_write_b16 v12, v15
	v_cmp_gt_i64_e32 vcc_lo, s[10:11], v[16:17]
	s_and_b32 s16, vcc_lo, s1
	s_and_saveexec_b32 s9, s16
	s_cbranch_execz .LBB28_2
; %bb.6:                                ;   in Loop: Header=BB28_3 Depth=1
	global_load_ushort v14, v[2:3], off
	s_branch .LBB28_2
.LBB28_7:
	v_mov_b32_e32 v8, 0
.LBB28_8:
	s_clause 0x3
	s_load_dwordx4 s[24:27], s[4:5], 0x78
	s_load_dword s9, s[4:5], 0x50
	s_load_dwordx8 s[12:19], s[4:5], 0x58
	s_load_dword s4, s[4:5], 0x18
	v_add_co_u32 v1, s0, s2, v1
	v_add_co_ci_u32_e64 v2, null, s3, 0, s0
	s_waitcnt lgkmcnt(0)
	s_mul_i32 s1, s27, s8
	s_mul_hi_u32 s2, s26, s8
	s_mul_i32 s0, s26, s8
	s_add_i32 s1, s2, s1
	v_cmp_neq_f16_e64 s2, s9, 0
	s_lshl_b64 s[10:11], s[0:1], 1
	v_cmp_gt_i64_e64 s0, s[22:23], v[1:2]
	s_add_u32 s3, s18, s10
	s_addc_u32 s5, s19, s11
	s_and_b32 vcc_lo, exec_lo, s2
	s_cbranch_vccnz .LBB28_21
; %bb.9:
	s_and_saveexec_b32 s10, s0
	s_cbranch_execz .LBB28_19
; %bb.10:
	v_mul_lo_u32 v5, v2, s24
	v_mul_lo_u32 v6, v1, s25
	v_mad_u64_u32 v[3:4], null, v1, s24, 0
	v_add3_u32 v4, v4, v6, v5
	v_add_co_u32 v5, s1, s6, v0
	v_add_co_ci_u32_e64 v6, null, s7, 0, s1
	v_lshlrev_b64 v[9:10], 1, v[3:4]
	v_cmp_gt_i64_e32 vcc_lo, s[20:21], v[5:6]
	v_lshlrev_b64 v[3:4], 1, v[5:6]
	v_add_co_u32 v9, s1, s3, v9
	v_add_co_ci_u32_e64 v10, null, s5, v10, s1
	s_and_saveexec_b32 s2, vcc_lo
	s_cbranch_execz .LBB28_12
; %bb.11:
	v_add_co_u32 v11, s1, v9, v3
	v_add_co_ci_u32_e64 v12, null, v10, v4, s1
	v_mul_f16_e32 v13, s4, v7
	global_store_short v[11:12], v13, off
.LBB28_12:
	s_or_b32 exec_lo, exec_lo, s2
	v_add_co_u32 v5, s1, v5, 16
	v_add_co_ci_u32_e64 v6, null, 0, v6, s1
	v_cmp_gt_i64_e64 s1, s[20:21], v[5:6]
	s_and_saveexec_b32 s11, s1
	s_cbranch_execz .LBB28_14
; %bb.13:
	v_add_co_u32 v5, s2, v9, v3
	v_add_co_ci_u32_e64 v6, null, v10, v4, s2
	v_mul_f16_sdwa v11, s4, v7 dst_sel:DWORD dst_unused:UNUSED_PAD src0_sel:DWORD src1_sel:WORD_1
	global_store_short v[5:6], v11, off offset:32
.LBB28_14:
	s_or_b32 exec_lo, exec_lo, s11
	v_add_co_u32 v5, s2, v1, 16
	v_add_co_ci_u32_e64 v6, null, 0, v2, s2
	v_cmp_gt_i64_e64 s2, s[22:23], v[5:6]
	s_and_b32 exec_lo, exec_lo, s2
	s_cbranch_execz .LBB28_19
; %bb.15:
	s_lshl_b64 s[18:19], s[24:25], 5
	v_add_co_u32 v5, s2, v9, s18
	v_add_co_ci_u32_e64 v6, null, s19, v10, s2
	v_add_co_u32 v3, s2, v5, v3
	v_add_co_ci_u32_e64 v4, null, v6, v4, s2
	s_and_saveexec_b32 s2, vcc_lo
	s_cbranch_execz .LBB28_17
; %bb.16:
	v_mul_f16_e32 v5, s4, v8
	global_store_short v[3:4], v5, off
.LBB28_17:
	s_or_b32 exec_lo, exec_lo, s2
	s_and_b32 exec_lo, exec_lo, s1
	s_cbranch_execz .LBB28_19
; %bb.18:
	v_mul_f16_sdwa v5, s4, v8 dst_sel:DWORD dst_unused:UNUSED_PAD src0_sel:DWORD src1_sel:WORD_1
	global_store_short v[3:4], v5, off offset:32
.LBB28_19:
	s_or_b32 exec_lo, exec_lo, s10
	s_cbranch_execz .LBB28_22
.LBB28_20:
	s_endpgm
.LBB28_21:
.LBB28_22:
	s_and_saveexec_b32 s1, s0
	s_cbranch_execz .LBB28_20
; %bb.23:
	v_mul_lo_u32 v5, v2, s14
	v_mul_lo_u32 v6, v1, s15
	v_mad_u64_u32 v[3:4], null, v1, s14, 0
	v_mul_lo_u32 v11, v2, s24
	v_mul_lo_u32 v12, v1, s25
	v_mad_u64_u32 v[9:10], null, v1, s24, 0
	s_mul_i32 s0, s17, s8
	s_mul_hi_u32 s1, s16, s8
	v_add3_u32 v4, v4, v6, v5
	s_add_i32 s1, s1, s0
	s_mul_i32 s0, s16, s8
	v_add_co_u32 v5, s2, s6, v0
	v_add3_u32 v10, v10, v12, v11
	v_lshlrev_b64 v[3:4], 1, v[3:4]
	s_lshl_b64 s[0:1], s[0:1], 1
	v_add_co_ci_u32_e64 v6, null, s7, 0, s2
	v_lshlrev_b64 v[10:11], 1, v[9:10]
	s_add_u32 s0, s12, s0
	s_addc_u32 s1, s13, s1
	v_add_co_u32 v0, s0, s0, v3
	v_add_co_ci_u32_e64 v9, null, s1, v4, s0
	v_add_co_u32 v10, s0, s3, v10
	v_cmp_gt_i64_e32 vcc_lo, s[20:21], v[5:6]
	v_lshlrev_b64 v[3:4], 1, v[5:6]
	v_add_co_ci_u32_e64 v11, null, s5, v11, s0
	s_and_saveexec_b32 s1, vcc_lo
	s_cbranch_execz .LBB28_25
; %bb.24:
	v_add_co_u32 v12, s0, v0, v3
	v_add_co_ci_u32_e64 v13, null, v9, v4, s0
	global_load_ushort v12, v[12:13], off
	s_waitcnt vmcnt(0)
	v_mul_f16_e32 v14, s9, v12
	v_add_co_u32 v12, s0, v10, v3
	v_add_co_ci_u32_e64 v13, null, v11, v4, s0
	v_fmac_f16_e32 v14, s4, v7
	global_store_short v[12:13], v14, off
.LBB28_25:
	s_or_b32 exec_lo, exec_lo, s1
	v_add_co_u32 v5, s0, v5, 16
	v_add_co_ci_u32_e64 v6, null, 0, v6, s0
	v_cmp_gt_i64_e64 s0, s[20:21], v[5:6]
	s_and_saveexec_b32 s2, s0
	s_cbranch_execz .LBB28_27
; %bb.26:
	v_add_co_u32 v5, s1, v0, v3
	v_add_co_ci_u32_e64 v6, null, v9, v4, s1
	global_load_ushort v5, v[5:6], off offset:32
	v_lshrrev_b32_e32 v6, 16, v7
	s_waitcnt vmcnt(0)
	v_mul_f16_e32 v7, s9, v5
	v_add_co_u32 v5, s1, v10, v3
	v_fmac_f16_e32 v7, s4, v6
	v_add_co_ci_u32_e64 v6, null, v11, v4, s1
	global_store_short v[5:6], v7, off offset:32
.LBB28_27:
	s_or_b32 exec_lo, exec_lo, s2
	v_add_co_u32 v1, s1, v1, 16
	v_add_co_ci_u32_e64 v2, null, 0, v2, s1
	v_cmp_gt_i64_e64 s1, s[22:23], v[1:2]
	s_and_b32 exec_lo, exec_lo, s1
	s_cbranch_execz .LBB28_20
; %bb.28:
	s_lshl_b64 s[2:3], s[14:15], 5
	v_add_co_u32 v0, s1, v0, s2
	v_add_co_ci_u32_e64 v1, null, s3, v9, s1
	s_lshl_b64 s[2:3], s[24:25], 5
	v_add_co_u32 v2, s1, v10, s2
	v_add_co_ci_u32_e64 v7, null, s3, v11, s1
	v_add_co_u32 v5, s1, v0, v3
	v_add_co_ci_u32_e64 v6, null, v1, v4, s1
	v_add_co_u32 v0, s1, v2, v3
	v_add_co_ci_u32_e64 v1, null, v7, v4, s1
	s_and_saveexec_b32 s1, vcc_lo
	s_cbranch_execz .LBB28_30
; %bb.29:
	global_load_ushort v2, v[5:6], off
	s_waitcnt vmcnt(0)
	v_mul_f16_e32 v2, s9, v2
	v_fmac_f16_e32 v2, s4, v8
	global_store_short v[0:1], v2, off
.LBB28_30:
	s_or_b32 exec_lo, exec_lo, s1
	s_and_b32 exec_lo, exec_lo, s0
	s_cbranch_execz .LBB28_20
; %bb.31:
	global_load_ushort v2, v[5:6], off offset:32
	v_lshrrev_b32_e32 v3, 16, v8
	s_waitcnt vmcnt(0)
	v_mul_f16_e32 v2, s9, v2
	v_fmac_f16_e32 v2, s4, v3
	global_store_short v[0:1], v2, off offset:32
	s_endpgm
	.section	.rodata,"a",@progbits
	.p2align	6, 0x0
	.amdhsa_kernel _ZN12_GLOBAL__N_135rocblas_gemm_batched_general_kernelIDF16_Li16ELi16ELi32ELi32ELi8ELi32ELi8ELi8ELi32ELc84ELc67EKDF16_S1_DF16_EEvlllT_PT11_llS4_llS2_PT12_llPT13_lli
		.amdhsa_group_segment_fixed_size 1024
		.amdhsa_private_segment_fixed_size 0
		.amdhsa_kernarg_size 140
		.amdhsa_user_sgpr_count 6
		.amdhsa_user_sgpr_private_segment_buffer 1
		.amdhsa_user_sgpr_dispatch_ptr 0
		.amdhsa_user_sgpr_queue_ptr 0
		.amdhsa_user_sgpr_kernarg_segment_ptr 1
		.amdhsa_user_sgpr_dispatch_id 0
		.amdhsa_user_sgpr_flat_scratch_init 0
		.amdhsa_user_sgpr_private_segment_size 0
		.amdhsa_wavefront_size32 1
		.amdhsa_uses_dynamic_stack 0
		.amdhsa_system_sgpr_private_segment_wavefront_offset 0
		.amdhsa_system_sgpr_workgroup_id_x 1
		.amdhsa_system_sgpr_workgroup_id_y 1
		.amdhsa_system_sgpr_workgroup_id_z 1
		.amdhsa_system_sgpr_workgroup_info 0
		.amdhsa_system_vgpr_workitem_id 1
		.amdhsa_next_free_vgpr 30
		.amdhsa_next_free_sgpr 30
		.amdhsa_reserve_vcc 1
		.amdhsa_reserve_flat_scratch 0
		.amdhsa_float_round_mode_32 0
		.amdhsa_float_round_mode_16_64 0
		.amdhsa_float_denorm_mode_32 3
		.amdhsa_float_denorm_mode_16_64 3
		.amdhsa_dx10_clamp 1
		.amdhsa_ieee_mode 1
		.amdhsa_fp16_overflow 0
		.amdhsa_workgroup_processor_mode 1
		.amdhsa_memory_ordered 1
		.amdhsa_forward_progress 1
		.amdhsa_shared_vgpr_count 0
		.amdhsa_exception_fp_ieee_invalid_op 0
		.amdhsa_exception_fp_denorm_src 0
		.amdhsa_exception_fp_ieee_div_zero 0
		.amdhsa_exception_fp_ieee_overflow 0
		.amdhsa_exception_fp_ieee_underflow 0
		.amdhsa_exception_fp_ieee_inexact 0
		.amdhsa_exception_int_div_zero 0
	.end_amdhsa_kernel
	.section	.text._ZN12_GLOBAL__N_135rocblas_gemm_batched_general_kernelIDF16_Li16ELi16ELi32ELi32ELi8ELi32ELi8ELi8ELi32ELc84ELc67EKDF16_S1_DF16_EEvlllT_PT11_llS4_llS2_PT12_llPT13_lli,"axG",@progbits,_ZN12_GLOBAL__N_135rocblas_gemm_batched_general_kernelIDF16_Li16ELi16ELi32ELi32ELi8ELi32ELi8ELi8ELi32ELc84ELc67EKDF16_S1_DF16_EEvlllT_PT11_llS4_llS2_PT12_llPT13_lli,comdat
.Lfunc_end28:
	.size	_ZN12_GLOBAL__N_135rocblas_gemm_batched_general_kernelIDF16_Li16ELi16ELi32ELi32ELi8ELi32ELi8ELi8ELi32ELc84ELc67EKDF16_S1_DF16_EEvlllT_PT11_llS4_llS2_PT12_llPT13_lli, .Lfunc_end28-_ZN12_GLOBAL__N_135rocblas_gemm_batched_general_kernelIDF16_Li16ELi16ELi32ELi32ELi8ELi32ELi8ELi8ELi32ELc84ELc67EKDF16_S1_DF16_EEvlllT_PT11_llS4_llS2_PT12_llPT13_lli
                                        ; -- End function
	.set _ZN12_GLOBAL__N_135rocblas_gemm_batched_general_kernelIDF16_Li16ELi16ELi32ELi32ELi8ELi32ELi8ELi8ELi32ELc84ELc67EKDF16_S1_DF16_EEvlllT_PT11_llS4_llS2_PT12_llPT13_lli.num_vgpr, 30
	.set _ZN12_GLOBAL__N_135rocblas_gemm_batched_general_kernelIDF16_Li16ELi16ELi32ELi32ELi8ELi32ELi8ELi8ELi32ELc84ELc67EKDF16_S1_DF16_EEvlllT_PT11_llS4_llS2_PT12_llPT13_lli.num_agpr, 0
	.set _ZN12_GLOBAL__N_135rocblas_gemm_batched_general_kernelIDF16_Li16ELi16ELi32ELi32ELi8ELi32ELi8ELi8ELi32ELc84ELc67EKDF16_S1_DF16_EEvlllT_PT11_llS4_llS2_PT12_llPT13_lli.numbered_sgpr, 30
	.set _ZN12_GLOBAL__N_135rocblas_gemm_batched_general_kernelIDF16_Li16ELi16ELi32ELi32ELi8ELi32ELi8ELi8ELi32ELc84ELc67EKDF16_S1_DF16_EEvlllT_PT11_llS4_llS2_PT12_llPT13_lli.num_named_barrier, 0
	.set _ZN12_GLOBAL__N_135rocblas_gemm_batched_general_kernelIDF16_Li16ELi16ELi32ELi32ELi8ELi32ELi8ELi8ELi32ELc84ELc67EKDF16_S1_DF16_EEvlllT_PT11_llS4_llS2_PT12_llPT13_lli.private_seg_size, 0
	.set _ZN12_GLOBAL__N_135rocblas_gemm_batched_general_kernelIDF16_Li16ELi16ELi32ELi32ELi8ELi32ELi8ELi8ELi32ELc84ELc67EKDF16_S1_DF16_EEvlllT_PT11_llS4_llS2_PT12_llPT13_lli.uses_vcc, 1
	.set _ZN12_GLOBAL__N_135rocblas_gemm_batched_general_kernelIDF16_Li16ELi16ELi32ELi32ELi8ELi32ELi8ELi8ELi32ELc84ELc67EKDF16_S1_DF16_EEvlllT_PT11_llS4_llS2_PT12_llPT13_lli.uses_flat_scratch, 0
	.set _ZN12_GLOBAL__N_135rocblas_gemm_batched_general_kernelIDF16_Li16ELi16ELi32ELi32ELi8ELi32ELi8ELi8ELi32ELc84ELc67EKDF16_S1_DF16_EEvlllT_PT11_llS4_llS2_PT12_llPT13_lli.has_dyn_sized_stack, 0
	.set _ZN12_GLOBAL__N_135rocblas_gemm_batched_general_kernelIDF16_Li16ELi16ELi32ELi32ELi8ELi32ELi8ELi8ELi32ELc84ELc67EKDF16_S1_DF16_EEvlllT_PT11_llS4_llS2_PT12_llPT13_lli.has_recursion, 0
	.set _ZN12_GLOBAL__N_135rocblas_gemm_batched_general_kernelIDF16_Li16ELi16ELi32ELi32ELi8ELi32ELi8ELi8ELi32ELc84ELc67EKDF16_S1_DF16_EEvlllT_PT11_llS4_llS2_PT12_llPT13_lli.has_indirect_call, 0
	.section	.AMDGPU.csdata,"",@progbits
; Kernel info:
; codeLenInByte = 1940
; TotalNumSgprs: 32
; NumVgprs: 30
; ScratchSize: 0
; MemoryBound: 0
; FloatMode: 240
; IeeeMode: 1
; LDSByteSize: 1024 bytes/workgroup (compile time only)
; SGPRBlocks: 0
; VGPRBlocks: 3
; NumSGPRsForWavesPerEU: 32
; NumVGPRsForWavesPerEU: 30
; Occupancy: 16
; WaveLimiterHint : 0
; COMPUTE_PGM_RSRC2:SCRATCH_EN: 0
; COMPUTE_PGM_RSRC2:USER_SGPR: 6
; COMPUTE_PGM_RSRC2:TRAP_HANDLER: 0
; COMPUTE_PGM_RSRC2:TGID_X_EN: 1
; COMPUTE_PGM_RSRC2:TGID_Y_EN: 1
; COMPUTE_PGM_RSRC2:TGID_Z_EN: 1
; COMPUTE_PGM_RSRC2:TIDIG_COMP_CNT: 1
	.section	.text._ZN12_GLOBAL__N_125rocblas_gemm_scale_kernelILi32ELi32EfPfEEviiT1_T2_llli,"axG",@progbits,_ZN12_GLOBAL__N_125rocblas_gemm_scale_kernelILi32ELi32EfPfEEviiT1_T2_llli,comdat
	.globl	_ZN12_GLOBAL__N_125rocblas_gemm_scale_kernelILi32ELi32EfPfEEviiT1_T2_llli ; -- Begin function _ZN12_GLOBAL__N_125rocblas_gemm_scale_kernelILi32ELi32EfPfEEviiT1_T2_llli
	.p2align	8
	.type	_ZN12_GLOBAL__N_125rocblas_gemm_scale_kernelILi32ELi32EfPfEEviiT1_T2_llli,@function
_ZN12_GLOBAL__N_125rocblas_gemm_scale_kernelILi32ELi32EfPfEEviiT1_T2_llli: ; @_ZN12_GLOBAL__N_125rocblas_gemm_scale_kernelILi32ELi32EfPfEEviiT1_T2_llli
; %bb.0:
	s_load_dwordx4 s[0:3], s[4:5], 0x0
	v_lshl_add_u32 v0, s6, 5, v0
	v_lshl_add_u32 v1, s7, 5, v1
	s_waitcnt lgkmcnt(0)
	v_cmp_gt_u32_e32 vcc_lo, s0, v0
	v_cmp_gt_u32_e64 s0, s1, v1
	s_and_b32 s0, vcc_lo, s0
	s_and_saveexec_b32 s1, s0
	s_cbranch_execz .LBB29_4
; %bb.1:
	s_load_dwordx8 s[12:19], s[4:5], 0x10
	v_cmp_eq_f32_e64 s5, s2, 0
	s_waitcnt lgkmcnt(0)
	v_mad_u64_u32 v[2:3], null, s16, v1, 0
	s_mul_i32 s1, s19, s8
	s_mul_hi_u32 s3, s18, s8
	s_mul_i32 s0, s18, s8
	s_add_i32 s1, s3, s1
	s_lshl_b64 s[0:1], s[0:1], 2
	v_mad_u64_u32 v[3:4], null, s17, v1, v[3:4]
	v_mov_b32_e32 v1, 0
	s_add_u32 s3, s12, s0
	s_addc_u32 s4, s13, s1
	s_lshl_b64 s[0:1], s[14:15], 2
	s_add_u32 s0, s3, s0
	v_lshlrev_b64 v[4:5], 2, v[2:3]
	v_lshlrev_b64 v[2:3], 2, v[0:1]
	s_addc_u32 s1, s4, s1
	s_and_b32 vcc_lo, exec_lo, s5
	s_cbranch_vccnz .LBB29_3
; %bb.2:
	v_add_co_u32 v0, vcc_lo, s0, v4
	v_add_co_ci_u32_e64 v1, null, s1, v5, vcc_lo
	v_add_co_u32 v0, vcc_lo, v0, v2
	v_add_co_ci_u32_e64 v1, null, v1, v3, vcc_lo
	global_load_dword v0, v[0:1], off
	s_waitcnt vmcnt(0)
	v_mul_f32_e32 v1, s2, v0
.LBB29_3:
	v_add_co_u32 v0, vcc_lo, s0, v4
	v_add_co_ci_u32_e64 v4, null, s1, v5, vcc_lo
	v_add_co_u32 v2, vcc_lo, v0, v2
	v_add_co_ci_u32_e64 v3, null, v4, v3, vcc_lo
	global_store_dword v[2:3], v1, off
.LBB29_4:
	s_endpgm
	.section	.rodata,"a",@progbits
	.p2align	6, 0x0
	.amdhsa_kernel _ZN12_GLOBAL__N_125rocblas_gemm_scale_kernelILi32ELi32EfPfEEviiT1_T2_llli
		.amdhsa_group_segment_fixed_size 0
		.amdhsa_private_segment_fixed_size 0
		.amdhsa_kernarg_size 52
		.amdhsa_user_sgpr_count 6
		.amdhsa_user_sgpr_private_segment_buffer 1
		.amdhsa_user_sgpr_dispatch_ptr 0
		.amdhsa_user_sgpr_queue_ptr 0
		.amdhsa_user_sgpr_kernarg_segment_ptr 1
		.amdhsa_user_sgpr_dispatch_id 0
		.amdhsa_user_sgpr_flat_scratch_init 0
		.amdhsa_user_sgpr_private_segment_size 0
		.amdhsa_wavefront_size32 1
		.amdhsa_uses_dynamic_stack 0
		.amdhsa_system_sgpr_private_segment_wavefront_offset 0
		.amdhsa_system_sgpr_workgroup_id_x 1
		.amdhsa_system_sgpr_workgroup_id_y 1
		.amdhsa_system_sgpr_workgroup_id_z 1
		.amdhsa_system_sgpr_workgroup_info 0
		.amdhsa_system_vgpr_workitem_id 1
		.amdhsa_next_free_vgpr 6
		.amdhsa_next_free_sgpr 20
		.amdhsa_reserve_vcc 1
		.amdhsa_reserve_flat_scratch 0
		.amdhsa_float_round_mode_32 0
		.amdhsa_float_round_mode_16_64 0
		.amdhsa_float_denorm_mode_32 3
		.amdhsa_float_denorm_mode_16_64 3
		.amdhsa_dx10_clamp 1
		.amdhsa_ieee_mode 1
		.amdhsa_fp16_overflow 0
		.amdhsa_workgroup_processor_mode 1
		.amdhsa_memory_ordered 1
		.amdhsa_forward_progress 1
		.amdhsa_shared_vgpr_count 0
		.amdhsa_exception_fp_ieee_invalid_op 0
		.amdhsa_exception_fp_denorm_src 0
		.amdhsa_exception_fp_ieee_div_zero 0
		.amdhsa_exception_fp_ieee_overflow 0
		.amdhsa_exception_fp_ieee_underflow 0
		.amdhsa_exception_fp_ieee_inexact 0
		.amdhsa_exception_int_div_zero 0
	.end_amdhsa_kernel
	.section	.text._ZN12_GLOBAL__N_125rocblas_gemm_scale_kernelILi32ELi32EfPfEEviiT1_T2_llli,"axG",@progbits,_ZN12_GLOBAL__N_125rocblas_gemm_scale_kernelILi32ELi32EfPfEEviiT1_T2_llli,comdat
.Lfunc_end29:
	.size	_ZN12_GLOBAL__N_125rocblas_gemm_scale_kernelILi32ELi32EfPfEEviiT1_T2_llli, .Lfunc_end29-_ZN12_GLOBAL__N_125rocblas_gemm_scale_kernelILi32ELi32EfPfEEviiT1_T2_llli
                                        ; -- End function
	.set _ZN12_GLOBAL__N_125rocblas_gemm_scale_kernelILi32ELi32EfPfEEviiT1_T2_llli.num_vgpr, 6
	.set _ZN12_GLOBAL__N_125rocblas_gemm_scale_kernelILi32ELi32EfPfEEviiT1_T2_llli.num_agpr, 0
	.set _ZN12_GLOBAL__N_125rocblas_gemm_scale_kernelILi32ELi32EfPfEEviiT1_T2_llli.numbered_sgpr, 20
	.set _ZN12_GLOBAL__N_125rocblas_gemm_scale_kernelILi32ELi32EfPfEEviiT1_T2_llli.num_named_barrier, 0
	.set _ZN12_GLOBAL__N_125rocblas_gemm_scale_kernelILi32ELi32EfPfEEviiT1_T2_llli.private_seg_size, 0
	.set _ZN12_GLOBAL__N_125rocblas_gemm_scale_kernelILi32ELi32EfPfEEviiT1_T2_llli.uses_vcc, 1
	.set _ZN12_GLOBAL__N_125rocblas_gemm_scale_kernelILi32ELi32EfPfEEviiT1_T2_llli.uses_flat_scratch, 0
	.set _ZN12_GLOBAL__N_125rocblas_gemm_scale_kernelILi32ELi32EfPfEEviiT1_T2_llli.has_dyn_sized_stack, 0
	.set _ZN12_GLOBAL__N_125rocblas_gemm_scale_kernelILi32ELi32EfPfEEviiT1_T2_llli.has_recursion, 0
	.set _ZN12_GLOBAL__N_125rocblas_gemm_scale_kernelILi32ELi32EfPfEEviiT1_T2_llli.has_indirect_call, 0
	.section	.AMDGPU.csdata,"",@progbits
; Kernel info:
; codeLenInByte = 248
; TotalNumSgprs: 22
; NumVgprs: 6
; ScratchSize: 0
; MemoryBound: 0
; FloatMode: 240
; IeeeMode: 1
; LDSByteSize: 0 bytes/workgroup (compile time only)
; SGPRBlocks: 0
; VGPRBlocks: 0
; NumSGPRsForWavesPerEU: 22
; NumVGPRsForWavesPerEU: 6
; Occupancy: 16
; WaveLimiterHint : 0
; COMPUTE_PGM_RSRC2:SCRATCH_EN: 0
; COMPUTE_PGM_RSRC2:USER_SGPR: 6
; COMPUTE_PGM_RSRC2:TRAP_HANDLER: 0
; COMPUTE_PGM_RSRC2:TGID_X_EN: 1
; COMPUTE_PGM_RSRC2:TGID_Y_EN: 1
; COMPUTE_PGM_RSRC2:TGID_Z_EN: 1
; COMPUTE_PGM_RSRC2:TIDIG_COMP_CNT: 1
	.section	.text._ZN12_GLOBAL__N_120gemm_ex_scale_kernelILi32ELi32EfPKfPfEEviiT1_T2_lllT3_llli,"axG",@progbits,_ZN12_GLOBAL__N_120gemm_ex_scale_kernelILi32ELi32EfPKfPfEEviiT1_T2_lllT3_llli,comdat
	.globl	_ZN12_GLOBAL__N_120gemm_ex_scale_kernelILi32ELi32EfPKfPfEEviiT1_T2_lllT3_llli ; -- Begin function _ZN12_GLOBAL__N_120gemm_ex_scale_kernelILi32ELi32EfPKfPfEEviiT1_T2_lllT3_llli
	.p2align	8
	.type	_ZN12_GLOBAL__N_120gemm_ex_scale_kernelILi32ELi32EfPKfPfEEviiT1_T2_lllT3_llli,@function
_ZN12_GLOBAL__N_120gemm_ex_scale_kernelILi32ELi32EfPKfPfEEviiT1_T2_lllT3_llli: ; @_ZN12_GLOBAL__N_120gemm_ex_scale_kernelILi32ELi32EfPKfPfEEviiT1_T2_lllT3_llli
; %bb.0:
	s_load_dwordx4 s[0:3], s[4:5], 0x0
	v_lshl_add_u32 v0, s6, 5, v0
	v_lshl_add_u32 v4, s7, 5, v1
	s_waitcnt lgkmcnt(0)
	v_cmp_gt_u32_e32 vcc_lo, s0, v0
	v_cmp_gt_u32_e64 s0, s1, v4
	s_and_b32 s0, vcc_lo, s0
	s_and_saveexec_b32 s1, s0
	s_cbranch_execz .LBB30_5
; %bb.1:
	v_cmp_neq_f32_e64 s0, s2, 0
	v_mov_b32_e32 v1, 0
	s_and_b32 vcc_lo, exec_lo, s0
	s_mov_b32 s0, 0
	s_cbranch_vccnz .LBB30_6
; %bb.2:
	v_mov_b32_e32 v3, 0
	v_mov_b32_e32 v2, v0
	s_load_dwordx16 s[12:27], s[4:5], 0x10
	s_andn2_b32 vcc_lo, exec_lo, s0
	s_cbranch_vccnz .LBB30_4
.LBB30_3:
	s_waitcnt lgkmcnt(0)
	v_mad_u64_u32 v[5:6], null, s16, v4, 0
	s_mul_i32 s1, s19, s8
	s_mul_hi_u32 s3, s18, s8
	s_mul_i32 s0, s18, s8
	s_add_i32 s1, s3, s1
	v_lshlrev_b64 v[0:1], 2, v[0:1]
	s_lshl_b64 s[0:1], s[0:1], 2
	v_mad_u64_u32 v[6:7], null, s17, v4, v[6:7]
	s_add_u32 s3, s12, s0
	s_addc_u32 s4, s13, s1
	s_lshl_b64 s[0:1], s[14:15], 2
	s_add_u32 s0, s3, s0
	s_addc_u32 s1, s4, s1
	v_lshlrev_b64 v[5:6], 2, v[5:6]
	v_add_co_u32 v5, vcc_lo, s0, v5
	v_add_co_ci_u32_e64 v6, null, s1, v6, vcc_lo
	v_add_co_u32 v0, vcc_lo, v5, v0
	v_add_co_ci_u32_e64 v1, null, v6, v1, vcc_lo
	global_load_dword v0, v[0:1], off
	s_waitcnt vmcnt(0)
	v_mul_f32_e32 v1, s2, v0
.LBB30_4:
	s_waitcnt lgkmcnt(0)
	v_mad_u64_u32 v[5:6], null, s24, v4, 0
	s_mul_i32 s1, s27, s8
	s_mul_hi_u32 s2, s26, s8
	s_mul_i32 s0, s26, s8
	s_add_i32 s1, s2, s1
	v_lshlrev_b64 v[2:3], 2, v[2:3]
	s_lshl_b64 s[0:1], s[0:1], 2
	v_mov_b32_e32 v0, v6
	s_add_u32 s2, s20, s0
	s_addc_u32 s3, s21, s1
	s_lshl_b64 s[0:1], s[22:23], 2
	s_add_u32 s0, s2, s0
	v_mad_u64_u32 v[6:7], null, s25, v4, v[0:1]
	s_addc_u32 s1, s3, s1
	v_lshlrev_b64 v[4:5], 2, v[5:6]
	v_add_co_u32 v0, vcc_lo, s0, v4
	v_add_co_ci_u32_e64 v4, null, s1, v5, vcc_lo
	v_add_co_u32 v2, vcc_lo, v0, v2
	v_add_co_ci_u32_e64 v3, null, v4, v3, vcc_lo
	global_store_dword v[2:3], v1, off
.LBB30_5:
	s_endpgm
.LBB30_6:
	v_mov_b32_e32 v3, v1
	v_mov_b32_e32 v2, v0
	s_load_dwordx16 s[12:27], s[4:5], 0x10
	s_branch .LBB30_3
	.section	.rodata,"a",@progbits
	.p2align	6, 0x0
	.amdhsa_kernel _ZN12_GLOBAL__N_120gemm_ex_scale_kernelILi32ELi32EfPKfPfEEviiT1_T2_lllT3_llli
		.amdhsa_group_segment_fixed_size 0
		.amdhsa_private_segment_fixed_size 0
		.amdhsa_kernarg_size 84
		.amdhsa_user_sgpr_count 6
		.amdhsa_user_sgpr_private_segment_buffer 1
		.amdhsa_user_sgpr_dispatch_ptr 0
		.amdhsa_user_sgpr_queue_ptr 0
		.amdhsa_user_sgpr_kernarg_segment_ptr 1
		.amdhsa_user_sgpr_dispatch_id 0
		.amdhsa_user_sgpr_flat_scratch_init 0
		.amdhsa_user_sgpr_private_segment_size 0
		.amdhsa_wavefront_size32 1
		.amdhsa_uses_dynamic_stack 0
		.amdhsa_system_sgpr_private_segment_wavefront_offset 0
		.amdhsa_system_sgpr_workgroup_id_x 1
		.amdhsa_system_sgpr_workgroup_id_y 1
		.amdhsa_system_sgpr_workgroup_id_z 1
		.amdhsa_system_sgpr_workgroup_info 0
		.amdhsa_system_vgpr_workitem_id 1
		.amdhsa_next_free_vgpr 8
		.amdhsa_next_free_sgpr 28
		.amdhsa_reserve_vcc 1
		.amdhsa_reserve_flat_scratch 0
		.amdhsa_float_round_mode_32 0
		.amdhsa_float_round_mode_16_64 0
		.amdhsa_float_denorm_mode_32 3
		.amdhsa_float_denorm_mode_16_64 3
		.amdhsa_dx10_clamp 1
		.amdhsa_ieee_mode 1
		.amdhsa_fp16_overflow 0
		.amdhsa_workgroup_processor_mode 1
		.amdhsa_memory_ordered 1
		.amdhsa_forward_progress 1
		.amdhsa_shared_vgpr_count 0
		.amdhsa_exception_fp_ieee_invalid_op 0
		.amdhsa_exception_fp_denorm_src 0
		.amdhsa_exception_fp_ieee_div_zero 0
		.amdhsa_exception_fp_ieee_overflow 0
		.amdhsa_exception_fp_ieee_underflow 0
		.amdhsa_exception_fp_ieee_inexact 0
		.amdhsa_exception_int_div_zero 0
	.end_amdhsa_kernel
	.section	.text._ZN12_GLOBAL__N_120gemm_ex_scale_kernelILi32ELi32EfPKfPfEEviiT1_T2_lllT3_llli,"axG",@progbits,_ZN12_GLOBAL__N_120gemm_ex_scale_kernelILi32ELi32EfPKfPfEEviiT1_T2_lllT3_llli,comdat
.Lfunc_end30:
	.size	_ZN12_GLOBAL__N_120gemm_ex_scale_kernelILi32ELi32EfPKfPfEEviiT1_T2_lllT3_llli, .Lfunc_end30-_ZN12_GLOBAL__N_120gemm_ex_scale_kernelILi32ELi32EfPKfPfEEviiT1_T2_lllT3_llli
                                        ; -- End function
	.set _ZN12_GLOBAL__N_120gemm_ex_scale_kernelILi32ELi32EfPKfPfEEviiT1_T2_lllT3_llli.num_vgpr, 8
	.set _ZN12_GLOBAL__N_120gemm_ex_scale_kernelILi32ELi32EfPKfPfEEviiT1_T2_lllT3_llli.num_agpr, 0
	.set _ZN12_GLOBAL__N_120gemm_ex_scale_kernelILi32ELi32EfPKfPfEEviiT1_T2_lllT3_llli.numbered_sgpr, 28
	.set _ZN12_GLOBAL__N_120gemm_ex_scale_kernelILi32ELi32EfPKfPfEEviiT1_T2_lllT3_llli.num_named_barrier, 0
	.set _ZN12_GLOBAL__N_120gemm_ex_scale_kernelILi32ELi32EfPKfPfEEviiT1_T2_lllT3_llli.private_seg_size, 0
	.set _ZN12_GLOBAL__N_120gemm_ex_scale_kernelILi32ELi32EfPKfPfEEviiT1_T2_lllT3_llli.uses_vcc, 1
	.set _ZN12_GLOBAL__N_120gemm_ex_scale_kernelILi32ELi32EfPKfPfEEviiT1_T2_lllT3_llli.uses_flat_scratch, 0
	.set _ZN12_GLOBAL__N_120gemm_ex_scale_kernelILi32ELi32EfPKfPfEEviiT1_T2_lllT3_llli.has_dyn_sized_stack, 0
	.set _ZN12_GLOBAL__N_120gemm_ex_scale_kernelILi32ELi32EfPKfPfEEviiT1_T2_lllT3_llli.has_recursion, 0
	.set _ZN12_GLOBAL__N_120gemm_ex_scale_kernelILi32ELi32EfPKfPfEEviiT1_T2_lllT3_llli.has_indirect_call, 0
	.section	.AMDGPU.csdata,"",@progbits
; Kernel info:
; codeLenInByte = 368
; TotalNumSgprs: 30
; NumVgprs: 8
; ScratchSize: 0
; MemoryBound: 0
; FloatMode: 240
; IeeeMode: 1
; LDSByteSize: 0 bytes/workgroup (compile time only)
; SGPRBlocks: 0
; VGPRBlocks: 0
; NumSGPRsForWavesPerEU: 30
; NumVGPRsForWavesPerEU: 8
; Occupancy: 16
; WaveLimiterHint : 0
; COMPUTE_PGM_RSRC2:SCRATCH_EN: 0
; COMPUTE_PGM_RSRC2:USER_SGPR: 6
; COMPUTE_PGM_RSRC2:TRAP_HANDLER: 0
; COMPUTE_PGM_RSRC2:TGID_X_EN: 1
; COMPUTE_PGM_RSRC2:TGID_Y_EN: 1
; COMPUTE_PGM_RSRC2:TGID_Z_EN: 1
; COMPUTE_PGM_RSRC2:TIDIG_COMP_CNT: 1
	.section	.text._ZN12_GLOBAL__N_127rocblas_gemm_batched_kernelIfLi16ELi16ELi64ELi64ELi4ELi64ELi4ELi4ELi64ELc78ELc78EKfS1_fEEvlllT_PT11_llS4_llS2_PT12_llPT13_lli,"axG",@progbits,_ZN12_GLOBAL__N_127rocblas_gemm_batched_kernelIfLi16ELi16ELi64ELi64ELi4ELi64ELi4ELi4ELi64ELc78ELc78EKfS1_fEEvlllT_PT11_llS4_llS2_PT12_llPT13_lli,comdat
	.globl	_ZN12_GLOBAL__N_127rocblas_gemm_batched_kernelIfLi16ELi16ELi64ELi64ELi4ELi64ELi4ELi4ELi64ELc78ELc78EKfS1_fEEvlllT_PT11_llS4_llS2_PT12_llPT13_lli ; -- Begin function _ZN12_GLOBAL__N_127rocblas_gemm_batched_kernelIfLi16ELi16ELi64ELi64ELi4ELi64ELi4ELi4ELi64ELc78ELc78EKfS1_fEEvlllT_PT11_llS4_llS2_PT12_llPT13_lli
	.p2align	8
	.type	_ZN12_GLOBAL__N_127rocblas_gemm_batched_kernelIfLi16ELi16ELi64ELi64ELi4ELi64ELi4ELi4ELi64ELc78ELc78EKfS1_fEEvlllT_PT11_llS4_llS2_PT12_llPT13_lli,@function
_ZN12_GLOBAL__N_127rocblas_gemm_batched_kernelIfLi16ELi16ELi64ELi64ELi4ELi64ELi4ELi4ELi64ELc78ELc78EKfS1_fEEvlllT_PT11_llS4_llS2_PT12_llPT13_lli: ; @_ZN12_GLOBAL__N_127rocblas_gemm_batched_kernelIfLi16ELi16ELi64ELi64ELi4ELi64ELi4ELi4ELi64ELc78ELc78EKfS1_fEEvlllT_PT11_llS4_llS2_PT12_llPT13_lli
; %bb.0:
	s_load_dwordx2 s[20:21], s[4:5], 0x10
	s_mov_b32 s0, s7
	v_mov_b32_e32 v19, 0
	v_mov_b32_e32 v21, 0
	;; [unrolled: 1-line block ×16, first 2 shown]
	s_ashr_i32 s7, s6, 31
	s_ashr_i32 s1, s0, 31
	s_waitcnt lgkmcnt(0)
	v_cmp_lt_i64_e64 s2, s[20:21], 1
	s_lshl_b64 s[6:7], s[6:7], 6
	s_lshl_b64 s[10:11], s[0:1], 6
	s_and_b32 vcc_lo, exec_lo, s2
	s_cbranch_vccnz .LBB31_3
; %bb.1:
	v_lshlrev_b32_e32 v4, 4, v1
	s_clause 0x1
	s_load_dwordx4 s[0:3], s[4:5], 0x40
	s_load_dwordx8 s[12:19], s[4:5], 0x20
	v_and_b32_e32 v3, 3, v0
	v_mov_b32_e32 v6, 0
	v_add_nc_u32_e32 v2, v4, v0
	v_add_nc_u32_e32 v23, 0x400, v4
	v_lshlrev_b32_e32 v22, 2, v0
	v_lshlrev_b32_e32 v9, 2, v3
	v_mov_b32_e32 v14, 0
	v_lshrrev_b32_e32 v5, 2, v2
	v_and_b32_e32 v10, 63, v2
	v_lshrrev_b32_e32 v8, 6, v2
	v_mov_b32_e32 v15, 0
	v_mov_b32_e32 v16, 0
	v_add_co_u32 v3, s9, v5, s10
	v_add_co_ci_u32_e64 v7, null, 0, s11, s9
	v_lshl_or_b32 v12, v5, 4, v9
	v_lshlrev_b32_e32 v11, 2, v10
	s_waitcnt lgkmcnt(0)
	v_mul_lo_u32 v13, s1, v3
	v_mul_lo_u32 v7, s0, v7
	v_mad_u64_u32 v[2:3], null, s0, v3, 0
	v_mad_u64_u32 v[4:5], null, s14, v8, s[6:7]
	s_mul_i32 s1, s3, s8
	s_mul_hi_u32 s3, s2, s8
	v_lshl_or_b32 v24, v8, 8, v11
	s_mul_i32 s0, s2, s8
	v_add3_u32 v3, v3, v7, v13
	s_add_i32 s1, s3, s1
	v_mad_u64_u32 v[7:8], null, s15, v8, v[5:6]
	s_lshl_b64 s[0:1], s[0:1], 2
	v_lshlrev_b64 v[2:3], 2, v[2:3]
	s_mul_i32 s2, s17, s8
	s_mul_hi_u32 s3, s16, s8
	v_add_nc_u32_e32 v25, 0x400, v12
	v_mov_b32_e32 v11, 0
	v_mov_b32_e32 v12, 0
	v_add_co_u32 v5, vcc_lo, v2, s0
	v_add_co_ci_u32_e64 v8, null, s1, v3, vcc_lo
	v_add_co_u32 v2, vcc_lo, v4, v10
	v_add_co_ci_u32_e64 v3, null, 0, v7, vcc_lo
	v_add_co_u32 v7, vcc_lo, v5, v9
	s_add_i32 s1, s3, s2
	s_mul_i32 s0, s16, s8
	v_lshlrev_b64 v[4:5], 2, v[2:3]
	v_add_co_ci_u32_e64 v8, null, 0, v8, vcc_lo
	s_lshl_b64 s[0:1], s[0:1], 2
	v_add_co_u32 v2, vcc_lo, s18, v7
	s_add_u32 s0, s12, s0
	v_add_co_ci_u32_e64 v3, null, s19, v8, vcc_lo
	s_addc_u32 s1, s13, s1
	v_add_co_u32 v4, vcc_lo, s0, v4
	v_add_co_ci_u32_e64 v5, null, s1, v5, vcc_lo
	v_mov_b32_e32 v7, 0
	v_mov_b32_e32 v8, 0
	;; [unrolled: 1-line block ×10, first 2 shown]
	s_lshl_b64 s[0:1], s[14:15], 4
	s_mov_b64 s[2:3], 0
.LBB31_2:                               ; =>This Inner Loop Header: Depth=1
	global_load_dword v26, v[4:5], off
	global_load_dword v27, v[2:3], off
	s_add_u32 s2, s2, 4
	s_addc_u32 s3, s3, 0
	v_add_co_u32 v2, vcc_lo, v2, 16
	v_cmp_lt_i64_e64 s9, s[2:3], s[20:21]
	v_add_co_ci_u32_e64 v3, null, 0, v3, vcc_lo
	v_add_co_u32 v4, vcc_lo, v4, s0
	v_add_co_ci_u32_e64 v5, null, s1, v5, vcc_lo
	s_and_b32 vcc_lo, exec_lo, s9
	s_waitcnt vmcnt(1)
	ds_write_b32 v24, v26
	s_waitcnt vmcnt(0)
	ds_write_b32 v25, v27
	s_waitcnt lgkmcnt(0)
	s_barrier
	buffer_gl0_inv
	ds_read_b128 v[26:29], v23
	ds_read2_b32 v[42:43], v22 offset1:16
	ds_read2_b32 v[44:45], v22 offset0:32 offset1:48
	ds_read_b128 v[30:33], v23 offset:256
	ds_read_b128 v[34:37], v23 offset:512
	;; [unrolled: 1-line block ×3, first 2 shown]
	ds_read2_b32 v[46:47], v22 offset0:64 offset1:80
	ds_read2_b32 v[48:49], v22 offset0:96 offset1:112
	;; [unrolled: 1-line block ×6, first 2 shown]
	s_waitcnt lgkmcnt(0)
	s_barrier
	buffer_gl0_inv
	v_fmac_f32_e32 v19, v42, v26
	v_fmac_f32_e32 v21, v43, v26
	;; [unrolled: 1-line block ×64, first 2 shown]
	s_cbranch_vccnz .LBB31_2
.LBB31_3:
	s_clause 0x3
	s_load_dwordx4 s[0:3], s[4:5], 0x78
	s_load_dword s9, s[4:5], 0x50
	s_load_dwordx8 s[12:19], s[4:5], 0x58
	s_load_dword s4, s[4:5], 0x18
	v_add_co_u32 v3, s5, s6, v0
	v_add_co_ci_u32_e64 v4, null, s7, 0, s5
	v_add_co_u32 v2, s5, s10, v1
	v_add_co_ci_u32_e64 v5, null, s11, 0, s5
	v_lshlrev_b64 v[0:1], 2, v[3:4]
	s_waitcnt lgkmcnt(0)
	s_mul_i32 s3, s3, s8
	s_mul_hi_u32 s5, s2, s8
	v_mul_lo_u32 v3, v5, s0
	v_mul_lo_u32 v4, v2, s1
	s_mul_i32 s2, s2, s8
	v_cmp_neq_f32_e64 s6, s9, 0
	s_add_i32 s3, s5, s3
	s_mov_b32 s5, 0
	s_lshl_b64 s[2:3], s[2:3], 2
	s_add_u32 s2, s18, s2
	s_addc_u32 s3, s19, s3
	s_and_b32 vcc_lo, exec_lo, s6
	s_cbranch_vccnz .LBB31_7
; %bb.4:
	v_mad_u64_u32 v[22:23], null, v2, s0, 0
	s_lshl_b64 s[6:7], s[0:1], 6
	v_mul_f32_e32 v26, s4, v19
	v_mul_f32_e32 v27, s4, v21
	;; [unrolled: 1-line block ×5, first 2 shown]
	v_add3_u32 v23, v23, v4, v3
	v_mul_f32_e32 v31, s4, v16
	v_mul_f32_e32 v32, s4, v15
	;; [unrolled: 1-line block ×3, first 2 shown]
	v_lshlrev_b64 v[22:23], 2, v[22:23]
	v_add_co_u32 v22, vcc_lo, s2, v22
	v_add_co_ci_u32_e64 v23, null, s3, v23, vcc_lo
	v_add_co_u32 v34, vcc_lo, v22, s6
	v_add_co_ci_u32_e64 v35, null, s7, v23, vcc_lo
	;; [unrolled: 2-line block ×4, first 2 shown]
	global_store_dword v[22:23], v26, off
	global_store_dword v[22:23], v27, off offset:64
	global_store_dword v[22:23], v28, off offset:128
	;; [unrolled: 1-line block ×3, first 2 shown]
	global_store_dword v[24:25], v30, off
	global_store_dword v[24:25], v31, off offset:64
	v_add_co_u32 v26, vcc_lo, v34, s6
	v_add_co_ci_u32_e64 v27, null, s7, v35, vcc_lo
	v_mul_f32_e32 v28, s4, v13
	v_add_co_u32 v22, vcc_lo, v26, v0
	v_add_co_ci_u32_e64 v23, null, v27, v1, vcc_lo
	v_mul_f32_e32 v29, s4, v12
	v_mul_f32_e32 v30, s4, v11
	global_store_dword v[24:25], v32, off offset:128
	global_store_dword v[24:25], v33, off offset:192
	global_store_dword v[22:23], v28, off
	global_store_dword v[22:23], v29, off offset:64
	global_store_dword v[22:23], v30, off offset:128
	v_add_co_u32 v24, vcc_lo, v26, s6
	v_add_co_ci_u32_e64 v25, null, s7, v27, vcc_lo
	v_mul_f32_e32 v28, s4, v10
	v_add_co_u32 v24, vcc_lo, v24, v0
	v_mul_f32_e32 v26, s4, v9
	v_add_co_ci_u32_e64 v25, null, v25, v1, vcc_lo
	v_mul_f32_e32 v27, s4, v8
	v_mul_f32_e32 v29, s4, v7
	;; [unrolled: 1-line block ×3, first 2 shown]
	global_store_dword v[22:23], v28, off offset:192
	global_store_dword v[24:25], v26, off
	global_store_dword v[24:25], v27, off offset:64
	global_store_dword v[24:25], v29, off offset:128
	;; [unrolled: 1-line block ×3, first 2 shown]
	s_andn2_b32 vcc_lo, exec_lo, s5
	s_cbranch_vccnz .LBB31_6
.LBB31_5:
	v_mul_lo_u32 v5, v5, s14
	v_mul_lo_u32 v24, v2, s15
	v_mad_u64_u32 v[22:23], null, v2, s14, 0
	s_mul_i32 s5, s17, s8
	s_mul_hi_u32 s7, s16, s8
	s_mul_i32 s6, s16, s8
	s_add_i32 s7, s7, s5
	s_lshl_b64 s[6:7], s[6:7], 2
	v_add3_u32 v23, v23, v24, v5
	s_add_u32 s5, s12, s6
	s_addc_u32 s6, s13, s7
	v_mad_u64_u32 v[24:25], null, v2, s0, 0
	v_lshlrev_b64 v[22:23], 2, v[22:23]
	s_lshl_b64 s[0:1], s[0:1], 6
	v_add3_u32 v25, v25, v4, v3
	v_add_co_u32 v5, vcc_lo, s5, v22
	v_add_co_ci_u32_e64 v26, null, s6, v23, vcc_lo
	v_lshlrev_b64 v[2:3], 2, v[24:25]
	v_add_co_u32 v22, vcc_lo, v5, v0
	v_add_co_ci_u32_e64 v23, null, v26, v1, vcc_lo
	v_add_co_u32 v24, vcc_lo, s2, v2
	global_load_dword v27, v[22:23], off
	v_add_co_ci_u32_e64 v25, null, s3, v3, vcc_lo
	v_add_co_u32 v2, vcc_lo, v24, v0
	s_lshl_b64 s[2:3], s[14:15], 6
	v_add_co_ci_u32_e64 v3, null, v25, v1, vcc_lo
	s_waitcnt vmcnt(0)
	v_mul_f32_e32 v4, s9, v27
	v_fmac_f32_e32 v4, s4, v19
	global_store_dword v[2:3], v4, off
	global_load_dword v4, v[22:23], off offset:64
	s_waitcnt vmcnt(0)
	v_mul_f32_e32 v4, s9, v4
	v_fmac_f32_e32 v4, s4, v21
	global_store_dword v[2:3], v4, off offset:64
	global_load_dword v4, v[22:23], off offset:128
	s_waitcnt vmcnt(0)
	v_mul_f32_e32 v4, s9, v4
	v_fmac_f32_e32 v4, s4, v20
	v_add_co_u32 v20, vcc_lo, v5, s2
	v_add_co_ci_u32_e64 v21, null, s3, v26, vcc_lo
	global_store_dword v[2:3], v4, off offset:128
	global_load_dword v4, v[22:23], off offset:192
	s_waitcnt vmcnt(0)
	v_mul_f32_e32 v19, s9, v4
	v_add_co_u32 v4, vcc_lo, v20, v0
	v_add_co_ci_u32_e64 v5, null, v21, v1, vcc_lo
	v_fmac_f32_e32 v19, s4, v18
	v_add_co_u32 v18, vcc_lo, v24, s0
	global_store_dword v[2:3], v19, off offset:192
	global_load_dword v2, v[4:5], off
	v_add_co_ci_u32_e64 v19, null, s1, v25, vcc_lo
	s_waitcnt vmcnt(0)
	v_mul_f32_e32 v22, s9, v2
	v_add_co_u32 v2, vcc_lo, v18, v0
	v_add_co_ci_u32_e64 v3, null, v19, v1, vcc_lo
	v_fmac_f32_e32 v22, s4, v17
	global_store_dword v[2:3], v22, off
	global_load_dword v17, v[4:5], off offset:64
	s_waitcnt vmcnt(0)
	v_mul_f32_e32 v17, s9, v17
	v_fmac_f32_e32 v17, s4, v16
	global_store_dword v[2:3], v17, off offset:64
	global_load_dword v16, v[4:5], off offset:128
	s_waitcnt vmcnt(0)
	v_mul_f32_e32 v16, s9, v16
	v_fmac_f32_e32 v16, s4, v15
	global_store_dword v[2:3], v16, off offset:128
	global_load_dword v4, v[4:5], off offset:192
	v_add_co_u32 v16, vcc_lo, v20, s2
	v_add_co_ci_u32_e64 v17, null, s3, v21, vcc_lo
	s_waitcnt vmcnt(0)
	v_mul_f32_e32 v15, s9, v4
	v_add_co_u32 v4, vcc_lo, v16, v0
	v_add_co_ci_u32_e64 v5, null, v17, v1, vcc_lo
	v_fmac_f32_e32 v15, s4, v14
	v_add_co_u32 v14, vcc_lo, v18, s0
	global_store_dword v[2:3], v15, off offset:192
	global_load_dword v2, v[4:5], off
	v_add_co_ci_u32_e64 v15, null, s1, v19, vcc_lo
	s_waitcnt vmcnt(0)
	v_mul_f32_e32 v18, s9, v2
	v_add_co_u32 v2, vcc_lo, v14, v0
	v_add_co_ci_u32_e64 v3, null, v15, v1, vcc_lo
	v_fmac_f32_e32 v18, s4, v13
	global_store_dword v[2:3], v18, off
	global_load_dword v13, v[4:5], off offset:64
	s_waitcnt vmcnt(0)
	v_mul_f32_e32 v13, s9, v13
	v_fmac_f32_e32 v13, s4, v12
	global_store_dword v[2:3], v13, off offset:64
	global_load_dword v12, v[4:5], off offset:128
	s_waitcnt vmcnt(0)
	v_mul_f32_e32 v12, s9, v12
	v_fmac_f32_e32 v12, s4, v11
	global_store_dword v[2:3], v12, off offset:128
	global_load_dword v4, v[4:5], off offset:192
	s_waitcnt vmcnt(0)
	v_mul_f32_e32 v11, s9, v4
	v_add_co_u32 v4, vcc_lo, v16, s2
	v_add_co_ci_u32_e64 v5, null, s3, v17, vcc_lo
	v_fmac_f32_e32 v11, s4, v10
	v_add_co_u32 v4, vcc_lo, v4, v0
	v_add_co_ci_u32_e64 v5, null, v5, v1, vcc_lo
	global_store_dword v[2:3], v11, off offset:192
	v_add_co_u32 v3, vcc_lo, v14, s0
	global_load_dword v2, v[4:5], off
	v_add_co_ci_u32_e64 v10, null, s1, v15, vcc_lo
	v_add_co_u32 v0, vcc_lo, v3, v0
	v_add_co_ci_u32_e64 v1, null, v10, v1, vcc_lo
	s_waitcnt vmcnt(0)
	v_mul_f32_e32 v2, s9, v2
	v_fmac_f32_e32 v2, s4, v9
	global_store_dword v[0:1], v2, off
	global_load_dword v2, v[4:5], off offset:64
	s_waitcnt vmcnt(0)
	v_mul_f32_e32 v2, s9, v2
	v_fmac_f32_e32 v2, s4, v8
	global_store_dword v[0:1], v2, off offset:64
	global_load_dword v2, v[4:5], off offset:128
	s_waitcnt vmcnt(0)
	v_mul_f32_e32 v2, s9, v2
	v_fmac_f32_e32 v2, s4, v7
	global_store_dword v[0:1], v2, off offset:128
	global_load_dword v2, v[4:5], off offset:192
	s_waitcnt vmcnt(0)
	v_mul_f32_e32 v2, s9, v2
	v_fmac_f32_e32 v2, s4, v6
	global_store_dword v[0:1], v2, off offset:192
.LBB31_6:
	s_endpgm
.LBB31_7:
	s_branch .LBB31_5
	.section	.rodata,"a",@progbits
	.p2align	6, 0x0
	.amdhsa_kernel _ZN12_GLOBAL__N_127rocblas_gemm_batched_kernelIfLi16ELi16ELi64ELi64ELi4ELi64ELi4ELi4ELi64ELc78ELc78EKfS1_fEEvlllT_PT11_llS4_llS2_PT12_llPT13_lli
		.amdhsa_group_segment_fixed_size 2048
		.amdhsa_private_segment_fixed_size 0
		.amdhsa_kernarg_size 140
		.amdhsa_user_sgpr_count 6
		.amdhsa_user_sgpr_private_segment_buffer 1
		.amdhsa_user_sgpr_dispatch_ptr 0
		.amdhsa_user_sgpr_queue_ptr 0
		.amdhsa_user_sgpr_kernarg_segment_ptr 1
		.amdhsa_user_sgpr_dispatch_id 0
		.amdhsa_user_sgpr_flat_scratch_init 0
		.amdhsa_user_sgpr_private_segment_size 0
		.amdhsa_wavefront_size32 1
		.amdhsa_uses_dynamic_stack 0
		.amdhsa_system_sgpr_private_segment_wavefront_offset 0
		.amdhsa_system_sgpr_workgroup_id_x 1
		.amdhsa_system_sgpr_workgroup_id_y 1
		.amdhsa_system_sgpr_workgroup_id_z 1
		.amdhsa_system_sgpr_workgroup_info 0
		.amdhsa_system_vgpr_workitem_id 1
		.amdhsa_next_free_vgpr 58
		.amdhsa_next_free_sgpr 22
		.amdhsa_reserve_vcc 1
		.amdhsa_reserve_flat_scratch 0
		.amdhsa_float_round_mode_32 0
		.amdhsa_float_round_mode_16_64 0
		.amdhsa_float_denorm_mode_32 3
		.amdhsa_float_denorm_mode_16_64 3
		.amdhsa_dx10_clamp 1
		.amdhsa_ieee_mode 1
		.amdhsa_fp16_overflow 0
		.amdhsa_workgroup_processor_mode 1
		.amdhsa_memory_ordered 1
		.amdhsa_forward_progress 1
		.amdhsa_shared_vgpr_count 0
		.amdhsa_exception_fp_ieee_invalid_op 0
		.amdhsa_exception_fp_denorm_src 0
		.amdhsa_exception_fp_ieee_div_zero 0
		.amdhsa_exception_fp_ieee_overflow 0
		.amdhsa_exception_fp_ieee_underflow 0
		.amdhsa_exception_fp_ieee_inexact 0
		.amdhsa_exception_int_div_zero 0
	.end_amdhsa_kernel
	.section	.text._ZN12_GLOBAL__N_127rocblas_gemm_batched_kernelIfLi16ELi16ELi64ELi64ELi4ELi64ELi4ELi4ELi64ELc78ELc78EKfS1_fEEvlllT_PT11_llS4_llS2_PT12_llPT13_lli,"axG",@progbits,_ZN12_GLOBAL__N_127rocblas_gemm_batched_kernelIfLi16ELi16ELi64ELi64ELi4ELi64ELi4ELi4ELi64ELc78ELc78EKfS1_fEEvlllT_PT11_llS4_llS2_PT12_llPT13_lli,comdat
.Lfunc_end31:
	.size	_ZN12_GLOBAL__N_127rocblas_gemm_batched_kernelIfLi16ELi16ELi64ELi64ELi4ELi64ELi4ELi4ELi64ELc78ELc78EKfS1_fEEvlllT_PT11_llS4_llS2_PT12_llPT13_lli, .Lfunc_end31-_ZN12_GLOBAL__N_127rocblas_gemm_batched_kernelIfLi16ELi16ELi64ELi64ELi4ELi64ELi4ELi4ELi64ELc78ELc78EKfS1_fEEvlllT_PT11_llS4_llS2_PT12_llPT13_lli
                                        ; -- End function
	.set _ZN12_GLOBAL__N_127rocblas_gemm_batched_kernelIfLi16ELi16ELi64ELi64ELi4ELi64ELi4ELi4ELi64ELc78ELc78EKfS1_fEEvlllT_PT11_llS4_llS2_PT12_llPT13_lli.num_vgpr, 58
	.set _ZN12_GLOBAL__N_127rocblas_gemm_batched_kernelIfLi16ELi16ELi64ELi64ELi4ELi64ELi4ELi4ELi64ELc78ELc78EKfS1_fEEvlllT_PT11_llS4_llS2_PT12_llPT13_lli.num_agpr, 0
	.set _ZN12_GLOBAL__N_127rocblas_gemm_batched_kernelIfLi16ELi16ELi64ELi64ELi4ELi64ELi4ELi4ELi64ELc78ELc78EKfS1_fEEvlllT_PT11_llS4_llS2_PT12_llPT13_lli.numbered_sgpr, 22
	.set _ZN12_GLOBAL__N_127rocblas_gemm_batched_kernelIfLi16ELi16ELi64ELi64ELi4ELi64ELi4ELi4ELi64ELc78ELc78EKfS1_fEEvlllT_PT11_llS4_llS2_PT12_llPT13_lli.num_named_barrier, 0
	.set _ZN12_GLOBAL__N_127rocblas_gemm_batched_kernelIfLi16ELi16ELi64ELi64ELi4ELi64ELi4ELi4ELi64ELc78ELc78EKfS1_fEEvlllT_PT11_llS4_llS2_PT12_llPT13_lli.private_seg_size, 0
	.set _ZN12_GLOBAL__N_127rocblas_gemm_batched_kernelIfLi16ELi16ELi64ELi64ELi4ELi64ELi4ELi4ELi64ELc78ELc78EKfS1_fEEvlllT_PT11_llS4_llS2_PT12_llPT13_lli.uses_vcc, 1
	.set _ZN12_GLOBAL__N_127rocblas_gemm_batched_kernelIfLi16ELi16ELi64ELi64ELi4ELi64ELi4ELi4ELi64ELc78ELc78EKfS1_fEEvlllT_PT11_llS4_llS2_PT12_llPT13_lli.uses_flat_scratch, 0
	.set _ZN12_GLOBAL__N_127rocblas_gemm_batched_kernelIfLi16ELi16ELi64ELi64ELi4ELi64ELi4ELi4ELi64ELc78ELc78EKfS1_fEEvlllT_PT11_llS4_llS2_PT12_llPT13_lli.has_dyn_sized_stack, 0
	.set _ZN12_GLOBAL__N_127rocblas_gemm_batched_kernelIfLi16ELi16ELi64ELi64ELi4ELi64ELi4ELi4ELi64ELc78ELc78EKfS1_fEEvlllT_PT11_llS4_llS2_PT12_llPT13_lli.has_recursion, 0
	.set _ZN12_GLOBAL__N_127rocblas_gemm_batched_kernelIfLi16ELi16ELi64ELi64ELi4ELi64ELi4ELi4ELi64ELc78ELc78EKfS1_fEEvlllT_PT11_llS4_llS2_PT12_llPT13_lli.has_indirect_call, 0
	.section	.AMDGPU.csdata,"",@progbits
; Kernel info:
; codeLenInByte = 2276
; TotalNumSgprs: 24
; NumVgprs: 58
; ScratchSize: 0
; MemoryBound: 0
; FloatMode: 240
; IeeeMode: 1
; LDSByteSize: 2048 bytes/workgroup (compile time only)
; SGPRBlocks: 0
; VGPRBlocks: 7
; NumSGPRsForWavesPerEU: 24
; NumVGPRsForWavesPerEU: 58
; Occupancy: 16
; WaveLimiterHint : 0
; COMPUTE_PGM_RSRC2:SCRATCH_EN: 0
; COMPUTE_PGM_RSRC2:USER_SGPR: 6
; COMPUTE_PGM_RSRC2:TRAP_HANDLER: 0
; COMPUTE_PGM_RSRC2:TGID_X_EN: 1
; COMPUTE_PGM_RSRC2:TGID_Y_EN: 1
; COMPUTE_PGM_RSRC2:TGID_Z_EN: 1
; COMPUTE_PGM_RSRC2:TIDIG_COMP_CNT: 1
	.section	.text._ZN12_GLOBAL__N_127rocblas_gemm_batched_kernelIfLi16ELi16ELi64ELi64ELi4ELi64ELi4ELi4ELi64ELc84ELc78EKfS1_fEEvlllT_PT11_llS4_llS2_PT12_llPT13_lli,"axG",@progbits,_ZN12_GLOBAL__N_127rocblas_gemm_batched_kernelIfLi16ELi16ELi64ELi64ELi4ELi64ELi4ELi4ELi64ELc84ELc78EKfS1_fEEvlllT_PT11_llS4_llS2_PT12_llPT13_lli,comdat
	.globl	_ZN12_GLOBAL__N_127rocblas_gemm_batched_kernelIfLi16ELi16ELi64ELi64ELi4ELi64ELi4ELi4ELi64ELc84ELc78EKfS1_fEEvlllT_PT11_llS4_llS2_PT12_llPT13_lli ; -- Begin function _ZN12_GLOBAL__N_127rocblas_gemm_batched_kernelIfLi16ELi16ELi64ELi64ELi4ELi64ELi4ELi4ELi64ELc84ELc78EKfS1_fEEvlllT_PT11_llS4_llS2_PT12_llPT13_lli
	.p2align	8
	.type	_ZN12_GLOBAL__N_127rocblas_gemm_batched_kernelIfLi16ELi16ELi64ELi64ELi4ELi64ELi4ELi4ELi64ELc84ELc78EKfS1_fEEvlllT_PT11_llS4_llS2_PT12_llPT13_lli,@function
_ZN12_GLOBAL__N_127rocblas_gemm_batched_kernelIfLi16ELi16ELi64ELi64ELi4ELi64ELi4ELi4ELi64ELc84ELc78EKfS1_fEEvlllT_PT11_llS4_llS2_PT12_llPT13_lli: ; @_ZN12_GLOBAL__N_127rocblas_gemm_batched_kernelIfLi16ELi16ELi64ELi64ELi4ELi64ELi4ELi4ELi64ELc84ELc78EKfS1_fEEvlllT_PT11_llS4_llS2_PT12_llPT13_lli
; %bb.0:
	s_load_dwordx2 s[20:21], s[4:5], 0x10
	s_mov_b32 s0, s7
	v_mov_b32_e32 v19, 0
	v_mov_b32_e32 v21, 0
	;; [unrolled: 1-line block ×16, first 2 shown]
	s_ashr_i32 s7, s6, 31
	s_ashr_i32 s1, s0, 31
	s_waitcnt lgkmcnt(0)
	v_cmp_lt_i64_e64 s2, s[20:21], 1
	s_lshl_b64 s[6:7], s[6:7], 6
	s_lshl_b64 s[10:11], s[0:1], 6
	s_and_b32 vcc_lo, exec_lo, s2
	s_cbranch_vccnz .LBB32_3
; %bb.1:
	v_lshlrev_b32_e32 v7, 4, v1
	s_clause 0x1
	s_load_dwordx4 s[0:3], s[4:5], 0x40
	s_load_dwordx8 s[12:19], s[4:5], 0x20
	v_and_b32_e32 v3, 3, v0
	v_mov_b32_e32 v6, 0
	v_add_nc_u32_e32 v2, v7, v0
	v_add_nc_u32_e32 v25, 0x400, v7
	v_lshlrev_b32_e32 v24, 2, v0
	v_lshlrev_b32_e32 v8, 2, v3
	v_mov_b32_e32 v15, 0
	v_lshrrev_b32_e32 v4, 2, v2
	v_and_b32_e32 v3, 63, v2
	v_lshrrev_b32_e32 v10, 6, v2
	v_mov_b32_e32 v16, 0
	v_mov_b32_e32 v17, 0
	v_add_co_u32 v5, s9, v4, s10
	v_add_co_ci_u32_e64 v9, null, 0, s11, s9
	v_lshlrev_b32_e32 v11, 2, v3
	v_lshl_or_b32 v4, v4, 4, v8
	s_waitcnt lgkmcnt(0)
	v_mul_lo_u32 v12, s1, v5
	v_add_co_u32 v13, s1, s6, v3
	v_add_co_ci_u32_e64 v14, null, s7, 0, s1
	v_mul_lo_u32 v9, s0, v9
	v_mad_u64_u32 v[2:3], null, s0, v5, 0
	v_lshl_or_b32 v22, v10, 8, v11
	v_add_nc_u32_e32 v23, 0x400, v4
	v_mul_lo_u32 v11, s15, v13
	v_mul_lo_u32 v14, s14, v14
	v_mad_u64_u32 v[4:5], null, s14, v13, 0
	v_add3_u32 v3, v3, v9, v12
	s_mul_i32 s0, s3, s8
	s_mul_hi_u32 s1, s2, s8
	s_mul_hi_u32 s3, s16, s8
	s_add_i32 s1, s1, s0
	v_lshlrev_b64 v[2:3], 2, v[2:3]
	v_add3_u32 v5, v5, v14, v11
	s_mul_i32 s0, s2, s8
	s_mul_i32 s2, s17, s8
	s_lshl_b64 s[0:1], s[0:1], 2
	s_add_i32 s3, s3, s2
	v_lshlrev_b64 v[4:5], 2, v[4:5]
	s_mul_i32 s2, s16, s8
	v_add_co_u32 v2, vcc_lo, v2, s0
	v_add_co_ci_u32_e64 v3, null, s1, v3, vcc_lo
	s_lshl_b64 s[0:1], s[2:3], 2
	v_lshlrev_b32_e32 v7, 2, v10
	v_add_co_u32 v4, vcc_lo, v4, s0
	v_add_co_ci_u32_e64 v5, null, s1, v5, vcc_lo
	v_add_co_u32 v2, vcc_lo, v2, v8
	v_add_co_ci_u32_e64 v3, null, 0, v3, vcc_lo
	;; [unrolled: 2-line block ×5, first 2 shown]
	v_mov_b32_e32 v7, 0
	v_mov_b32_e32 v8, 0
	;; [unrolled: 1-line block ×12, first 2 shown]
	s_mov_b64 s[0:1], 0
.LBB32_2:                               ; =>This Inner Loop Header: Depth=1
	global_load_dword v26, v[4:5], off
	global_load_dword v27, v[2:3], off
	s_add_u32 s0, s0, 4
	s_addc_u32 s1, s1, 0
	v_add_co_u32 v2, vcc_lo, v2, 16
	v_cmp_lt_i64_e64 s2, s[0:1], s[20:21]
	v_add_co_ci_u32_e64 v3, null, 0, v3, vcc_lo
	v_add_co_u32 v4, vcc_lo, v4, 16
	v_add_co_ci_u32_e64 v5, null, 0, v5, vcc_lo
	s_and_b32 vcc_lo, exec_lo, s2
	s_waitcnt vmcnt(1)
	ds_write_b32 v22, v26
	s_waitcnt vmcnt(0)
	ds_write_b32 v23, v27
	s_waitcnt lgkmcnt(0)
	s_barrier
	buffer_gl0_inv
	ds_read_b128 v[26:29], v25
	ds_read2_b32 v[42:43], v24 offset1:16
	ds_read2_b32 v[44:45], v24 offset0:32 offset1:48
	ds_read_b128 v[30:33], v25 offset:256
	ds_read_b128 v[34:37], v25 offset:512
	;; [unrolled: 1-line block ×3, first 2 shown]
	ds_read2_b32 v[46:47], v24 offset0:64 offset1:80
	ds_read2_b32 v[48:49], v24 offset0:96 offset1:112
	;; [unrolled: 1-line block ×6, first 2 shown]
	s_waitcnt lgkmcnt(0)
	s_barrier
	buffer_gl0_inv
	v_fmac_f32_e32 v19, v42, v26
	v_fmac_f32_e32 v21, v43, v26
	;; [unrolled: 1-line block ×64, first 2 shown]
	s_cbranch_vccnz .LBB32_2
.LBB32_3:
	s_clause 0x3
	s_load_dwordx4 s[0:3], s[4:5], 0x78
	s_load_dword s9, s[4:5], 0x50
	s_load_dwordx8 s[12:19], s[4:5], 0x58
	s_load_dword s4, s[4:5], 0x18
	v_add_co_u32 v3, s5, s6, v0
	v_add_co_ci_u32_e64 v4, null, s7, 0, s5
	v_add_co_u32 v2, s5, s10, v1
	v_add_co_ci_u32_e64 v5, null, s11, 0, s5
	v_lshlrev_b64 v[0:1], 2, v[3:4]
	s_waitcnt lgkmcnt(0)
	s_mul_i32 s3, s3, s8
	s_mul_hi_u32 s5, s2, s8
	v_mul_lo_u32 v3, v5, s0
	v_mul_lo_u32 v4, v2, s1
	s_mul_i32 s2, s2, s8
	v_cmp_neq_f32_e64 s6, s9, 0
	s_add_i32 s3, s5, s3
	s_mov_b32 s5, 0
	s_lshl_b64 s[2:3], s[2:3], 2
	s_add_u32 s2, s18, s2
	s_addc_u32 s3, s19, s3
	s_and_b32 vcc_lo, exec_lo, s6
	s_cbranch_vccnz .LBB32_7
; %bb.4:
	v_mad_u64_u32 v[22:23], null, v2, s0, 0
	s_lshl_b64 s[6:7], s[0:1], 6
	v_mul_f32_e32 v26, s4, v19
	v_mul_f32_e32 v27, s4, v21
	;; [unrolled: 1-line block ×5, first 2 shown]
	v_add3_u32 v23, v23, v4, v3
	v_mul_f32_e32 v31, s4, v16
	v_mul_f32_e32 v32, s4, v15
	;; [unrolled: 1-line block ×3, first 2 shown]
	v_lshlrev_b64 v[22:23], 2, v[22:23]
	v_add_co_u32 v22, vcc_lo, s2, v22
	v_add_co_ci_u32_e64 v23, null, s3, v23, vcc_lo
	v_add_co_u32 v34, vcc_lo, v22, s6
	v_add_co_ci_u32_e64 v35, null, s7, v23, vcc_lo
	;; [unrolled: 2-line block ×4, first 2 shown]
	global_store_dword v[22:23], v26, off
	global_store_dword v[22:23], v27, off offset:64
	global_store_dword v[22:23], v28, off offset:128
	;; [unrolled: 1-line block ×3, first 2 shown]
	global_store_dword v[24:25], v30, off
	global_store_dword v[24:25], v31, off offset:64
	v_add_co_u32 v26, vcc_lo, v34, s6
	v_add_co_ci_u32_e64 v27, null, s7, v35, vcc_lo
	v_mul_f32_e32 v28, s4, v13
	v_add_co_u32 v22, vcc_lo, v26, v0
	v_add_co_ci_u32_e64 v23, null, v27, v1, vcc_lo
	v_mul_f32_e32 v29, s4, v12
	v_mul_f32_e32 v30, s4, v11
	global_store_dword v[24:25], v32, off offset:128
	global_store_dword v[24:25], v33, off offset:192
	global_store_dword v[22:23], v28, off
	global_store_dword v[22:23], v29, off offset:64
	global_store_dword v[22:23], v30, off offset:128
	v_add_co_u32 v24, vcc_lo, v26, s6
	v_add_co_ci_u32_e64 v25, null, s7, v27, vcc_lo
	v_mul_f32_e32 v28, s4, v10
	v_add_co_u32 v24, vcc_lo, v24, v0
	v_mul_f32_e32 v26, s4, v9
	v_add_co_ci_u32_e64 v25, null, v25, v1, vcc_lo
	v_mul_f32_e32 v27, s4, v8
	v_mul_f32_e32 v29, s4, v7
	;; [unrolled: 1-line block ×3, first 2 shown]
	global_store_dword v[22:23], v28, off offset:192
	global_store_dword v[24:25], v26, off
	global_store_dword v[24:25], v27, off offset:64
	global_store_dword v[24:25], v29, off offset:128
	global_store_dword v[24:25], v30, off offset:192
	s_andn2_b32 vcc_lo, exec_lo, s5
	s_cbranch_vccnz .LBB32_6
.LBB32_5:
	v_mul_lo_u32 v5, v5, s14
	v_mul_lo_u32 v24, v2, s15
	v_mad_u64_u32 v[22:23], null, v2, s14, 0
	s_mul_i32 s5, s17, s8
	s_mul_hi_u32 s7, s16, s8
	s_mul_i32 s6, s16, s8
	s_add_i32 s7, s7, s5
	s_lshl_b64 s[6:7], s[6:7], 2
	v_add3_u32 v23, v23, v24, v5
	s_add_u32 s5, s12, s6
	s_addc_u32 s6, s13, s7
	v_mad_u64_u32 v[24:25], null, v2, s0, 0
	v_lshlrev_b64 v[22:23], 2, v[22:23]
	s_lshl_b64 s[0:1], s[0:1], 6
	v_add3_u32 v25, v25, v4, v3
	v_add_co_u32 v5, vcc_lo, s5, v22
	v_add_co_ci_u32_e64 v26, null, s6, v23, vcc_lo
	v_lshlrev_b64 v[2:3], 2, v[24:25]
	v_add_co_u32 v22, vcc_lo, v5, v0
	v_add_co_ci_u32_e64 v23, null, v26, v1, vcc_lo
	v_add_co_u32 v24, vcc_lo, s2, v2
	global_load_dword v27, v[22:23], off
	v_add_co_ci_u32_e64 v25, null, s3, v3, vcc_lo
	v_add_co_u32 v2, vcc_lo, v24, v0
	s_lshl_b64 s[2:3], s[14:15], 6
	v_add_co_ci_u32_e64 v3, null, v25, v1, vcc_lo
	s_waitcnt vmcnt(0)
	v_mul_f32_e32 v4, s9, v27
	v_fmac_f32_e32 v4, s4, v19
	global_store_dword v[2:3], v4, off
	global_load_dword v4, v[22:23], off offset:64
	s_waitcnt vmcnt(0)
	v_mul_f32_e32 v4, s9, v4
	v_fmac_f32_e32 v4, s4, v21
	global_store_dword v[2:3], v4, off offset:64
	global_load_dword v4, v[22:23], off offset:128
	s_waitcnt vmcnt(0)
	v_mul_f32_e32 v4, s9, v4
	v_fmac_f32_e32 v4, s4, v20
	v_add_co_u32 v20, vcc_lo, v5, s2
	v_add_co_ci_u32_e64 v21, null, s3, v26, vcc_lo
	global_store_dword v[2:3], v4, off offset:128
	global_load_dword v4, v[22:23], off offset:192
	s_waitcnt vmcnt(0)
	v_mul_f32_e32 v19, s9, v4
	v_add_co_u32 v4, vcc_lo, v20, v0
	v_add_co_ci_u32_e64 v5, null, v21, v1, vcc_lo
	v_fmac_f32_e32 v19, s4, v18
	v_add_co_u32 v18, vcc_lo, v24, s0
	global_store_dword v[2:3], v19, off offset:192
	global_load_dword v2, v[4:5], off
	v_add_co_ci_u32_e64 v19, null, s1, v25, vcc_lo
	s_waitcnt vmcnt(0)
	v_mul_f32_e32 v22, s9, v2
	v_add_co_u32 v2, vcc_lo, v18, v0
	v_add_co_ci_u32_e64 v3, null, v19, v1, vcc_lo
	v_fmac_f32_e32 v22, s4, v17
	global_store_dword v[2:3], v22, off
	global_load_dword v17, v[4:5], off offset:64
	s_waitcnt vmcnt(0)
	v_mul_f32_e32 v17, s9, v17
	v_fmac_f32_e32 v17, s4, v16
	global_store_dword v[2:3], v17, off offset:64
	global_load_dword v16, v[4:5], off offset:128
	s_waitcnt vmcnt(0)
	v_mul_f32_e32 v16, s9, v16
	v_fmac_f32_e32 v16, s4, v15
	global_store_dword v[2:3], v16, off offset:128
	global_load_dword v4, v[4:5], off offset:192
	v_add_co_u32 v16, vcc_lo, v20, s2
	v_add_co_ci_u32_e64 v17, null, s3, v21, vcc_lo
	s_waitcnt vmcnt(0)
	v_mul_f32_e32 v15, s9, v4
	v_add_co_u32 v4, vcc_lo, v16, v0
	v_add_co_ci_u32_e64 v5, null, v17, v1, vcc_lo
	v_fmac_f32_e32 v15, s4, v14
	v_add_co_u32 v14, vcc_lo, v18, s0
	global_store_dword v[2:3], v15, off offset:192
	global_load_dword v2, v[4:5], off
	v_add_co_ci_u32_e64 v15, null, s1, v19, vcc_lo
	s_waitcnt vmcnt(0)
	v_mul_f32_e32 v18, s9, v2
	v_add_co_u32 v2, vcc_lo, v14, v0
	v_add_co_ci_u32_e64 v3, null, v15, v1, vcc_lo
	v_fmac_f32_e32 v18, s4, v13
	global_store_dword v[2:3], v18, off
	global_load_dword v13, v[4:5], off offset:64
	s_waitcnt vmcnt(0)
	v_mul_f32_e32 v13, s9, v13
	v_fmac_f32_e32 v13, s4, v12
	global_store_dword v[2:3], v13, off offset:64
	global_load_dword v12, v[4:5], off offset:128
	s_waitcnt vmcnt(0)
	v_mul_f32_e32 v12, s9, v12
	v_fmac_f32_e32 v12, s4, v11
	global_store_dword v[2:3], v12, off offset:128
	global_load_dword v4, v[4:5], off offset:192
	s_waitcnt vmcnt(0)
	v_mul_f32_e32 v11, s9, v4
	v_add_co_u32 v4, vcc_lo, v16, s2
	v_add_co_ci_u32_e64 v5, null, s3, v17, vcc_lo
	v_fmac_f32_e32 v11, s4, v10
	v_add_co_u32 v4, vcc_lo, v4, v0
	v_add_co_ci_u32_e64 v5, null, v5, v1, vcc_lo
	global_store_dword v[2:3], v11, off offset:192
	v_add_co_u32 v3, vcc_lo, v14, s0
	global_load_dword v2, v[4:5], off
	v_add_co_ci_u32_e64 v10, null, s1, v15, vcc_lo
	v_add_co_u32 v0, vcc_lo, v3, v0
	v_add_co_ci_u32_e64 v1, null, v10, v1, vcc_lo
	s_waitcnt vmcnt(0)
	v_mul_f32_e32 v2, s9, v2
	v_fmac_f32_e32 v2, s4, v9
	global_store_dword v[0:1], v2, off
	global_load_dword v2, v[4:5], off offset:64
	s_waitcnt vmcnt(0)
	v_mul_f32_e32 v2, s9, v2
	v_fmac_f32_e32 v2, s4, v8
	global_store_dword v[0:1], v2, off offset:64
	global_load_dword v2, v[4:5], off offset:128
	s_waitcnt vmcnt(0)
	v_mul_f32_e32 v2, s9, v2
	v_fmac_f32_e32 v2, s4, v7
	global_store_dword v[0:1], v2, off offset:128
	;; [unrolled: 5-line block ×3, first 2 shown]
.LBB32_6:
	s_endpgm
.LBB32_7:
	s_branch .LBB32_5
	.section	.rodata,"a",@progbits
	.p2align	6, 0x0
	.amdhsa_kernel _ZN12_GLOBAL__N_127rocblas_gemm_batched_kernelIfLi16ELi16ELi64ELi64ELi4ELi64ELi4ELi4ELi64ELc84ELc78EKfS1_fEEvlllT_PT11_llS4_llS2_PT12_llPT13_lli
		.amdhsa_group_segment_fixed_size 2048
		.amdhsa_private_segment_fixed_size 0
		.amdhsa_kernarg_size 140
		.amdhsa_user_sgpr_count 6
		.amdhsa_user_sgpr_private_segment_buffer 1
		.amdhsa_user_sgpr_dispatch_ptr 0
		.amdhsa_user_sgpr_queue_ptr 0
		.amdhsa_user_sgpr_kernarg_segment_ptr 1
		.amdhsa_user_sgpr_dispatch_id 0
		.amdhsa_user_sgpr_flat_scratch_init 0
		.amdhsa_user_sgpr_private_segment_size 0
		.amdhsa_wavefront_size32 1
		.amdhsa_uses_dynamic_stack 0
		.amdhsa_system_sgpr_private_segment_wavefront_offset 0
		.amdhsa_system_sgpr_workgroup_id_x 1
		.amdhsa_system_sgpr_workgroup_id_y 1
		.amdhsa_system_sgpr_workgroup_id_z 1
		.amdhsa_system_sgpr_workgroup_info 0
		.amdhsa_system_vgpr_workitem_id 1
		.amdhsa_next_free_vgpr 58
		.amdhsa_next_free_sgpr 22
		.amdhsa_reserve_vcc 1
		.amdhsa_reserve_flat_scratch 0
		.amdhsa_float_round_mode_32 0
		.amdhsa_float_round_mode_16_64 0
		.amdhsa_float_denorm_mode_32 3
		.amdhsa_float_denorm_mode_16_64 3
		.amdhsa_dx10_clamp 1
		.amdhsa_ieee_mode 1
		.amdhsa_fp16_overflow 0
		.amdhsa_workgroup_processor_mode 1
		.amdhsa_memory_ordered 1
		.amdhsa_forward_progress 1
		.amdhsa_shared_vgpr_count 0
		.amdhsa_exception_fp_ieee_invalid_op 0
		.amdhsa_exception_fp_denorm_src 0
		.amdhsa_exception_fp_ieee_div_zero 0
		.amdhsa_exception_fp_ieee_overflow 0
		.amdhsa_exception_fp_ieee_underflow 0
		.amdhsa_exception_fp_ieee_inexact 0
		.amdhsa_exception_int_div_zero 0
	.end_amdhsa_kernel
	.section	.text._ZN12_GLOBAL__N_127rocblas_gemm_batched_kernelIfLi16ELi16ELi64ELi64ELi4ELi64ELi4ELi4ELi64ELc84ELc78EKfS1_fEEvlllT_PT11_llS4_llS2_PT12_llPT13_lli,"axG",@progbits,_ZN12_GLOBAL__N_127rocblas_gemm_batched_kernelIfLi16ELi16ELi64ELi64ELi4ELi64ELi4ELi4ELi64ELc84ELc78EKfS1_fEEvlllT_PT11_llS4_llS2_PT12_llPT13_lli,comdat
.Lfunc_end32:
	.size	_ZN12_GLOBAL__N_127rocblas_gemm_batched_kernelIfLi16ELi16ELi64ELi64ELi4ELi64ELi4ELi4ELi64ELc84ELc78EKfS1_fEEvlllT_PT11_llS4_llS2_PT12_llPT13_lli, .Lfunc_end32-_ZN12_GLOBAL__N_127rocblas_gemm_batched_kernelIfLi16ELi16ELi64ELi64ELi4ELi64ELi4ELi4ELi64ELc84ELc78EKfS1_fEEvlllT_PT11_llS4_llS2_PT12_llPT13_lli
                                        ; -- End function
	.set _ZN12_GLOBAL__N_127rocblas_gemm_batched_kernelIfLi16ELi16ELi64ELi64ELi4ELi64ELi4ELi4ELi64ELc84ELc78EKfS1_fEEvlllT_PT11_llS4_llS2_PT12_llPT13_lli.num_vgpr, 58
	.set _ZN12_GLOBAL__N_127rocblas_gemm_batched_kernelIfLi16ELi16ELi64ELi64ELi4ELi64ELi4ELi4ELi64ELc84ELc78EKfS1_fEEvlllT_PT11_llS4_llS2_PT12_llPT13_lli.num_agpr, 0
	.set _ZN12_GLOBAL__N_127rocblas_gemm_batched_kernelIfLi16ELi16ELi64ELi64ELi4ELi64ELi4ELi4ELi64ELc84ELc78EKfS1_fEEvlllT_PT11_llS4_llS2_PT12_llPT13_lli.numbered_sgpr, 22
	.set _ZN12_GLOBAL__N_127rocblas_gemm_batched_kernelIfLi16ELi16ELi64ELi64ELi4ELi64ELi4ELi4ELi64ELc84ELc78EKfS1_fEEvlllT_PT11_llS4_llS2_PT12_llPT13_lli.num_named_barrier, 0
	.set _ZN12_GLOBAL__N_127rocblas_gemm_batched_kernelIfLi16ELi16ELi64ELi64ELi4ELi64ELi4ELi4ELi64ELc84ELc78EKfS1_fEEvlllT_PT11_llS4_llS2_PT12_llPT13_lli.private_seg_size, 0
	.set _ZN12_GLOBAL__N_127rocblas_gemm_batched_kernelIfLi16ELi16ELi64ELi64ELi4ELi64ELi4ELi4ELi64ELc84ELc78EKfS1_fEEvlllT_PT11_llS4_llS2_PT12_llPT13_lli.uses_vcc, 1
	.set _ZN12_GLOBAL__N_127rocblas_gemm_batched_kernelIfLi16ELi16ELi64ELi64ELi4ELi64ELi4ELi4ELi64ELc84ELc78EKfS1_fEEvlllT_PT11_llS4_llS2_PT12_llPT13_lli.uses_flat_scratch, 0
	.set _ZN12_GLOBAL__N_127rocblas_gemm_batched_kernelIfLi16ELi16ELi64ELi64ELi4ELi64ELi4ELi4ELi64ELc84ELc78EKfS1_fEEvlllT_PT11_llS4_llS2_PT12_llPT13_lli.has_dyn_sized_stack, 0
	.set _ZN12_GLOBAL__N_127rocblas_gemm_batched_kernelIfLi16ELi16ELi64ELi64ELi4ELi64ELi4ELi4ELi64ELc84ELc78EKfS1_fEEvlllT_PT11_llS4_llS2_PT12_llPT13_lli.has_recursion, 0
	.set _ZN12_GLOBAL__N_127rocblas_gemm_batched_kernelIfLi16ELi16ELi64ELi64ELi4ELi64ELi4ELi4ELi64ELc84ELc78EKfS1_fEEvlllT_PT11_llS4_llS2_PT12_llPT13_lli.has_indirect_call, 0
	.section	.AMDGPU.csdata,"",@progbits
; Kernel info:
; codeLenInByte = 2316
; TotalNumSgprs: 24
; NumVgprs: 58
; ScratchSize: 0
; MemoryBound: 0
; FloatMode: 240
; IeeeMode: 1
; LDSByteSize: 2048 bytes/workgroup (compile time only)
; SGPRBlocks: 0
; VGPRBlocks: 7
; NumSGPRsForWavesPerEU: 24
; NumVGPRsForWavesPerEU: 58
; Occupancy: 16
; WaveLimiterHint : 0
; COMPUTE_PGM_RSRC2:SCRATCH_EN: 0
; COMPUTE_PGM_RSRC2:USER_SGPR: 6
; COMPUTE_PGM_RSRC2:TRAP_HANDLER: 0
; COMPUTE_PGM_RSRC2:TGID_X_EN: 1
; COMPUTE_PGM_RSRC2:TGID_Y_EN: 1
; COMPUTE_PGM_RSRC2:TGID_Z_EN: 1
; COMPUTE_PGM_RSRC2:TIDIG_COMP_CNT: 1
	.section	.text._ZN12_GLOBAL__N_127rocblas_gemm_batched_kernelIfLi16ELi16ELi64ELi64ELi4ELi64ELi4ELi4ELi64ELc78ELc84EKfS1_fEEvlllT_PT11_llS4_llS2_PT12_llPT13_lli,"axG",@progbits,_ZN12_GLOBAL__N_127rocblas_gemm_batched_kernelIfLi16ELi16ELi64ELi64ELi4ELi64ELi4ELi4ELi64ELc78ELc84EKfS1_fEEvlllT_PT11_llS4_llS2_PT12_llPT13_lli,comdat
	.globl	_ZN12_GLOBAL__N_127rocblas_gemm_batched_kernelIfLi16ELi16ELi64ELi64ELi4ELi64ELi4ELi4ELi64ELc78ELc84EKfS1_fEEvlllT_PT11_llS4_llS2_PT12_llPT13_lli ; -- Begin function _ZN12_GLOBAL__N_127rocblas_gemm_batched_kernelIfLi16ELi16ELi64ELi64ELi4ELi64ELi4ELi4ELi64ELc78ELc84EKfS1_fEEvlllT_PT11_llS4_llS2_PT12_llPT13_lli
	.p2align	8
	.type	_ZN12_GLOBAL__N_127rocblas_gemm_batched_kernelIfLi16ELi16ELi64ELi64ELi4ELi64ELi4ELi4ELi64ELc78ELc84EKfS1_fEEvlllT_PT11_llS4_llS2_PT12_llPT13_lli,@function
_ZN12_GLOBAL__N_127rocblas_gemm_batched_kernelIfLi16ELi16ELi64ELi64ELi4ELi64ELi4ELi4ELi64ELc78ELc84EKfS1_fEEvlllT_PT11_llS4_llS2_PT12_llPT13_lli: ; @_ZN12_GLOBAL__N_127rocblas_gemm_batched_kernelIfLi16ELi16ELi64ELi64ELi4ELi64ELi4ELi4ELi64ELc78ELc84EKfS1_fEEvlllT_PT11_llS4_llS2_PT12_llPT13_lli
; %bb.0:
	s_load_dwordx2 s[20:21], s[4:5], 0x10
	s_mov_b32 s0, s7
	v_mov_b32_e32 v19, 0
	v_mov_b32_e32 v21, 0
	;; [unrolled: 1-line block ×16, first 2 shown]
	s_ashr_i32 s7, s6, 31
	s_ashr_i32 s1, s0, 31
	s_waitcnt lgkmcnt(0)
	v_cmp_lt_i64_e64 s2, s[20:21], 1
	s_lshl_b64 s[6:7], s[6:7], 6
	s_lshl_b64 s[10:11], s[0:1], 6
	s_and_b32 vcc_lo, exec_lo, s2
	s_cbranch_vccnz .LBB33_3
; %bb.1:
	v_lshlrev_b32_e32 v4, 4, v1
	s_clause 0x1
	s_load_dwordx4 s[0:3], s[4:5], 0x40
	s_load_dwordx8 s[12:19], s[4:5], 0x20
	v_and_b32_e32 v8, 3, v0
	v_lshlrev_b32_e32 v22, 2, v0
	v_add_nc_u32_e32 v3, v4, v0
	v_add_nc_u32_e32 v23, 0x400, v4
	v_lshlrev_b32_e32 v5, 2, v8
	v_lshrrev_b32_e32 v2, 2, v3
	v_and_b32_e32 v10, 63, v3
	v_lshrrev_b32_e32 v9, 6, v3
	v_mov_b32_e32 v3, 0
	v_lshl_or_b32 v5, v2, 4, v5
	v_lshlrev_b32_e32 v6, 2, v10
	v_mov_b32_e32 v11, v3
	v_mov_b32_e32 v12, v3
	v_add_nc_u32_e32 v25, 0x400, v5
	s_waitcnt lgkmcnt(0)
	v_mad_u64_u32 v[4:5], null, s0, v8, v[2:3]
	v_lshl_or_b32 v24, v9, 8, v6
	v_mad_u64_u32 v[6:7], null, s14, v9, s[6:7]
	s_mul_i32 s3, s3, s8
	s_mul_hi_u32 s9, s2, s8
	s_mul_i32 s2, s2, s8
	v_mov_b32_e32 v2, v5
	v_add_co_u32 v4, vcc_lo, v4, s10
	v_mov_b32_e32 v5, v7
	s_add_i32 s3, s9, s3
	v_mad_u64_u32 v[7:8], null, s1, v8, v[2:3]
	s_lshl_b64 s[2:3], s[2:3], 2
	v_mad_u64_u32 v[8:9], null, s15, v9, v[5:6]
	s_mul_i32 s17, s17, s8
	s_mul_hi_u32 s22, s16, s8
	s_add_u32 s9, s18, s2
	v_add_co_ci_u32_e64 v5, null, s11, v7, vcc_lo
	v_add_co_u32 v6, vcc_lo, v6, v10
	v_add_co_ci_u32_e64 v7, null, 0, v8, vcc_lo
	v_lshlrev_b64 v[4:5], 2, v[4:5]
	s_mul_i32 s16, s16, s8
	s_addc_u32 s18, s19, s3
	s_add_i32 s17, s22, s17
	v_lshlrev_b64 v[6:7], 2, v[6:7]
	s_lshl_b64 s[2:3], s[16:17], 2
	s_lshl_b64 s[0:1], s[0:1], 4
	v_add_co_u32 v4, vcc_lo, s9, v4
	s_add_u32 s2, s12, s2
	v_add_co_ci_u32_e64 v5, null, s18, v5, vcc_lo
	s_addc_u32 s3, s13, s3
	v_add_co_u32 v6, vcc_lo, s2, v6
	v_add_co_ci_u32_e64 v7, null, s3, v7, vcc_lo
	v_mov_b32_e32 v2, v3
	v_mov_b32_e32 v8, v3
	;; [unrolled: 1-line block ×13, first 2 shown]
	s_lshl_b64 s[2:3], s[14:15], 4
	s_mov_b64 s[12:13], 0
.LBB33_2:                               ; =>This Inner Loop Header: Depth=1
	global_load_dword v26, v[6:7], off
	global_load_dword v27, v[4:5], off
	s_add_u32 s12, s12, 4
	s_addc_u32 s13, s13, 0
	v_add_co_u32 v4, vcc_lo, v4, s0
	v_cmp_lt_i64_e64 s9, s[12:13], s[20:21]
	v_add_co_ci_u32_e64 v5, null, s1, v5, vcc_lo
	v_add_co_u32 v6, vcc_lo, v6, s2
	v_add_co_ci_u32_e64 v7, null, s3, v7, vcc_lo
	s_and_b32 vcc_lo, exec_lo, s9
	s_waitcnt vmcnt(1)
	ds_write_b32 v24, v26
	s_waitcnt vmcnt(0)
	ds_write_b32 v25, v27
	s_waitcnt lgkmcnt(0)
	s_barrier
	buffer_gl0_inv
	ds_read_b128 v[26:29], v23
	ds_read2_b32 v[42:43], v22 offset1:16
	ds_read2_b32 v[44:45], v22 offset0:32 offset1:48
	ds_read_b128 v[30:33], v23 offset:256
	ds_read_b128 v[34:37], v23 offset:512
	;; [unrolled: 1-line block ×3, first 2 shown]
	ds_read2_b32 v[46:47], v22 offset0:64 offset1:80
	ds_read2_b32 v[48:49], v22 offset0:96 offset1:112
	;; [unrolled: 1-line block ×6, first 2 shown]
	s_waitcnt lgkmcnt(0)
	s_barrier
	buffer_gl0_inv
	v_fmac_f32_e32 v19, v42, v26
	v_fmac_f32_e32 v21, v43, v26
	;; [unrolled: 1-line block ×64, first 2 shown]
	s_cbranch_vccnz .LBB33_2
.LBB33_3:
	s_clause 0x3
	s_load_dwordx4 s[0:3], s[4:5], 0x78
	s_load_dword s9, s[4:5], 0x50
	s_load_dwordx8 s[12:19], s[4:5], 0x58
	s_load_dword s4, s[4:5], 0x18
	v_add_co_u32 v5, s5, s6, v0
	v_add_co_ci_u32_e64 v6, null, s7, 0, s5
	v_add_co_u32 v4, s5, s10, v1
	v_add_co_ci_u32_e64 v7, null, s11, 0, s5
	v_lshlrev_b64 v[0:1], 2, v[5:6]
	s_waitcnt lgkmcnt(0)
	s_mul_i32 s3, s3, s8
	s_mul_hi_u32 s5, s2, s8
	v_mul_lo_u32 v5, v7, s0
	v_mul_lo_u32 v6, v4, s1
	s_mul_i32 s2, s2, s8
	v_cmp_neq_f32_e64 s6, s9, 0
	s_add_i32 s3, s5, s3
	s_mov_b32 s5, 0
	s_lshl_b64 s[2:3], s[2:3], 2
	s_add_u32 s2, s18, s2
	s_addc_u32 s3, s19, s3
	s_and_b32 vcc_lo, exec_lo, s6
	s_cbranch_vccnz .LBB33_7
; %bb.4:
	v_mad_u64_u32 v[22:23], null, v4, s0, 0
	s_lshl_b64 s[6:7], s[0:1], 6
	v_mul_f32_e32 v26, s4, v19
	v_mul_f32_e32 v27, s4, v21
	;; [unrolled: 1-line block ×5, first 2 shown]
	v_add3_u32 v23, v23, v6, v5
	v_mul_f32_e32 v31, s4, v16
	v_mul_f32_e32 v32, s4, v15
	;; [unrolled: 1-line block ×3, first 2 shown]
	v_lshlrev_b64 v[22:23], 2, v[22:23]
	v_add_co_u32 v22, vcc_lo, s2, v22
	v_add_co_ci_u32_e64 v23, null, s3, v23, vcc_lo
	v_add_co_u32 v34, vcc_lo, v22, s6
	v_add_co_ci_u32_e64 v35, null, s7, v23, vcc_lo
	;; [unrolled: 2-line block ×4, first 2 shown]
	global_store_dword v[22:23], v26, off
	global_store_dword v[22:23], v27, off offset:64
	global_store_dword v[22:23], v28, off offset:128
	;; [unrolled: 1-line block ×3, first 2 shown]
	global_store_dword v[24:25], v30, off
	global_store_dword v[24:25], v31, off offset:64
	v_add_co_u32 v26, vcc_lo, v34, s6
	v_add_co_ci_u32_e64 v27, null, s7, v35, vcc_lo
	v_mul_f32_e32 v28, s4, v13
	v_add_co_u32 v22, vcc_lo, v26, v0
	v_add_co_ci_u32_e64 v23, null, v27, v1, vcc_lo
	v_mul_f32_e32 v29, s4, v12
	v_mul_f32_e32 v30, s4, v11
	global_store_dword v[24:25], v32, off offset:128
	global_store_dword v[24:25], v33, off offset:192
	global_store_dword v[22:23], v28, off
	global_store_dword v[22:23], v29, off offset:64
	global_store_dword v[22:23], v30, off offset:128
	v_add_co_u32 v24, vcc_lo, v26, s6
	v_add_co_ci_u32_e64 v25, null, s7, v27, vcc_lo
	v_mul_f32_e32 v28, s4, v10
	v_add_co_u32 v24, vcc_lo, v24, v0
	v_mul_f32_e32 v26, s4, v9
	v_add_co_ci_u32_e64 v25, null, v25, v1, vcc_lo
	v_mul_f32_e32 v27, s4, v8
	v_mul_f32_e32 v29, s4, v2
	;; [unrolled: 1-line block ×3, first 2 shown]
	global_store_dword v[22:23], v28, off offset:192
	global_store_dword v[24:25], v26, off
	global_store_dword v[24:25], v27, off offset:64
	global_store_dword v[24:25], v29, off offset:128
	;; [unrolled: 1-line block ×3, first 2 shown]
	s_andn2_b32 vcc_lo, exec_lo, s5
	s_cbranch_vccnz .LBB33_6
.LBB33_5:
	v_mul_lo_u32 v7, v7, s14
	v_mul_lo_u32 v24, v4, s15
	v_mad_u64_u32 v[22:23], null, v4, s14, 0
	s_mul_i32 s5, s17, s8
	s_mul_hi_u32 s7, s16, s8
	s_mul_i32 s6, s16, s8
	s_add_i32 s7, s7, s5
	s_lshl_b64 s[6:7], s[6:7], 2
	v_add3_u32 v23, v23, v24, v7
	s_add_u32 s5, s12, s6
	s_addc_u32 s6, s13, s7
	v_mad_u64_u32 v[24:25], null, v4, s0, 0
	v_lshlrev_b64 v[22:23], 2, v[22:23]
	s_lshl_b64 s[0:1], s[0:1], 6
	v_add3_u32 v25, v25, v6, v5
	v_add_co_u32 v7, vcc_lo, s5, v22
	v_add_co_ci_u32_e64 v26, null, s6, v23, vcc_lo
	v_lshlrev_b64 v[4:5], 2, v[24:25]
	v_add_co_u32 v22, vcc_lo, v7, v0
	v_add_co_ci_u32_e64 v23, null, v26, v1, vcc_lo
	v_add_co_u32 v24, vcc_lo, s2, v4
	global_load_dword v27, v[22:23], off
	v_add_co_ci_u32_e64 v25, null, s3, v5, vcc_lo
	v_add_co_u32 v4, vcc_lo, v24, v0
	s_lshl_b64 s[2:3], s[14:15], 6
	v_add_co_ci_u32_e64 v5, null, v25, v1, vcc_lo
	s_waitcnt vmcnt(0)
	v_mul_f32_e32 v6, s9, v27
	v_fmac_f32_e32 v6, s4, v19
	global_store_dword v[4:5], v6, off
	global_load_dword v6, v[22:23], off offset:64
	s_waitcnt vmcnt(0)
	v_mul_f32_e32 v6, s9, v6
	v_fmac_f32_e32 v6, s4, v21
	global_store_dword v[4:5], v6, off offset:64
	global_load_dword v6, v[22:23], off offset:128
	s_waitcnt vmcnt(0)
	v_mul_f32_e32 v6, s9, v6
	v_fmac_f32_e32 v6, s4, v20
	v_add_co_u32 v20, vcc_lo, v7, s2
	v_add_co_ci_u32_e64 v21, null, s3, v26, vcc_lo
	global_store_dword v[4:5], v6, off offset:128
	global_load_dword v6, v[22:23], off offset:192
	s_waitcnt vmcnt(0)
	v_mul_f32_e32 v19, s9, v6
	v_add_co_u32 v6, vcc_lo, v20, v0
	v_add_co_ci_u32_e64 v7, null, v21, v1, vcc_lo
	v_fmac_f32_e32 v19, s4, v18
	v_add_co_u32 v18, vcc_lo, v24, s0
	global_store_dword v[4:5], v19, off offset:192
	global_load_dword v4, v[6:7], off
	v_add_co_ci_u32_e64 v19, null, s1, v25, vcc_lo
	s_waitcnt vmcnt(0)
	v_mul_f32_e32 v22, s9, v4
	v_add_co_u32 v4, vcc_lo, v18, v0
	v_add_co_ci_u32_e64 v5, null, v19, v1, vcc_lo
	v_fmac_f32_e32 v22, s4, v17
	global_store_dword v[4:5], v22, off
	global_load_dword v17, v[6:7], off offset:64
	s_waitcnt vmcnt(0)
	v_mul_f32_e32 v17, s9, v17
	v_fmac_f32_e32 v17, s4, v16
	global_store_dword v[4:5], v17, off offset:64
	global_load_dword v16, v[6:7], off offset:128
	s_waitcnt vmcnt(0)
	v_mul_f32_e32 v16, s9, v16
	v_fmac_f32_e32 v16, s4, v15
	global_store_dword v[4:5], v16, off offset:128
	global_load_dword v6, v[6:7], off offset:192
	v_add_co_u32 v16, vcc_lo, v20, s2
	v_add_co_ci_u32_e64 v17, null, s3, v21, vcc_lo
	s_waitcnt vmcnt(0)
	v_mul_f32_e32 v15, s9, v6
	v_add_co_u32 v6, vcc_lo, v16, v0
	v_add_co_ci_u32_e64 v7, null, v17, v1, vcc_lo
	v_fmac_f32_e32 v15, s4, v14
	v_add_co_u32 v14, vcc_lo, v18, s0
	global_store_dword v[4:5], v15, off offset:192
	global_load_dword v4, v[6:7], off
	v_add_co_ci_u32_e64 v15, null, s1, v19, vcc_lo
	s_waitcnt vmcnt(0)
	v_mul_f32_e32 v18, s9, v4
	v_add_co_u32 v4, vcc_lo, v14, v0
	v_add_co_ci_u32_e64 v5, null, v15, v1, vcc_lo
	v_fmac_f32_e32 v18, s4, v13
	global_store_dword v[4:5], v18, off
	global_load_dword v13, v[6:7], off offset:64
	s_waitcnt vmcnt(0)
	v_mul_f32_e32 v13, s9, v13
	v_fmac_f32_e32 v13, s4, v12
	global_store_dword v[4:5], v13, off offset:64
	global_load_dword v12, v[6:7], off offset:128
	s_waitcnt vmcnt(0)
	v_mul_f32_e32 v12, s9, v12
	v_fmac_f32_e32 v12, s4, v11
	global_store_dword v[4:5], v12, off offset:128
	global_load_dword v6, v[6:7], off offset:192
	s_waitcnt vmcnt(0)
	v_mul_f32_e32 v11, s9, v6
	v_add_co_u32 v6, vcc_lo, v16, s2
	v_add_co_ci_u32_e64 v7, null, s3, v17, vcc_lo
	v_fmac_f32_e32 v11, s4, v10
	v_add_co_u32 v6, vcc_lo, v6, v0
	v_add_co_ci_u32_e64 v7, null, v7, v1, vcc_lo
	global_store_dword v[4:5], v11, off offset:192
	v_add_co_u32 v5, vcc_lo, v14, s0
	global_load_dword v4, v[6:7], off
	v_add_co_ci_u32_e64 v10, null, s1, v15, vcc_lo
	v_add_co_u32 v0, vcc_lo, v5, v0
	v_add_co_ci_u32_e64 v1, null, v10, v1, vcc_lo
	s_waitcnt vmcnt(0)
	v_mul_f32_e32 v4, s9, v4
	v_fmac_f32_e32 v4, s4, v9
	global_store_dword v[0:1], v4, off
	global_load_dword v4, v[6:7], off offset:64
	s_waitcnt vmcnt(0)
	v_mul_f32_e32 v4, s9, v4
	v_fmac_f32_e32 v4, s4, v8
	global_store_dword v[0:1], v4, off offset:64
	global_load_dword v4, v[6:7], off offset:128
	s_waitcnt vmcnt(0)
	v_mul_f32_e32 v4, s9, v4
	v_fmac_f32_e32 v4, s4, v2
	global_store_dword v[0:1], v4, off offset:128
	;; [unrolled: 5-line block ×3, first 2 shown]
.LBB33_6:
	s_endpgm
.LBB33_7:
	s_branch .LBB33_5
	.section	.rodata,"a",@progbits
	.p2align	6, 0x0
	.amdhsa_kernel _ZN12_GLOBAL__N_127rocblas_gemm_batched_kernelIfLi16ELi16ELi64ELi64ELi4ELi64ELi4ELi4ELi64ELc78ELc84EKfS1_fEEvlllT_PT11_llS4_llS2_PT12_llPT13_lli
		.amdhsa_group_segment_fixed_size 2048
		.amdhsa_private_segment_fixed_size 0
		.amdhsa_kernarg_size 140
		.amdhsa_user_sgpr_count 6
		.amdhsa_user_sgpr_private_segment_buffer 1
		.amdhsa_user_sgpr_dispatch_ptr 0
		.amdhsa_user_sgpr_queue_ptr 0
		.amdhsa_user_sgpr_kernarg_segment_ptr 1
		.amdhsa_user_sgpr_dispatch_id 0
		.amdhsa_user_sgpr_flat_scratch_init 0
		.amdhsa_user_sgpr_private_segment_size 0
		.amdhsa_wavefront_size32 1
		.amdhsa_uses_dynamic_stack 0
		.amdhsa_system_sgpr_private_segment_wavefront_offset 0
		.amdhsa_system_sgpr_workgroup_id_x 1
		.amdhsa_system_sgpr_workgroup_id_y 1
		.amdhsa_system_sgpr_workgroup_id_z 1
		.amdhsa_system_sgpr_workgroup_info 0
		.amdhsa_system_vgpr_workitem_id 1
		.amdhsa_next_free_vgpr 58
		.amdhsa_next_free_sgpr 23
		.amdhsa_reserve_vcc 1
		.amdhsa_reserve_flat_scratch 0
		.amdhsa_float_round_mode_32 0
		.amdhsa_float_round_mode_16_64 0
		.amdhsa_float_denorm_mode_32 3
		.amdhsa_float_denorm_mode_16_64 3
		.amdhsa_dx10_clamp 1
		.amdhsa_ieee_mode 1
		.amdhsa_fp16_overflow 0
		.amdhsa_workgroup_processor_mode 1
		.amdhsa_memory_ordered 1
		.amdhsa_forward_progress 1
		.amdhsa_shared_vgpr_count 0
		.amdhsa_exception_fp_ieee_invalid_op 0
		.amdhsa_exception_fp_denorm_src 0
		.amdhsa_exception_fp_ieee_div_zero 0
		.amdhsa_exception_fp_ieee_overflow 0
		.amdhsa_exception_fp_ieee_underflow 0
		.amdhsa_exception_fp_ieee_inexact 0
		.amdhsa_exception_int_div_zero 0
	.end_amdhsa_kernel
	.section	.text._ZN12_GLOBAL__N_127rocblas_gemm_batched_kernelIfLi16ELi16ELi64ELi64ELi4ELi64ELi4ELi4ELi64ELc78ELc84EKfS1_fEEvlllT_PT11_llS4_llS2_PT12_llPT13_lli,"axG",@progbits,_ZN12_GLOBAL__N_127rocblas_gemm_batched_kernelIfLi16ELi16ELi64ELi64ELi4ELi64ELi4ELi4ELi64ELc78ELc84EKfS1_fEEvlllT_PT11_llS4_llS2_PT12_llPT13_lli,comdat
.Lfunc_end33:
	.size	_ZN12_GLOBAL__N_127rocblas_gemm_batched_kernelIfLi16ELi16ELi64ELi64ELi4ELi64ELi4ELi4ELi64ELc78ELc84EKfS1_fEEvlllT_PT11_llS4_llS2_PT12_llPT13_lli, .Lfunc_end33-_ZN12_GLOBAL__N_127rocblas_gemm_batched_kernelIfLi16ELi16ELi64ELi64ELi4ELi64ELi4ELi4ELi64ELc78ELc84EKfS1_fEEvlllT_PT11_llS4_llS2_PT12_llPT13_lli
                                        ; -- End function
	.set _ZN12_GLOBAL__N_127rocblas_gemm_batched_kernelIfLi16ELi16ELi64ELi64ELi4ELi64ELi4ELi4ELi64ELc78ELc84EKfS1_fEEvlllT_PT11_llS4_llS2_PT12_llPT13_lli.num_vgpr, 58
	.set _ZN12_GLOBAL__N_127rocblas_gemm_batched_kernelIfLi16ELi16ELi64ELi64ELi4ELi64ELi4ELi4ELi64ELc78ELc84EKfS1_fEEvlllT_PT11_llS4_llS2_PT12_llPT13_lli.num_agpr, 0
	.set _ZN12_GLOBAL__N_127rocblas_gemm_batched_kernelIfLi16ELi16ELi64ELi64ELi4ELi64ELi4ELi4ELi64ELc78ELc84EKfS1_fEEvlllT_PT11_llS4_llS2_PT12_llPT13_lli.numbered_sgpr, 23
	.set _ZN12_GLOBAL__N_127rocblas_gemm_batched_kernelIfLi16ELi16ELi64ELi64ELi4ELi64ELi4ELi4ELi64ELc78ELc84EKfS1_fEEvlllT_PT11_llS4_llS2_PT12_llPT13_lli.num_named_barrier, 0
	.set _ZN12_GLOBAL__N_127rocblas_gemm_batched_kernelIfLi16ELi16ELi64ELi64ELi4ELi64ELi4ELi4ELi64ELc78ELc84EKfS1_fEEvlllT_PT11_llS4_llS2_PT12_llPT13_lli.private_seg_size, 0
	.set _ZN12_GLOBAL__N_127rocblas_gemm_batched_kernelIfLi16ELi16ELi64ELi64ELi4ELi64ELi4ELi4ELi64ELc78ELc84EKfS1_fEEvlllT_PT11_llS4_llS2_PT12_llPT13_lli.uses_vcc, 1
	.set _ZN12_GLOBAL__N_127rocblas_gemm_batched_kernelIfLi16ELi16ELi64ELi64ELi4ELi64ELi4ELi4ELi64ELc78ELc84EKfS1_fEEvlllT_PT11_llS4_llS2_PT12_llPT13_lli.uses_flat_scratch, 0
	.set _ZN12_GLOBAL__N_127rocblas_gemm_batched_kernelIfLi16ELi16ELi64ELi64ELi4ELi64ELi4ELi4ELi64ELc78ELc84EKfS1_fEEvlllT_PT11_llS4_llS2_PT12_llPT13_lli.has_dyn_sized_stack, 0
	.set _ZN12_GLOBAL__N_127rocblas_gemm_batched_kernelIfLi16ELi16ELi64ELi64ELi4ELi64ELi4ELi4ELi64ELc78ELc84EKfS1_fEEvlllT_PT11_llS4_llS2_PT12_llPT13_lli.has_recursion, 0
	.set _ZN12_GLOBAL__N_127rocblas_gemm_batched_kernelIfLi16ELi16ELi64ELi64ELi4ELi64ELi4ELi4ELi64ELc78ELc84EKfS1_fEEvlllT_PT11_llS4_llS2_PT12_llPT13_lli.has_indirect_call, 0
	.section	.AMDGPU.csdata,"",@progbits
; Kernel info:
; codeLenInByte = 2248
; TotalNumSgprs: 25
; NumVgprs: 58
; ScratchSize: 0
; MemoryBound: 0
; FloatMode: 240
; IeeeMode: 1
; LDSByteSize: 2048 bytes/workgroup (compile time only)
; SGPRBlocks: 0
; VGPRBlocks: 7
; NumSGPRsForWavesPerEU: 25
; NumVGPRsForWavesPerEU: 58
; Occupancy: 16
; WaveLimiterHint : 0
; COMPUTE_PGM_RSRC2:SCRATCH_EN: 0
; COMPUTE_PGM_RSRC2:USER_SGPR: 6
; COMPUTE_PGM_RSRC2:TRAP_HANDLER: 0
; COMPUTE_PGM_RSRC2:TGID_X_EN: 1
; COMPUTE_PGM_RSRC2:TGID_Y_EN: 1
; COMPUTE_PGM_RSRC2:TGID_Z_EN: 1
; COMPUTE_PGM_RSRC2:TIDIG_COMP_CNT: 1
	.section	.text._ZN12_GLOBAL__N_127rocblas_gemm_batched_kernelIfLi16ELi16ELi64ELi64ELi4ELi64ELi4ELi4ELi64ELc84ELc84EKfS1_fEEvlllT_PT11_llS4_llS2_PT12_llPT13_lli,"axG",@progbits,_ZN12_GLOBAL__N_127rocblas_gemm_batched_kernelIfLi16ELi16ELi64ELi64ELi4ELi64ELi4ELi4ELi64ELc84ELc84EKfS1_fEEvlllT_PT11_llS4_llS2_PT12_llPT13_lli,comdat
	.globl	_ZN12_GLOBAL__N_127rocblas_gemm_batched_kernelIfLi16ELi16ELi64ELi64ELi4ELi64ELi4ELi4ELi64ELc84ELc84EKfS1_fEEvlllT_PT11_llS4_llS2_PT12_llPT13_lli ; -- Begin function _ZN12_GLOBAL__N_127rocblas_gemm_batched_kernelIfLi16ELi16ELi64ELi64ELi4ELi64ELi4ELi4ELi64ELc84ELc84EKfS1_fEEvlllT_PT11_llS4_llS2_PT12_llPT13_lli
	.p2align	8
	.type	_ZN12_GLOBAL__N_127rocblas_gemm_batched_kernelIfLi16ELi16ELi64ELi64ELi4ELi64ELi4ELi4ELi64ELc84ELc84EKfS1_fEEvlllT_PT11_llS4_llS2_PT12_llPT13_lli,@function
_ZN12_GLOBAL__N_127rocblas_gemm_batched_kernelIfLi16ELi16ELi64ELi64ELi4ELi64ELi4ELi4ELi64ELc84ELc84EKfS1_fEEvlllT_PT11_llS4_llS2_PT12_llPT13_lli: ; @_ZN12_GLOBAL__N_127rocblas_gemm_batched_kernelIfLi16ELi16ELi64ELi64ELi4ELi64ELi4ELi4ELi64ELc84ELc84EKfS1_fEEvlllT_PT11_llS4_llS2_PT12_llPT13_lli
; %bb.0:
	s_load_dwordx2 s[20:21], s[4:5], 0x10
	s_mov_b32 s0, s7
	v_mov_b32_e32 v19, 0
	v_mov_b32_e32 v21, 0
	;; [unrolled: 1-line block ×16, first 2 shown]
	s_ashr_i32 s7, s6, 31
	s_ashr_i32 s1, s0, 31
	s_waitcnt lgkmcnt(0)
	v_cmp_lt_i64_e64 s2, s[20:21], 1
	s_lshl_b64 s[6:7], s[6:7], 6
	s_lshl_b64 s[10:11], s[0:1], 6
	s_and_b32 vcc_lo, exec_lo, s2
	s_cbranch_vccnz .LBB34_3
; %bb.1:
	v_lshlrev_b32_e32 v4, 4, v1
	s_clause 0x1
	s_load_dwordx4 s[0:3], s[4:5], 0x40
	s_load_dwordx8 s[12:19], s[4:5], 0x20
	v_and_b32_e32 v8, 3, v0
	v_mov_b32_e32 v3, 0
	v_add_nc_u32_e32 v5, v4, v0
	v_add_nc_u32_e32 v23, 0x400, v4
	v_lshlrev_b32_e32 v22, 2, v0
	v_lshlrev_b32_e32 v6, 2, v8
	v_mov_b32_e32 v13, v3
	v_and_b32_e32 v7, 63, v5
	v_lshrrev_b32_e32 v2, 2, v5
	v_lshrrev_b32_e32 v10, 6, v5
	v_mov_b32_e32 v14, v3
	v_mov_b32_e32 v15, v3
	v_lshlrev_b32_e32 v4, 2, v7
	v_lshl_or_b32 v9, v2, 4, v6
	v_add_co_u32 v6, s9, s6, v7
	v_add_co_ci_u32_e64 v7, null, s7, 0, s9
	v_lshl_or_b32 v24, v10, 8, v4
	s_waitcnt lgkmcnt(0)
	v_mad_u64_u32 v[4:5], null, s0, v8, v[2:3]
	v_mul_lo_u32 v11, s15, v6
	v_mul_lo_u32 v12, s14, v7
	v_mad_u64_u32 v[6:7], null, s14, v6, 0
	s_mul_i32 s3, s3, s8
	s_mul_hi_u32 s9, s2, s8
	v_mov_b32_e32 v2, v5
	s_mul_i32 s2, s2, s8
	s_add_i32 s3, s9, s3
	v_add_nc_u32_e32 v25, 0x400, v9
	v_add3_u32 v7, v7, v12, v11
	v_mad_u64_u32 v[8:9], null, s1, v8, v[2:3]
	s_lshl_b64 s[2:3], s[2:3], 2
	v_lshlrev_b32_e32 v2, 2, v10
	s_add_u32 s9, s18, s2
	s_addc_u32 s14, s19, s3
	s_mul_i32 s2, s17, s8
	s_mul_hi_u32 s3, s16, s8
	v_lshlrev_b64 v[5:6], 2, v[6:7]
	v_add_co_u32 v7, vcc_lo, v4, s10
	s_add_i32 s3, s3, s2
	s_mul_i32 s2, s16, s8
	v_add_co_ci_u32_e64 v8, null, s11, v8, vcc_lo
	s_lshl_b64 s[2:3], s[2:3], 2
	v_mov_b32_e32 v10, v3
	v_add_co_u32 v9, vcc_lo, v5, s2
	v_add_co_ci_u32_e64 v6, null, s3, v6, vcc_lo
	v_lshlrev_b64 v[4:5], 2, v[7:8]
	v_add_co_u32 v2, vcc_lo, v9, v2
	v_add_co_ci_u32_e64 v7, null, 0, v6, vcc_lo
	v_mov_b32_e32 v8, v3
	v_add_co_u32 v4, vcc_lo, s9, v4
	v_add_co_ci_u32_e64 v5, null, s14, v5, vcc_lo
	v_add_co_u32 v6, vcc_lo, s12, v2
	v_add_co_ci_u32_e64 v7, null, s13, v7, vcc_lo
	v_mov_b32_e32 v2, v3
	v_mov_b32_e32 v9, v3
	;; [unrolled: 1-line block ×10, first 2 shown]
	s_lshl_b64 s[0:1], s[0:1], 4
	s_mov_b64 s[2:3], 0
.LBB34_2:                               ; =>This Inner Loop Header: Depth=1
	global_load_dword v26, v[6:7], off
	global_load_dword v27, v[4:5], off
	s_add_u32 s2, s2, 4
	s_addc_u32 s3, s3, 0
	v_add_co_u32 v4, vcc_lo, v4, s0
	v_cmp_lt_i64_e64 s9, s[2:3], s[20:21]
	v_add_co_ci_u32_e64 v5, null, s1, v5, vcc_lo
	v_add_co_u32 v6, vcc_lo, v6, 16
	v_add_co_ci_u32_e64 v7, null, 0, v7, vcc_lo
	s_and_b32 vcc_lo, exec_lo, s9
	s_waitcnt vmcnt(1)
	ds_write_b32 v24, v26
	s_waitcnt vmcnt(0)
	ds_write_b32 v25, v27
	s_waitcnt lgkmcnt(0)
	s_barrier
	buffer_gl0_inv
	ds_read_b128 v[26:29], v23
	ds_read2_b32 v[42:43], v22 offset1:16
	ds_read2_b32 v[44:45], v22 offset0:32 offset1:48
	ds_read_b128 v[30:33], v23 offset:256
	ds_read_b128 v[34:37], v23 offset:512
	;; [unrolled: 1-line block ×3, first 2 shown]
	ds_read2_b32 v[46:47], v22 offset0:64 offset1:80
	ds_read2_b32 v[48:49], v22 offset0:96 offset1:112
	;; [unrolled: 1-line block ×6, first 2 shown]
	s_waitcnt lgkmcnt(0)
	s_barrier
	buffer_gl0_inv
	v_fmac_f32_e32 v19, v42, v26
	v_fmac_f32_e32 v21, v43, v26
	;; [unrolled: 1-line block ×64, first 2 shown]
	s_cbranch_vccnz .LBB34_2
.LBB34_3:
	s_clause 0x3
	s_load_dwordx4 s[0:3], s[4:5], 0x78
	s_load_dword s9, s[4:5], 0x50
	s_load_dwordx8 s[12:19], s[4:5], 0x58
	s_load_dword s4, s[4:5], 0x18
	v_add_co_u32 v5, s5, s6, v0
	v_add_co_ci_u32_e64 v6, null, s7, 0, s5
	v_add_co_u32 v4, s5, s10, v1
	v_add_co_ci_u32_e64 v7, null, s11, 0, s5
	v_lshlrev_b64 v[0:1], 2, v[5:6]
	s_waitcnt lgkmcnt(0)
	s_mul_i32 s3, s3, s8
	s_mul_hi_u32 s5, s2, s8
	v_mul_lo_u32 v5, v7, s0
	v_mul_lo_u32 v6, v4, s1
	s_mul_i32 s2, s2, s8
	v_cmp_neq_f32_e64 s6, s9, 0
	s_add_i32 s3, s5, s3
	s_mov_b32 s5, 0
	s_lshl_b64 s[2:3], s[2:3], 2
	s_add_u32 s2, s18, s2
	s_addc_u32 s3, s19, s3
	s_and_b32 vcc_lo, exec_lo, s6
	s_cbranch_vccnz .LBB34_7
; %bb.4:
	v_mad_u64_u32 v[22:23], null, v4, s0, 0
	s_lshl_b64 s[6:7], s[0:1], 6
	v_mul_f32_e32 v26, s4, v19
	v_mul_f32_e32 v27, s4, v21
	;; [unrolled: 1-line block ×5, first 2 shown]
	v_add3_u32 v23, v23, v6, v5
	v_mul_f32_e32 v31, s4, v16
	v_mul_f32_e32 v32, s4, v15
	;; [unrolled: 1-line block ×3, first 2 shown]
	v_lshlrev_b64 v[22:23], 2, v[22:23]
	v_add_co_u32 v22, vcc_lo, s2, v22
	v_add_co_ci_u32_e64 v23, null, s3, v23, vcc_lo
	v_add_co_u32 v34, vcc_lo, v22, s6
	v_add_co_ci_u32_e64 v35, null, s7, v23, vcc_lo
	;; [unrolled: 2-line block ×4, first 2 shown]
	global_store_dword v[22:23], v26, off
	global_store_dword v[22:23], v27, off offset:64
	global_store_dword v[22:23], v28, off offset:128
	;; [unrolled: 1-line block ×3, first 2 shown]
	global_store_dword v[24:25], v30, off
	global_store_dword v[24:25], v31, off offset:64
	v_add_co_u32 v26, vcc_lo, v34, s6
	v_add_co_ci_u32_e64 v27, null, s7, v35, vcc_lo
	v_mul_f32_e32 v28, s4, v13
	v_add_co_u32 v22, vcc_lo, v26, v0
	v_add_co_ci_u32_e64 v23, null, v27, v1, vcc_lo
	v_mul_f32_e32 v29, s4, v12
	v_mul_f32_e32 v30, s4, v11
	global_store_dword v[24:25], v32, off offset:128
	global_store_dword v[24:25], v33, off offset:192
	global_store_dword v[22:23], v28, off
	global_store_dword v[22:23], v29, off offset:64
	global_store_dword v[22:23], v30, off offset:128
	v_add_co_u32 v24, vcc_lo, v26, s6
	v_add_co_ci_u32_e64 v25, null, s7, v27, vcc_lo
	v_mul_f32_e32 v28, s4, v10
	v_add_co_u32 v24, vcc_lo, v24, v0
	v_mul_f32_e32 v26, s4, v9
	v_add_co_ci_u32_e64 v25, null, v25, v1, vcc_lo
	v_mul_f32_e32 v27, s4, v8
	v_mul_f32_e32 v29, s4, v2
	;; [unrolled: 1-line block ×3, first 2 shown]
	global_store_dword v[22:23], v28, off offset:192
	global_store_dword v[24:25], v26, off
	global_store_dword v[24:25], v27, off offset:64
	global_store_dword v[24:25], v29, off offset:128
	global_store_dword v[24:25], v30, off offset:192
	s_andn2_b32 vcc_lo, exec_lo, s5
	s_cbranch_vccnz .LBB34_6
.LBB34_5:
	v_mul_lo_u32 v7, v7, s14
	v_mul_lo_u32 v24, v4, s15
	v_mad_u64_u32 v[22:23], null, v4, s14, 0
	s_mul_i32 s5, s17, s8
	s_mul_hi_u32 s7, s16, s8
	s_mul_i32 s6, s16, s8
	s_add_i32 s7, s7, s5
	s_lshl_b64 s[6:7], s[6:7], 2
	v_add3_u32 v23, v23, v24, v7
	s_add_u32 s5, s12, s6
	s_addc_u32 s6, s13, s7
	v_mad_u64_u32 v[24:25], null, v4, s0, 0
	v_lshlrev_b64 v[22:23], 2, v[22:23]
	s_lshl_b64 s[0:1], s[0:1], 6
	v_add3_u32 v25, v25, v6, v5
	v_add_co_u32 v7, vcc_lo, s5, v22
	v_add_co_ci_u32_e64 v26, null, s6, v23, vcc_lo
	v_lshlrev_b64 v[4:5], 2, v[24:25]
	v_add_co_u32 v22, vcc_lo, v7, v0
	v_add_co_ci_u32_e64 v23, null, v26, v1, vcc_lo
	v_add_co_u32 v24, vcc_lo, s2, v4
	global_load_dword v27, v[22:23], off
	v_add_co_ci_u32_e64 v25, null, s3, v5, vcc_lo
	v_add_co_u32 v4, vcc_lo, v24, v0
	s_lshl_b64 s[2:3], s[14:15], 6
	v_add_co_ci_u32_e64 v5, null, v25, v1, vcc_lo
	s_waitcnt vmcnt(0)
	v_mul_f32_e32 v6, s9, v27
	v_fmac_f32_e32 v6, s4, v19
	global_store_dword v[4:5], v6, off
	global_load_dword v6, v[22:23], off offset:64
	s_waitcnt vmcnt(0)
	v_mul_f32_e32 v6, s9, v6
	v_fmac_f32_e32 v6, s4, v21
	global_store_dword v[4:5], v6, off offset:64
	global_load_dword v6, v[22:23], off offset:128
	s_waitcnt vmcnt(0)
	v_mul_f32_e32 v6, s9, v6
	v_fmac_f32_e32 v6, s4, v20
	v_add_co_u32 v20, vcc_lo, v7, s2
	v_add_co_ci_u32_e64 v21, null, s3, v26, vcc_lo
	global_store_dword v[4:5], v6, off offset:128
	global_load_dword v6, v[22:23], off offset:192
	s_waitcnt vmcnt(0)
	v_mul_f32_e32 v19, s9, v6
	v_add_co_u32 v6, vcc_lo, v20, v0
	v_add_co_ci_u32_e64 v7, null, v21, v1, vcc_lo
	v_fmac_f32_e32 v19, s4, v18
	v_add_co_u32 v18, vcc_lo, v24, s0
	global_store_dword v[4:5], v19, off offset:192
	global_load_dword v4, v[6:7], off
	v_add_co_ci_u32_e64 v19, null, s1, v25, vcc_lo
	s_waitcnt vmcnt(0)
	v_mul_f32_e32 v22, s9, v4
	v_add_co_u32 v4, vcc_lo, v18, v0
	v_add_co_ci_u32_e64 v5, null, v19, v1, vcc_lo
	v_fmac_f32_e32 v22, s4, v17
	global_store_dword v[4:5], v22, off
	global_load_dword v17, v[6:7], off offset:64
	s_waitcnt vmcnt(0)
	v_mul_f32_e32 v17, s9, v17
	v_fmac_f32_e32 v17, s4, v16
	global_store_dword v[4:5], v17, off offset:64
	global_load_dword v16, v[6:7], off offset:128
	s_waitcnt vmcnt(0)
	v_mul_f32_e32 v16, s9, v16
	v_fmac_f32_e32 v16, s4, v15
	global_store_dword v[4:5], v16, off offset:128
	global_load_dword v6, v[6:7], off offset:192
	v_add_co_u32 v16, vcc_lo, v20, s2
	v_add_co_ci_u32_e64 v17, null, s3, v21, vcc_lo
	s_waitcnt vmcnt(0)
	v_mul_f32_e32 v15, s9, v6
	v_add_co_u32 v6, vcc_lo, v16, v0
	v_add_co_ci_u32_e64 v7, null, v17, v1, vcc_lo
	v_fmac_f32_e32 v15, s4, v14
	v_add_co_u32 v14, vcc_lo, v18, s0
	global_store_dword v[4:5], v15, off offset:192
	global_load_dword v4, v[6:7], off
	v_add_co_ci_u32_e64 v15, null, s1, v19, vcc_lo
	s_waitcnt vmcnt(0)
	v_mul_f32_e32 v18, s9, v4
	v_add_co_u32 v4, vcc_lo, v14, v0
	v_add_co_ci_u32_e64 v5, null, v15, v1, vcc_lo
	v_fmac_f32_e32 v18, s4, v13
	global_store_dword v[4:5], v18, off
	global_load_dword v13, v[6:7], off offset:64
	s_waitcnt vmcnt(0)
	v_mul_f32_e32 v13, s9, v13
	v_fmac_f32_e32 v13, s4, v12
	global_store_dword v[4:5], v13, off offset:64
	global_load_dword v12, v[6:7], off offset:128
	s_waitcnt vmcnt(0)
	v_mul_f32_e32 v12, s9, v12
	v_fmac_f32_e32 v12, s4, v11
	global_store_dword v[4:5], v12, off offset:128
	global_load_dword v6, v[6:7], off offset:192
	s_waitcnt vmcnt(0)
	v_mul_f32_e32 v11, s9, v6
	v_add_co_u32 v6, vcc_lo, v16, s2
	v_add_co_ci_u32_e64 v7, null, s3, v17, vcc_lo
	v_fmac_f32_e32 v11, s4, v10
	v_add_co_u32 v6, vcc_lo, v6, v0
	v_add_co_ci_u32_e64 v7, null, v7, v1, vcc_lo
	global_store_dword v[4:5], v11, off offset:192
	v_add_co_u32 v5, vcc_lo, v14, s0
	global_load_dword v4, v[6:7], off
	v_add_co_ci_u32_e64 v10, null, s1, v15, vcc_lo
	v_add_co_u32 v0, vcc_lo, v5, v0
	v_add_co_ci_u32_e64 v1, null, v10, v1, vcc_lo
	s_waitcnt vmcnt(0)
	v_mul_f32_e32 v4, s9, v4
	v_fmac_f32_e32 v4, s4, v9
	global_store_dword v[0:1], v4, off
	global_load_dword v4, v[6:7], off offset:64
	s_waitcnt vmcnt(0)
	v_mul_f32_e32 v4, s9, v4
	v_fmac_f32_e32 v4, s4, v8
	global_store_dword v[0:1], v4, off offset:64
	global_load_dword v4, v[6:7], off offset:128
	s_waitcnt vmcnt(0)
	v_mul_f32_e32 v4, s9, v4
	v_fmac_f32_e32 v4, s4, v2
	global_store_dword v[0:1], v4, off offset:128
	;; [unrolled: 5-line block ×3, first 2 shown]
.LBB34_6:
	s_endpgm
.LBB34_7:
	s_branch .LBB34_5
	.section	.rodata,"a",@progbits
	.p2align	6, 0x0
	.amdhsa_kernel _ZN12_GLOBAL__N_127rocblas_gemm_batched_kernelIfLi16ELi16ELi64ELi64ELi4ELi64ELi4ELi4ELi64ELc84ELc84EKfS1_fEEvlllT_PT11_llS4_llS2_PT12_llPT13_lli
		.amdhsa_group_segment_fixed_size 2048
		.amdhsa_private_segment_fixed_size 0
		.amdhsa_kernarg_size 140
		.amdhsa_user_sgpr_count 6
		.amdhsa_user_sgpr_private_segment_buffer 1
		.amdhsa_user_sgpr_dispatch_ptr 0
		.amdhsa_user_sgpr_queue_ptr 0
		.amdhsa_user_sgpr_kernarg_segment_ptr 1
		.amdhsa_user_sgpr_dispatch_id 0
		.amdhsa_user_sgpr_flat_scratch_init 0
		.amdhsa_user_sgpr_private_segment_size 0
		.amdhsa_wavefront_size32 1
		.amdhsa_uses_dynamic_stack 0
		.amdhsa_system_sgpr_private_segment_wavefront_offset 0
		.amdhsa_system_sgpr_workgroup_id_x 1
		.amdhsa_system_sgpr_workgroup_id_y 1
		.amdhsa_system_sgpr_workgroup_id_z 1
		.amdhsa_system_sgpr_workgroup_info 0
		.amdhsa_system_vgpr_workitem_id 1
		.amdhsa_next_free_vgpr 58
		.amdhsa_next_free_sgpr 22
		.amdhsa_reserve_vcc 1
		.amdhsa_reserve_flat_scratch 0
		.amdhsa_float_round_mode_32 0
		.amdhsa_float_round_mode_16_64 0
		.amdhsa_float_denorm_mode_32 3
		.amdhsa_float_denorm_mode_16_64 3
		.amdhsa_dx10_clamp 1
		.amdhsa_ieee_mode 1
		.amdhsa_fp16_overflow 0
		.amdhsa_workgroup_processor_mode 1
		.amdhsa_memory_ordered 1
		.amdhsa_forward_progress 1
		.amdhsa_shared_vgpr_count 0
		.amdhsa_exception_fp_ieee_invalid_op 0
		.amdhsa_exception_fp_denorm_src 0
		.amdhsa_exception_fp_ieee_div_zero 0
		.amdhsa_exception_fp_ieee_overflow 0
		.amdhsa_exception_fp_ieee_underflow 0
		.amdhsa_exception_fp_ieee_inexact 0
		.amdhsa_exception_int_div_zero 0
	.end_amdhsa_kernel
	.section	.text._ZN12_GLOBAL__N_127rocblas_gemm_batched_kernelIfLi16ELi16ELi64ELi64ELi4ELi64ELi4ELi4ELi64ELc84ELc84EKfS1_fEEvlllT_PT11_llS4_llS2_PT12_llPT13_lli,"axG",@progbits,_ZN12_GLOBAL__N_127rocblas_gemm_batched_kernelIfLi16ELi16ELi64ELi64ELi4ELi64ELi4ELi4ELi64ELc84ELc84EKfS1_fEEvlllT_PT11_llS4_llS2_PT12_llPT13_lli,comdat
.Lfunc_end34:
	.size	_ZN12_GLOBAL__N_127rocblas_gemm_batched_kernelIfLi16ELi16ELi64ELi64ELi4ELi64ELi4ELi4ELi64ELc84ELc84EKfS1_fEEvlllT_PT11_llS4_llS2_PT12_llPT13_lli, .Lfunc_end34-_ZN12_GLOBAL__N_127rocblas_gemm_batched_kernelIfLi16ELi16ELi64ELi64ELi4ELi64ELi4ELi4ELi64ELc84ELc84EKfS1_fEEvlllT_PT11_llS4_llS2_PT12_llPT13_lli
                                        ; -- End function
	.set _ZN12_GLOBAL__N_127rocblas_gemm_batched_kernelIfLi16ELi16ELi64ELi64ELi4ELi64ELi4ELi4ELi64ELc84ELc84EKfS1_fEEvlllT_PT11_llS4_llS2_PT12_llPT13_lli.num_vgpr, 58
	.set _ZN12_GLOBAL__N_127rocblas_gemm_batched_kernelIfLi16ELi16ELi64ELi64ELi4ELi64ELi4ELi4ELi64ELc84ELc84EKfS1_fEEvlllT_PT11_llS4_llS2_PT12_llPT13_lli.num_agpr, 0
	.set _ZN12_GLOBAL__N_127rocblas_gemm_batched_kernelIfLi16ELi16ELi64ELi64ELi4ELi64ELi4ELi4ELi64ELc84ELc84EKfS1_fEEvlllT_PT11_llS4_llS2_PT12_llPT13_lli.numbered_sgpr, 22
	.set _ZN12_GLOBAL__N_127rocblas_gemm_batched_kernelIfLi16ELi16ELi64ELi64ELi4ELi64ELi4ELi4ELi64ELc84ELc84EKfS1_fEEvlllT_PT11_llS4_llS2_PT12_llPT13_lli.num_named_barrier, 0
	.set _ZN12_GLOBAL__N_127rocblas_gemm_batched_kernelIfLi16ELi16ELi64ELi64ELi4ELi64ELi4ELi4ELi64ELc84ELc84EKfS1_fEEvlllT_PT11_llS4_llS2_PT12_llPT13_lli.private_seg_size, 0
	.set _ZN12_GLOBAL__N_127rocblas_gemm_batched_kernelIfLi16ELi16ELi64ELi64ELi4ELi64ELi4ELi4ELi64ELc84ELc84EKfS1_fEEvlllT_PT11_llS4_llS2_PT12_llPT13_lli.uses_vcc, 1
	.set _ZN12_GLOBAL__N_127rocblas_gemm_batched_kernelIfLi16ELi16ELi64ELi64ELi4ELi64ELi4ELi4ELi64ELc84ELc84EKfS1_fEEvlllT_PT11_llS4_llS2_PT12_llPT13_lli.uses_flat_scratch, 0
	.set _ZN12_GLOBAL__N_127rocblas_gemm_batched_kernelIfLi16ELi16ELi64ELi64ELi4ELi64ELi4ELi4ELi64ELc84ELc84EKfS1_fEEvlllT_PT11_llS4_llS2_PT12_llPT13_lli.has_dyn_sized_stack, 0
	.set _ZN12_GLOBAL__N_127rocblas_gemm_batched_kernelIfLi16ELi16ELi64ELi64ELi4ELi64ELi4ELi4ELi64ELc84ELc84EKfS1_fEEvlllT_PT11_llS4_llS2_PT12_llPT13_lli.has_recursion, 0
	.set _ZN12_GLOBAL__N_127rocblas_gemm_batched_kernelIfLi16ELi16ELi64ELi64ELi4ELi64ELi4ELi4ELi64ELc84ELc84EKfS1_fEEvlllT_PT11_llS4_llS2_PT12_llPT13_lli.has_indirect_call, 0
	.section	.AMDGPU.csdata,"",@progbits
; Kernel info:
; codeLenInByte = 2284
; TotalNumSgprs: 24
; NumVgprs: 58
; ScratchSize: 0
; MemoryBound: 0
; FloatMode: 240
; IeeeMode: 1
; LDSByteSize: 2048 bytes/workgroup (compile time only)
; SGPRBlocks: 0
; VGPRBlocks: 7
; NumSGPRsForWavesPerEU: 24
; NumVGPRsForWavesPerEU: 58
; Occupancy: 16
; WaveLimiterHint : 0
; COMPUTE_PGM_RSRC2:SCRATCH_EN: 0
; COMPUTE_PGM_RSRC2:USER_SGPR: 6
; COMPUTE_PGM_RSRC2:TRAP_HANDLER: 0
; COMPUTE_PGM_RSRC2:TGID_X_EN: 1
; COMPUTE_PGM_RSRC2:TGID_Y_EN: 1
; COMPUTE_PGM_RSRC2:TGID_Z_EN: 1
; COMPUTE_PGM_RSRC2:TIDIG_COMP_CNT: 1
	.section	.text._ZN12_GLOBAL__N_127rocblas_gemm_batched_kernelIfLi16ELi16ELi64ELi64ELi4ELi64ELi4ELi4ELi64ELc67ELc67EKfS1_fEEvlllT_PT11_llS4_llS2_PT12_llPT13_lli,"axG",@progbits,_ZN12_GLOBAL__N_127rocblas_gemm_batched_kernelIfLi16ELi16ELi64ELi64ELi4ELi64ELi4ELi4ELi64ELc67ELc67EKfS1_fEEvlllT_PT11_llS4_llS2_PT12_llPT13_lli,comdat
	.globl	_ZN12_GLOBAL__N_127rocblas_gemm_batched_kernelIfLi16ELi16ELi64ELi64ELi4ELi64ELi4ELi4ELi64ELc67ELc67EKfS1_fEEvlllT_PT11_llS4_llS2_PT12_llPT13_lli ; -- Begin function _ZN12_GLOBAL__N_127rocblas_gemm_batched_kernelIfLi16ELi16ELi64ELi64ELi4ELi64ELi4ELi4ELi64ELc67ELc67EKfS1_fEEvlllT_PT11_llS4_llS2_PT12_llPT13_lli
	.p2align	8
	.type	_ZN12_GLOBAL__N_127rocblas_gemm_batched_kernelIfLi16ELi16ELi64ELi64ELi4ELi64ELi4ELi4ELi64ELc67ELc67EKfS1_fEEvlllT_PT11_llS4_llS2_PT12_llPT13_lli,@function
_ZN12_GLOBAL__N_127rocblas_gemm_batched_kernelIfLi16ELi16ELi64ELi64ELi4ELi64ELi4ELi4ELi64ELc67ELc67EKfS1_fEEvlllT_PT11_llS4_llS2_PT12_llPT13_lli: ; @_ZN12_GLOBAL__N_127rocblas_gemm_batched_kernelIfLi16ELi16ELi64ELi64ELi4ELi64ELi4ELi4ELi64ELc67ELc67EKfS1_fEEvlllT_PT11_llS4_llS2_PT12_llPT13_lli
; %bb.0:
	s_load_dwordx2 s[20:21], s[4:5], 0x10
	s_mov_b32 s0, s7
	v_mov_b32_e32 v19, 0
	v_mov_b32_e32 v21, 0
	;; [unrolled: 1-line block ×16, first 2 shown]
	s_ashr_i32 s7, s6, 31
	s_ashr_i32 s1, s0, 31
	s_waitcnt lgkmcnt(0)
	v_cmp_lt_i64_e64 s2, s[20:21], 1
	s_lshl_b64 s[6:7], s[6:7], 6
	s_lshl_b64 s[10:11], s[0:1], 6
	s_and_b32 vcc_lo, exec_lo, s2
	s_cbranch_vccnz .LBB35_3
; %bb.1:
	v_lshlrev_b32_e32 v4, 4, v1
	s_clause 0x1
	s_load_dwordx4 s[0:3], s[4:5], 0x40
	s_load_dwordx8 s[12:19], s[4:5], 0x20
	v_and_b32_e32 v8, 3, v0
	v_mov_b32_e32 v3, 0
	v_add_nc_u32_e32 v5, v4, v0
	v_add_nc_u32_e32 v23, 0x400, v4
	v_lshlrev_b32_e32 v22, 2, v0
	v_lshlrev_b32_e32 v6, 2, v8
	v_mov_b32_e32 v13, v3
	v_and_b32_e32 v7, 63, v5
	v_lshrrev_b32_e32 v2, 2, v5
	v_lshrrev_b32_e32 v10, 6, v5
	v_mov_b32_e32 v14, v3
	v_mov_b32_e32 v15, v3
	v_lshlrev_b32_e32 v4, 2, v7
	v_lshl_or_b32 v9, v2, 4, v6
	v_add_co_u32 v6, s9, s6, v7
	v_add_co_ci_u32_e64 v7, null, s7, 0, s9
	v_lshl_or_b32 v24, v10, 8, v4
	s_waitcnt lgkmcnt(0)
	v_mad_u64_u32 v[4:5], null, s0, v8, v[2:3]
	v_mul_lo_u32 v11, s15, v6
	v_mul_lo_u32 v12, s14, v7
	v_mad_u64_u32 v[6:7], null, s14, v6, 0
	s_mul_i32 s3, s3, s8
	s_mul_hi_u32 s9, s2, s8
	v_mov_b32_e32 v2, v5
	s_mul_i32 s2, s2, s8
	s_add_i32 s3, s9, s3
	v_add_nc_u32_e32 v25, 0x400, v9
	v_add3_u32 v7, v7, v12, v11
	v_mad_u64_u32 v[8:9], null, s1, v8, v[2:3]
	s_lshl_b64 s[2:3], s[2:3], 2
	v_lshlrev_b32_e32 v2, 2, v10
	s_add_u32 s9, s18, s2
	s_addc_u32 s14, s19, s3
	s_mul_i32 s2, s17, s8
	s_mul_hi_u32 s3, s16, s8
	v_lshlrev_b64 v[5:6], 2, v[6:7]
	v_add_co_u32 v7, vcc_lo, v4, s10
	s_add_i32 s3, s3, s2
	s_mul_i32 s2, s16, s8
	v_add_co_ci_u32_e64 v8, null, s11, v8, vcc_lo
	s_lshl_b64 s[2:3], s[2:3], 2
	v_mov_b32_e32 v10, v3
	v_add_co_u32 v9, vcc_lo, v5, s2
	v_add_co_ci_u32_e64 v6, null, s3, v6, vcc_lo
	v_lshlrev_b64 v[4:5], 2, v[7:8]
	v_add_co_u32 v2, vcc_lo, v9, v2
	v_add_co_ci_u32_e64 v7, null, 0, v6, vcc_lo
	v_mov_b32_e32 v8, v3
	v_add_co_u32 v4, vcc_lo, s9, v4
	v_add_co_ci_u32_e64 v5, null, s14, v5, vcc_lo
	v_add_co_u32 v6, vcc_lo, s12, v2
	v_add_co_ci_u32_e64 v7, null, s13, v7, vcc_lo
	v_mov_b32_e32 v2, v3
	v_mov_b32_e32 v9, v3
	v_mov_b32_e32 v11, v3
	v_mov_b32_e32 v12, v3
	v_mov_b32_e32 v16, v3
	v_mov_b32_e32 v17, v3
	v_mov_b32_e32 v18, v3
	v_mov_b32_e32 v20, v3
	v_mov_b32_e32 v21, v3
	v_mov_b32_e32 v19, v3
	s_lshl_b64 s[0:1], s[0:1], 4
	s_mov_b64 s[2:3], 0
.LBB35_2:                               ; =>This Inner Loop Header: Depth=1
	global_load_dword v26, v[6:7], off
	global_load_dword v27, v[4:5], off
	s_add_u32 s2, s2, 4
	s_addc_u32 s3, s3, 0
	v_add_co_u32 v4, vcc_lo, v4, s0
	v_cmp_lt_i64_e64 s9, s[2:3], s[20:21]
	v_add_co_ci_u32_e64 v5, null, s1, v5, vcc_lo
	v_add_co_u32 v6, vcc_lo, v6, 16
	v_add_co_ci_u32_e64 v7, null, 0, v7, vcc_lo
	s_and_b32 vcc_lo, exec_lo, s9
	s_waitcnt vmcnt(1)
	ds_write_b32 v24, v26
	s_waitcnt vmcnt(0)
	ds_write_b32 v25, v27
	s_waitcnt lgkmcnt(0)
	s_barrier
	buffer_gl0_inv
	ds_read_b128 v[26:29], v23
	ds_read2_b32 v[42:43], v22 offset1:16
	ds_read2_b32 v[44:45], v22 offset0:32 offset1:48
	ds_read_b128 v[30:33], v23 offset:256
	ds_read_b128 v[34:37], v23 offset:512
	;; [unrolled: 1-line block ×3, first 2 shown]
	ds_read2_b32 v[46:47], v22 offset0:64 offset1:80
	ds_read2_b32 v[48:49], v22 offset0:96 offset1:112
	;; [unrolled: 1-line block ×6, first 2 shown]
	s_waitcnt lgkmcnt(0)
	s_barrier
	buffer_gl0_inv
	v_fmac_f32_e32 v19, v42, v26
	v_fmac_f32_e32 v21, v43, v26
	;; [unrolled: 1-line block ×64, first 2 shown]
	s_cbranch_vccnz .LBB35_2
.LBB35_3:
	s_clause 0x3
	s_load_dwordx4 s[0:3], s[4:5], 0x78
	s_load_dword s9, s[4:5], 0x50
	s_load_dwordx8 s[12:19], s[4:5], 0x58
	s_load_dword s4, s[4:5], 0x18
	v_add_co_u32 v5, s5, s6, v0
	v_add_co_ci_u32_e64 v6, null, s7, 0, s5
	v_add_co_u32 v4, s5, s10, v1
	v_add_co_ci_u32_e64 v7, null, s11, 0, s5
	v_lshlrev_b64 v[0:1], 2, v[5:6]
	s_waitcnt lgkmcnt(0)
	s_mul_i32 s3, s3, s8
	s_mul_hi_u32 s5, s2, s8
	v_mul_lo_u32 v5, v7, s0
	v_mul_lo_u32 v6, v4, s1
	s_mul_i32 s2, s2, s8
	v_cmp_neq_f32_e64 s6, s9, 0
	s_add_i32 s3, s5, s3
	s_mov_b32 s5, 0
	s_lshl_b64 s[2:3], s[2:3], 2
	s_add_u32 s2, s18, s2
	s_addc_u32 s3, s19, s3
	s_and_b32 vcc_lo, exec_lo, s6
	s_cbranch_vccnz .LBB35_7
; %bb.4:
	v_mad_u64_u32 v[22:23], null, v4, s0, 0
	s_lshl_b64 s[6:7], s[0:1], 6
	v_mul_f32_e32 v26, s4, v19
	v_mul_f32_e32 v27, s4, v21
	;; [unrolled: 1-line block ×5, first 2 shown]
	v_add3_u32 v23, v23, v6, v5
	v_mul_f32_e32 v31, s4, v16
	v_mul_f32_e32 v32, s4, v15
	v_mul_f32_e32 v33, s4, v14
	v_lshlrev_b64 v[22:23], 2, v[22:23]
	v_add_co_u32 v22, vcc_lo, s2, v22
	v_add_co_ci_u32_e64 v23, null, s3, v23, vcc_lo
	v_add_co_u32 v34, vcc_lo, v22, s6
	v_add_co_ci_u32_e64 v35, null, s7, v23, vcc_lo
	;; [unrolled: 2-line block ×4, first 2 shown]
	global_store_dword v[22:23], v26, off
	global_store_dword v[22:23], v27, off offset:64
	global_store_dword v[22:23], v28, off offset:128
	;; [unrolled: 1-line block ×3, first 2 shown]
	global_store_dword v[24:25], v30, off
	global_store_dword v[24:25], v31, off offset:64
	v_add_co_u32 v26, vcc_lo, v34, s6
	v_add_co_ci_u32_e64 v27, null, s7, v35, vcc_lo
	v_mul_f32_e32 v28, s4, v13
	v_add_co_u32 v22, vcc_lo, v26, v0
	v_add_co_ci_u32_e64 v23, null, v27, v1, vcc_lo
	v_mul_f32_e32 v29, s4, v12
	v_mul_f32_e32 v30, s4, v11
	global_store_dword v[24:25], v32, off offset:128
	global_store_dword v[24:25], v33, off offset:192
	global_store_dword v[22:23], v28, off
	global_store_dword v[22:23], v29, off offset:64
	global_store_dword v[22:23], v30, off offset:128
	v_add_co_u32 v24, vcc_lo, v26, s6
	v_add_co_ci_u32_e64 v25, null, s7, v27, vcc_lo
	v_mul_f32_e32 v28, s4, v10
	v_add_co_u32 v24, vcc_lo, v24, v0
	v_mul_f32_e32 v26, s4, v9
	v_add_co_ci_u32_e64 v25, null, v25, v1, vcc_lo
	v_mul_f32_e32 v27, s4, v8
	v_mul_f32_e32 v29, s4, v2
	;; [unrolled: 1-line block ×3, first 2 shown]
	global_store_dword v[22:23], v28, off offset:192
	global_store_dword v[24:25], v26, off
	global_store_dword v[24:25], v27, off offset:64
	global_store_dword v[24:25], v29, off offset:128
	;; [unrolled: 1-line block ×3, first 2 shown]
	s_andn2_b32 vcc_lo, exec_lo, s5
	s_cbranch_vccnz .LBB35_6
.LBB35_5:
	v_mul_lo_u32 v7, v7, s14
	v_mul_lo_u32 v24, v4, s15
	v_mad_u64_u32 v[22:23], null, v4, s14, 0
	s_mul_i32 s5, s17, s8
	s_mul_hi_u32 s7, s16, s8
	s_mul_i32 s6, s16, s8
	s_add_i32 s7, s7, s5
	s_lshl_b64 s[6:7], s[6:7], 2
	v_add3_u32 v23, v23, v24, v7
	s_add_u32 s5, s12, s6
	s_addc_u32 s6, s13, s7
	v_mad_u64_u32 v[24:25], null, v4, s0, 0
	v_lshlrev_b64 v[22:23], 2, v[22:23]
	s_lshl_b64 s[0:1], s[0:1], 6
	v_add3_u32 v25, v25, v6, v5
	v_add_co_u32 v7, vcc_lo, s5, v22
	v_add_co_ci_u32_e64 v26, null, s6, v23, vcc_lo
	v_lshlrev_b64 v[4:5], 2, v[24:25]
	v_add_co_u32 v22, vcc_lo, v7, v0
	v_add_co_ci_u32_e64 v23, null, v26, v1, vcc_lo
	v_add_co_u32 v24, vcc_lo, s2, v4
	global_load_dword v27, v[22:23], off
	v_add_co_ci_u32_e64 v25, null, s3, v5, vcc_lo
	v_add_co_u32 v4, vcc_lo, v24, v0
	s_lshl_b64 s[2:3], s[14:15], 6
	v_add_co_ci_u32_e64 v5, null, v25, v1, vcc_lo
	s_waitcnt vmcnt(0)
	v_mul_f32_e32 v6, s9, v27
	v_fmac_f32_e32 v6, s4, v19
	global_store_dword v[4:5], v6, off
	global_load_dword v6, v[22:23], off offset:64
	s_waitcnt vmcnt(0)
	v_mul_f32_e32 v6, s9, v6
	v_fmac_f32_e32 v6, s4, v21
	global_store_dword v[4:5], v6, off offset:64
	global_load_dword v6, v[22:23], off offset:128
	s_waitcnt vmcnt(0)
	v_mul_f32_e32 v6, s9, v6
	v_fmac_f32_e32 v6, s4, v20
	v_add_co_u32 v20, vcc_lo, v7, s2
	v_add_co_ci_u32_e64 v21, null, s3, v26, vcc_lo
	global_store_dword v[4:5], v6, off offset:128
	global_load_dword v6, v[22:23], off offset:192
	s_waitcnt vmcnt(0)
	v_mul_f32_e32 v19, s9, v6
	v_add_co_u32 v6, vcc_lo, v20, v0
	v_add_co_ci_u32_e64 v7, null, v21, v1, vcc_lo
	v_fmac_f32_e32 v19, s4, v18
	v_add_co_u32 v18, vcc_lo, v24, s0
	global_store_dword v[4:5], v19, off offset:192
	global_load_dword v4, v[6:7], off
	v_add_co_ci_u32_e64 v19, null, s1, v25, vcc_lo
	s_waitcnt vmcnt(0)
	v_mul_f32_e32 v22, s9, v4
	v_add_co_u32 v4, vcc_lo, v18, v0
	v_add_co_ci_u32_e64 v5, null, v19, v1, vcc_lo
	v_fmac_f32_e32 v22, s4, v17
	global_store_dword v[4:5], v22, off
	global_load_dword v17, v[6:7], off offset:64
	s_waitcnt vmcnt(0)
	v_mul_f32_e32 v17, s9, v17
	v_fmac_f32_e32 v17, s4, v16
	global_store_dword v[4:5], v17, off offset:64
	global_load_dword v16, v[6:7], off offset:128
	s_waitcnt vmcnt(0)
	v_mul_f32_e32 v16, s9, v16
	v_fmac_f32_e32 v16, s4, v15
	global_store_dword v[4:5], v16, off offset:128
	global_load_dword v6, v[6:7], off offset:192
	v_add_co_u32 v16, vcc_lo, v20, s2
	v_add_co_ci_u32_e64 v17, null, s3, v21, vcc_lo
	s_waitcnt vmcnt(0)
	v_mul_f32_e32 v15, s9, v6
	v_add_co_u32 v6, vcc_lo, v16, v0
	v_add_co_ci_u32_e64 v7, null, v17, v1, vcc_lo
	v_fmac_f32_e32 v15, s4, v14
	v_add_co_u32 v14, vcc_lo, v18, s0
	global_store_dword v[4:5], v15, off offset:192
	global_load_dword v4, v[6:7], off
	v_add_co_ci_u32_e64 v15, null, s1, v19, vcc_lo
	s_waitcnt vmcnt(0)
	v_mul_f32_e32 v18, s9, v4
	v_add_co_u32 v4, vcc_lo, v14, v0
	v_add_co_ci_u32_e64 v5, null, v15, v1, vcc_lo
	v_fmac_f32_e32 v18, s4, v13
	global_store_dword v[4:5], v18, off
	global_load_dword v13, v[6:7], off offset:64
	s_waitcnt vmcnt(0)
	v_mul_f32_e32 v13, s9, v13
	v_fmac_f32_e32 v13, s4, v12
	global_store_dword v[4:5], v13, off offset:64
	global_load_dword v12, v[6:7], off offset:128
	s_waitcnt vmcnt(0)
	v_mul_f32_e32 v12, s9, v12
	v_fmac_f32_e32 v12, s4, v11
	global_store_dword v[4:5], v12, off offset:128
	global_load_dword v6, v[6:7], off offset:192
	s_waitcnt vmcnt(0)
	v_mul_f32_e32 v11, s9, v6
	v_add_co_u32 v6, vcc_lo, v16, s2
	v_add_co_ci_u32_e64 v7, null, s3, v17, vcc_lo
	v_fmac_f32_e32 v11, s4, v10
	v_add_co_u32 v6, vcc_lo, v6, v0
	v_add_co_ci_u32_e64 v7, null, v7, v1, vcc_lo
	global_store_dword v[4:5], v11, off offset:192
	v_add_co_u32 v5, vcc_lo, v14, s0
	global_load_dword v4, v[6:7], off
	v_add_co_ci_u32_e64 v10, null, s1, v15, vcc_lo
	v_add_co_u32 v0, vcc_lo, v5, v0
	v_add_co_ci_u32_e64 v1, null, v10, v1, vcc_lo
	s_waitcnt vmcnt(0)
	v_mul_f32_e32 v4, s9, v4
	v_fmac_f32_e32 v4, s4, v9
	global_store_dword v[0:1], v4, off
	global_load_dword v4, v[6:7], off offset:64
	s_waitcnt vmcnt(0)
	v_mul_f32_e32 v4, s9, v4
	v_fmac_f32_e32 v4, s4, v8
	global_store_dword v[0:1], v4, off offset:64
	global_load_dword v4, v[6:7], off offset:128
	s_waitcnt vmcnt(0)
	v_mul_f32_e32 v4, s9, v4
	v_fmac_f32_e32 v4, s4, v2
	global_store_dword v[0:1], v4, off offset:128
	;; [unrolled: 5-line block ×3, first 2 shown]
.LBB35_6:
	s_endpgm
.LBB35_7:
	s_branch .LBB35_5
	.section	.rodata,"a",@progbits
	.p2align	6, 0x0
	.amdhsa_kernel _ZN12_GLOBAL__N_127rocblas_gemm_batched_kernelIfLi16ELi16ELi64ELi64ELi4ELi64ELi4ELi4ELi64ELc67ELc67EKfS1_fEEvlllT_PT11_llS4_llS2_PT12_llPT13_lli
		.amdhsa_group_segment_fixed_size 2048
		.amdhsa_private_segment_fixed_size 0
		.amdhsa_kernarg_size 140
		.amdhsa_user_sgpr_count 6
		.amdhsa_user_sgpr_private_segment_buffer 1
		.amdhsa_user_sgpr_dispatch_ptr 0
		.amdhsa_user_sgpr_queue_ptr 0
		.amdhsa_user_sgpr_kernarg_segment_ptr 1
		.amdhsa_user_sgpr_dispatch_id 0
		.amdhsa_user_sgpr_flat_scratch_init 0
		.amdhsa_user_sgpr_private_segment_size 0
		.amdhsa_wavefront_size32 1
		.amdhsa_uses_dynamic_stack 0
		.amdhsa_system_sgpr_private_segment_wavefront_offset 0
		.amdhsa_system_sgpr_workgroup_id_x 1
		.amdhsa_system_sgpr_workgroup_id_y 1
		.amdhsa_system_sgpr_workgroup_id_z 1
		.amdhsa_system_sgpr_workgroup_info 0
		.amdhsa_system_vgpr_workitem_id 1
		.amdhsa_next_free_vgpr 58
		.amdhsa_next_free_sgpr 22
		.amdhsa_reserve_vcc 1
		.amdhsa_reserve_flat_scratch 0
		.amdhsa_float_round_mode_32 0
		.amdhsa_float_round_mode_16_64 0
		.amdhsa_float_denorm_mode_32 3
		.amdhsa_float_denorm_mode_16_64 3
		.amdhsa_dx10_clamp 1
		.amdhsa_ieee_mode 1
		.amdhsa_fp16_overflow 0
		.amdhsa_workgroup_processor_mode 1
		.amdhsa_memory_ordered 1
		.amdhsa_forward_progress 1
		.amdhsa_shared_vgpr_count 0
		.amdhsa_exception_fp_ieee_invalid_op 0
		.amdhsa_exception_fp_denorm_src 0
		.amdhsa_exception_fp_ieee_div_zero 0
		.amdhsa_exception_fp_ieee_overflow 0
		.amdhsa_exception_fp_ieee_underflow 0
		.amdhsa_exception_fp_ieee_inexact 0
		.amdhsa_exception_int_div_zero 0
	.end_amdhsa_kernel
	.section	.text._ZN12_GLOBAL__N_127rocblas_gemm_batched_kernelIfLi16ELi16ELi64ELi64ELi4ELi64ELi4ELi4ELi64ELc67ELc67EKfS1_fEEvlllT_PT11_llS4_llS2_PT12_llPT13_lli,"axG",@progbits,_ZN12_GLOBAL__N_127rocblas_gemm_batched_kernelIfLi16ELi16ELi64ELi64ELi4ELi64ELi4ELi4ELi64ELc67ELc67EKfS1_fEEvlllT_PT11_llS4_llS2_PT12_llPT13_lli,comdat
.Lfunc_end35:
	.size	_ZN12_GLOBAL__N_127rocblas_gemm_batched_kernelIfLi16ELi16ELi64ELi64ELi4ELi64ELi4ELi4ELi64ELc67ELc67EKfS1_fEEvlllT_PT11_llS4_llS2_PT12_llPT13_lli, .Lfunc_end35-_ZN12_GLOBAL__N_127rocblas_gemm_batched_kernelIfLi16ELi16ELi64ELi64ELi4ELi64ELi4ELi4ELi64ELc67ELc67EKfS1_fEEvlllT_PT11_llS4_llS2_PT12_llPT13_lli
                                        ; -- End function
	.set _ZN12_GLOBAL__N_127rocblas_gemm_batched_kernelIfLi16ELi16ELi64ELi64ELi4ELi64ELi4ELi4ELi64ELc67ELc67EKfS1_fEEvlllT_PT11_llS4_llS2_PT12_llPT13_lli.num_vgpr, 58
	.set _ZN12_GLOBAL__N_127rocblas_gemm_batched_kernelIfLi16ELi16ELi64ELi64ELi4ELi64ELi4ELi4ELi64ELc67ELc67EKfS1_fEEvlllT_PT11_llS4_llS2_PT12_llPT13_lli.num_agpr, 0
	.set _ZN12_GLOBAL__N_127rocblas_gemm_batched_kernelIfLi16ELi16ELi64ELi64ELi4ELi64ELi4ELi4ELi64ELc67ELc67EKfS1_fEEvlllT_PT11_llS4_llS2_PT12_llPT13_lli.numbered_sgpr, 22
	.set _ZN12_GLOBAL__N_127rocblas_gemm_batched_kernelIfLi16ELi16ELi64ELi64ELi4ELi64ELi4ELi4ELi64ELc67ELc67EKfS1_fEEvlllT_PT11_llS4_llS2_PT12_llPT13_lli.num_named_barrier, 0
	.set _ZN12_GLOBAL__N_127rocblas_gemm_batched_kernelIfLi16ELi16ELi64ELi64ELi4ELi64ELi4ELi4ELi64ELc67ELc67EKfS1_fEEvlllT_PT11_llS4_llS2_PT12_llPT13_lli.private_seg_size, 0
	.set _ZN12_GLOBAL__N_127rocblas_gemm_batched_kernelIfLi16ELi16ELi64ELi64ELi4ELi64ELi4ELi4ELi64ELc67ELc67EKfS1_fEEvlllT_PT11_llS4_llS2_PT12_llPT13_lli.uses_vcc, 1
	.set _ZN12_GLOBAL__N_127rocblas_gemm_batched_kernelIfLi16ELi16ELi64ELi64ELi4ELi64ELi4ELi4ELi64ELc67ELc67EKfS1_fEEvlllT_PT11_llS4_llS2_PT12_llPT13_lli.uses_flat_scratch, 0
	.set _ZN12_GLOBAL__N_127rocblas_gemm_batched_kernelIfLi16ELi16ELi64ELi64ELi4ELi64ELi4ELi4ELi64ELc67ELc67EKfS1_fEEvlllT_PT11_llS4_llS2_PT12_llPT13_lli.has_dyn_sized_stack, 0
	.set _ZN12_GLOBAL__N_127rocblas_gemm_batched_kernelIfLi16ELi16ELi64ELi64ELi4ELi64ELi4ELi4ELi64ELc67ELc67EKfS1_fEEvlllT_PT11_llS4_llS2_PT12_llPT13_lli.has_recursion, 0
	.set _ZN12_GLOBAL__N_127rocblas_gemm_batched_kernelIfLi16ELi16ELi64ELi64ELi4ELi64ELi4ELi4ELi64ELc67ELc67EKfS1_fEEvlllT_PT11_llS4_llS2_PT12_llPT13_lli.has_indirect_call, 0
	.section	.AMDGPU.csdata,"",@progbits
; Kernel info:
; codeLenInByte = 2284
; TotalNumSgprs: 24
; NumVgprs: 58
; ScratchSize: 0
; MemoryBound: 0
; FloatMode: 240
; IeeeMode: 1
; LDSByteSize: 2048 bytes/workgroup (compile time only)
; SGPRBlocks: 0
; VGPRBlocks: 7
; NumSGPRsForWavesPerEU: 24
; NumVGPRsForWavesPerEU: 58
; Occupancy: 16
; WaveLimiterHint : 0
; COMPUTE_PGM_RSRC2:SCRATCH_EN: 0
; COMPUTE_PGM_RSRC2:USER_SGPR: 6
; COMPUTE_PGM_RSRC2:TRAP_HANDLER: 0
; COMPUTE_PGM_RSRC2:TGID_X_EN: 1
; COMPUTE_PGM_RSRC2:TGID_Y_EN: 1
; COMPUTE_PGM_RSRC2:TGID_Z_EN: 1
; COMPUTE_PGM_RSRC2:TIDIG_COMP_CNT: 1
	.section	.text._ZN12_GLOBAL__N_127rocblas_gemm_batched_kernelIfLi16ELi16ELi64ELi64ELi4ELi64ELi4ELi4ELi64ELc67ELc78EKfS1_fEEvlllT_PT11_llS4_llS2_PT12_llPT13_lli,"axG",@progbits,_ZN12_GLOBAL__N_127rocblas_gemm_batched_kernelIfLi16ELi16ELi64ELi64ELi4ELi64ELi4ELi4ELi64ELc67ELc78EKfS1_fEEvlllT_PT11_llS4_llS2_PT12_llPT13_lli,comdat
	.globl	_ZN12_GLOBAL__N_127rocblas_gemm_batched_kernelIfLi16ELi16ELi64ELi64ELi4ELi64ELi4ELi4ELi64ELc67ELc78EKfS1_fEEvlllT_PT11_llS4_llS2_PT12_llPT13_lli ; -- Begin function _ZN12_GLOBAL__N_127rocblas_gemm_batched_kernelIfLi16ELi16ELi64ELi64ELi4ELi64ELi4ELi4ELi64ELc67ELc78EKfS1_fEEvlllT_PT11_llS4_llS2_PT12_llPT13_lli
	.p2align	8
	.type	_ZN12_GLOBAL__N_127rocblas_gemm_batched_kernelIfLi16ELi16ELi64ELi64ELi4ELi64ELi4ELi4ELi64ELc67ELc78EKfS1_fEEvlllT_PT11_llS4_llS2_PT12_llPT13_lli,@function
_ZN12_GLOBAL__N_127rocblas_gemm_batched_kernelIfLi16ELi16ELi64ELi64ELi4ELi64ELi4ELi4ELi64ELc67ELc78EKfS1_fEEvlllT_PT11_llS4_llS2_PT12_llPT13_lli: ; @_ZN12_GLOBAL__N_127rocblas_gemm_batched_kernelIfLi16ELi16ELi64ELi64ELi4ELi64ELi4ELi4ELi64ELc67ELc78EKfS1_fEEvlllT_PT11_llS4_llS2_PT12_llPT13_lli
; %bb.0:
	s_load_dwordx2 s[20:21], s[4:5], 0x10
	s_mov_b32 s0, s7
	v_mov_b32_e32 v19, 0
	v_mov_b32_e32 v21, 0
	;; [unrolled: 1-line block ×16, first 2 shown]
	s_ashr_i32 s7, s6, 31
	s_ashr_i32 s1, s0, 31
	s_waitcnt lgkmcnt(0)
	v_cmp_lt_i64_e64 s2, s[20:21], 1
	s_lshl_b64 s[6:7], s[6:7], 6
	s_lshl_b64 s[10:11], s[0:1], 6
	s_and_b32 vcc_lo, exec_lo, s2
	s_cbranch_vccnz .LBB36_3
; %bb.1:
	v_lshlrev_b32_e32 v7, 4, v1
	s_clause 0x1
	s_load_dwordx4 s[0:3], s[4:5], 0x40
	s_load_dwordx8 s[12:19], s[4:5], 0x20
	v_and_b32_e32 v3, 3, v0
	v_mov_b32_e32 v6, 0
	v_add_nc_u32_e32 v2, v7, v0
	v_add_nc_u32_e32 v25, 0x400, v7
	v_lshlrev_b32_e32 v24, 2, v0
	v_lshlrev_b32_e32 v8, 2, v3
	v_mov_b32_e32 v15, 0
	v_lshrrev_b32_e32 v4, 2, v2
	v_and_b32_e32 v3, 63, v2
	v_lshrrev_b32_e32 v10, 6, v2
	v_mov_b32_e32 v16, 0
	v_mov_b32_e32 v17, 0
	v_add_co_u32 v5, s9, v4, s10
	v_add_co_ci_u32_e64 v9, null, 0, s11, s9
	v_lshlrev_b32_e32 v11, 2, v3
	v_lshl_or_b32 v4, v4, 4, v8
	s_waitcnt lgkmcnt(0)
	v_mul_lo_u32 v12, s1, v5
	v_add_co_u32 v13, s1, s6, v3
	v_add_co_ci_u32_e64 v14, null, s7, 0, s1
	v_mul_lo_u32 v9, s0, v9
	v_mad_u64_u32 v[2:3], null, s0, v5, 0
	v_lshl_or_b32 v22, v10, 8, v11
	v_add_nc_u32_e32 v23, 0x400, v4
	v_mul_lo_u32 v11, s15, v13
	v_mul_lo_u32 v14, s14, v14
	v_mad_u64_u32 v[4:5], null, s14, v13, 0
	v_add3_u32 v3, v3, v9, v12
	s_mul_i32 s0, s3, s8
	s_mul_hi_u32 s1, s2, s8
	s_mul_hi_u32 s3, s16, s8
	s_add_i32 s1, s1, s0
	v_lshlrev_b64 v[2:3], 2, v[2:3]
	v_add3_u32 v5, v5, v14, v11
	s_mul_i32 s0, s2, s8
	s_mul_i32 s2, s17, s8
	s_lshl_b64 s[0:1], s[0:1], 2
	s_add_i32 s3, s3, s2
	v_lshlrev_b64 v[4:5], 2, v[4:5]
	s_mul_i32 s2, s16, s8
	v_add_co_u32 v2, vcc_lo, v2, s0
	v_add_co_ci_u32_e64 v3, null, s1, v3, vcc_lo
	s_lshl_b64 s[0:1], s[2:3], 2
	v_lshlrev_b32_e32 v7, 2, v10
	v_add_co_u32 v4, vcc_lo, v4, s0
	v_add_co_ci_u32_e64 v5, null, s1, v5, vcc_lo
	v_add_co_u32 v2, vcc_lo, v2, v8
	v_add_co_ci_u32_e64 v3, null, 0, v3, vcc_lo
	;; [unrolled: 2-line block ×5, first 2 shown]
	v_mov_b32_e32 v7, 0
	v_mov_b32_e32 v8, 0
	;; [unrolled: 1-line block ×12, first 2 shown]
	s_mov_b64 s[0:1], 0
.LBB36_2:                               ; =>This Inner Loop Header: Depth=1
	global_load_dword v26, v[4:5], off
	global_load_dword v27, v[2:3], off
	s_add_u32 s0, s0, 4
	s_addc_u32 s1, s1, 0
	v_add_co_u32 v2, vcc_lo, v2, 16
	v_cmp_lt_i64_e64 s2, s[0:1], s[20:21]
	v_add_co_ci_u32_e64 v3, null, 0, v3, vcc_lo
	v_add_co_u32 v4, vcc_lo, v4, 16
	v_add_co_ci_u32_e64 v5, null, 0, v5, vcc_lo
	s_and_b32 vcc_lo, exec_lo, s2
	s_waitcnt vmcnt(1)
	ds_write_b32 v22, v26
	s_waitcnt vmcnt(0)
	ds_write_b32 v23, v27
	s_waitcnt lgkmcnt(0)
	s_barrier
	buffer_gl0_inv
	ds_read_b128 v[26:29], v25
	ds_read2_b32 v[42:43], v24 offset1:16
	ds_read2_b32 v[44:45], v24 offset0:32 offset1:48
	ds_read_b128 v[30:33], v25 offset:256
	ds_read_b128 v[34:37], v25 offset:512
	;; [unrolled: 1-line block ×3, first 2 shown]
	ds_read2_b32 v[46:47], v24 offset0:64 offset1:80
	ds_read2_b32 v[48:49], v24 offset0:96 offset1:112
	;; [unrolled: 1-line block ×6, first 2 shown]
	s_waitcnt lgkmcnt(0)
	s_barrier
	buffer_gl0_inv
	v_fmac_f32_e32 v19, v42, v26
	v_fmac_f32_e32 v21, v43, v26
	;; [unrolled: 1-line block ×64, first 2 shown]
	s_cbranch_vccnz .LBB36_2
.LBB36_3:
	s_clause 0x3
	s_load_dwordx4 s[0:3], s[4:5], 0x78
	s_load_dword s9, s[4:5], 0x50
	s_load_dwordx8 s[12:19], s[4:5], 0x58
	s_load_dword s4, s[4:5], 0x18
	v_add_co_u32 v3, s5, s6, v0
	v_add_co_ci_u32_e64 v4, null, s7, 0, s5
	v_add_co_u32 v2, s5, s10, v1
	v_add_co_ci_u32_e64 v5, null, s11, 0, s5
	v_lshlrev_b64 v[0:1], 2, v[3:4]
	s_waitcnt lgkmcnt(0)
	s_mul_i32 s3, s3, s8
	s_mul_hi_u32 s5, s2, s8
	v_mul_lo_u32 v3, v5, s0
	v_mul_lo_u32 v4, v2, s1
	s_mul_i32 s2, s2, s8
	v_cmp_neq_f32_e64 s6, s9, 0
	s_add_i32 s3, s5, s3
	s_mov_b32 s5, 0
	s_lshl_b64 s[2:3], s[2:3], 2
	s_add_u32 s2, s18, s2
	s_addc_u32 s3, s19, s3
	s_and_b32 vcc_lo, exec_lo, s6
	s_cbranch_vccnz .LBB36_7
; %bb.4:
	v_mad_u64_u32 v[22:23], null, v2, s0, 0
	s_lshl_b64 s[6:7], s[0:1], 6
	v_mul_f32_e32 v26, s4, v19
	v_mul_f32_e32 v27, s4, v21
	;; [unrolled: 1-line block ×5, first 2 shown]
	v_add3_u32 v23, v23, v4, v3
	v_mul_f32_e32 v31, s4, v16
	v_mul_f32_e32 v32, s4, v15
	;; [unrolled: 1-line block ×3, first 2 shown]
	v_lshlrev_b64 v[22:23], 2, v[22:23]
	v_add_co_u32 v22, vcc_lo, s2, v22
	v_add_co_ci_u32_e64 v23, null, s3, v23, vcc_lo
	v_add_co_u32 v34, vcc_lo, v22, s6
	v_add_co_ci_u32_e64 v35, null, s7, v23, vcc_lo
	;; [unrolled: 2-line block ×4, first 2 shown]
	global_store_dword v[22:23], v26, off
	global_store_dword v[22:23], v27, off offset:64
	global_store_dword v[22:23], v28, off offset:128
	;; [unrolled: 1-line block ×3, first 2 shown]
	global_store_dword v[24:25], v30, off
	global_store_dword v[24:25], v31, off offset:64
	v_add_co_u32 v26, vcc_lo, v34, s6
	v_add_co_ci_u32_e64 v27, null, s7, v35, vcc_lo
	v_mul_f32_e32 v28, s4, v13
	v_add_co_u32 v22, vcc_lo, v26, v0
	v_add_co_ci_u32_e64 v23, null, v27, v1, vcc_lo
	v_mul_f32_e32 v29, s4, v12
	v_mul_f32_e32 v30, s4, v11
	global_store_dword v[24:25], v32, off offset:128
	global_store_dword v[24:25], v33, off offset:192
	global_store_dword v[22:23], v28, off
	global_store_dword v[22:23], v29, off offset:64
	global_store_dword v[22:23], v30, off offset:128
	v_add_co_u32 v24, vcc_lo, v26, s6
	v_add_co_ci_u32_e64 v25, null, s7, v27, vcc_lo
	v_mul_f32_e32 v28, s4, v10
	v_add_co_u32 v24, vcc_lo, v24, v0
	v_mul_f32_e32 v26, s4, v9
	v_add_co_ci_u32_e64 v25, null, v25, v1, vcc_lo
	v_mul_f32_e32 v27, s4, v8
	v_mul_f32_e32 v29, s4, v7
	;; [unrolled: 1-line block ×3, first 2 shown]
	global_store_dword v[22:23], v28, off offset:192
	global_store_dword v[24:25], v26, off
	global_store_dword v[24:25], v27, off offset:64
	global_store_dword v[24:25], v29, off offset:128
	global_store_dword v[24:25], v30, off offset:192
	s_andn2_b32 vcc_lo, exec_lo, s5
	s_cbranch_vccnz .LBB36_6
.LBB36_5:
	v_mul_lo_u32 v5, v5, s14
	v_mul_lo_u32 v24, v2, s15
	v_mad_u64_u32 v[22:23], null, v2, s14, 0
	s_mul_i32 s5, s17, s8
	s_mul_hi_u32 s7, s16, s8
	s_mul_i32 s6, s16, s8
	s_add_i32 s7, s7, s5
	s_lshl_b64 s[6:7], s[6:7], 2
	v_add3_u32 v23, v23, v24, v5
	s_add_u32 s5, s12, s6
	s_addc_u32 s6, s13, s7
	v_mad_u64_u32 v[24:25], null, v2, s0, 0
	v_lshlrev_b64 v[22:23], 2, v[22:23]
	s_lshl_b64 s[0:1], s[0:1], 6
	v_add3_u32 v25, v25, v4, v3
	v_add_co_u32 v5, vcc_lo, s5, v22
	v_add_co_ci_u32_e64 v26, null, s6, v23, vcc_lo
	v_lshlrev_b64 v[2:3], 2, v[24:25]
	v_add_co_u32 v22, vcc_lo, v5, v0
	v_add_co_ci_u32_e64 v23, null, v26, v1, vcc_lo
	v_add_co_u32 v24, vcc_lo, s2, v2
	global_load_dword v27, v[22:23], off
	v_add_co_ci_u32_e64 v25, null, s3, v3, vcc_lo
	v_add_co_u32 v2, vcc_lo, v24, v0
	s_lshl_b64 s[2:3], s[14:15], 6
	v_add_co_ci_u32_e64 v3, null, v25, v1, vcc_lo
	s_waitcnt vmcnt(0)
	v_mul_f32_e32 v4, s9, v27
	v_fmac_f32_e32 v4, s4, v19
	global_store_dword v[2:3], v4, off
	global_load_dword v4, v[22:23], off offset:64
	s_waitcnt vmcnt(0)
	v_mul_f32_e32 v4, s9, v4
	v_fmac_f32_e32 v4, s4, v21
	global_store_dword v[2:3], v4, off offset:64
	global_load_dword v4, v[22:23], off offset:128
	s_waitcnt vmcnt(0)
	v_mul_f32_e32 v4, s9, v4
	v_fmac_f32_e32 v4, s4, v20
	v_add_co_u32 v20, vcc_lo, v5, s2
	v_add_co_ci_u32_e64 v21, null, s3, v26, vcc_lo
	global_store_dword v[2:3], v4, off offset:128
	global_load_dword v4, v[22:23], off offset:192
	s_waitcnt vmcnt(0)
	v_mul_f32_e32 v19, s9, v4
	v_add_co_u32 v4, vcc_lo, v20, v0
	v_add_co_ci_u32_e64 v5, null, v21, v1, vcc_lo
	v_fmac_f32_e32 v19, s4, v18
	v_add_co_u32 v18, vcc_lo, v24, s0
	global_store_dword v[2:3], v19, off offset:192
	global_load_dword v2, v[4:5], off
	v_add_co_ci_u32_e64 v19, null, s1, v25, vcc_lo
	s_waitcnt vmcnt(0)
	v_mul_f32_e32 v22, s9, v2
	v_add_co_u32 v2, vcc_lo, v18, v0
	v_add_co_ci_u32_e64 v3, null, v19, v1, vcc_lo
	v_fmac_f32_e32 v22, s4, v17
	global_store_dword v[2:3], v22, off
	global_load_dword v17, v[4:5], off offset:64
	s_waitcnt vmcnt(0)
	v_mul_f32_e32 v17, s9, v17
	v_fmac_f32_e32 v17, s4, v16
	global_store_dword v[2:3], v17, off offset:64
	global_load_dword v16, v[4:5], off offset:128
	s_waitcnt vmcnt(0)
	v_mul_f32_e32 v16, s9, v16
	v_fmac_f32_e32 v16, s4, v15
	global_store_dword v[2:3], v16, off offset:128
	global_load_dword v4, v[4:5], off offset:192
	v_add_co_u32 v16, vcc_lo, v20, s2
	v_add_co_ci_u32_e64 v17, null, s3, v21, vcc_lo
	s_waitcnt vmcnt(0)
	v_mul_f32_e32 v15, s9, v4
	v_add_co_u32 v4, vcc_lo, v16, v0
	v_add_co_ci_u32_e64 v5, null, v17, v1, vcc_lo
	v_fmac_f32_e32 v15, s4, v14
	v_add_co_u32 v14, vcc_lo, v18, s0
	global_store_dword v[2:3], v15, off offset:192
	global_load_dword v2, v[4:5], off
	v_add_co_ci_u32_e64 v15, null, s1, v19, vcc_lo
	s_waitcnt vmcnt(0)
	v_mul_f32_e32 v18, s9, v2
	v_add_co_u32 v2, vcc_lo, v14, v0
	v_add_co_ci_u32_e64 v3, null, v15, v1, vcc_lo
	v_fmac_f32_e32 v18, s4, v13
	global_store_dword v[2:3], v18, off
	global_load_dword v13, v[4:5], off offset:64
	s_waitcnt vmcnt(0)
	v_mul_f32_e32 v13, s9, v13
	v_fmac_f32_e32 v13, s4, v12
	global_store_dword v[2:3], v13, off offset:64
	global_load_dword v12, v[4:5], off offset:128
	s_waitcnt vmcnt(0)
	v_mul_f32_e32 v12, s9, v12
	v_fmac_f32_e32 v12, s4, v11
	global_store_dword v[2:3], v12, off offset:128
	global_load_dword v4, v[4:5], off offset:192
	s_waitcnt vmcnt(0)
	v_mul_f32_e32 v11, s9, v4
	v_add_co_u32 v4, vcc_lo, v16, s2
	v_add_co_ci_u32_e64 v5, null, s3, v17, vcc_lo
	v_fmac_f32_e32 v11, s4, v10
	v_add_co_u32 v4, vcc_lo, v4, v0
	v_add_co_ci_u32_e64 v5, null, v5, v1, vcc_lo
	global_store_dword v[2:3], v11, off offset:192
	v_add_co_u32 v3, vcc_lo, v14, s0
	global_load_dword v2, v[4:5], off
	v_add_co_ci_u32_e64 v10, null, s1, v15, vcc_lo
	v_add_co_u32 v0, vcc_lo, v3, v0
	v_add_co_ci_u32_e64 v1, null, v10, v1, vcc_lo
	s_waitcnt vmcnt(0)
	v_mul_f32_e32 v2, s9, v2
	v_fmac_f32_e32 v2, s4, v9
	global_store_dword v[0:1], v2, off
	global_load_dword v2, v[4:5], off offset:64
	s_waitcnt vmcnt(0)
	v_mul_f32_e32 v2, s9, v2
	v_fmac_f32_e32 v2, s4, v8
	global_store_dword v[0:1], v2, off offset:64
	global_load_dword v2, v[4:5], off offset:128
	s_waitcnt vmcnt(0)
	v_mul_f32_e32 v2, s9, v2
	v_fmac_f32_e32 v2, s4, v7
	global_store_dword v[0:1], v2, off offset:128
	;; [unrolled: 5-line block ×3, first 2 shown]
.LBB36_6:
	s_endpgm
.LBB36_7:
	s_branch .LBB36_5
	.section	.rodata,"a",@progbits
	.p2align	6, 0x0
	.amdhsa_kernel _ZN12_GLOBAL__N_127rocblas_gemm_batched_kernelIfLi16ELi16ELi64ELi64ELi4ELi64ELi4ELi4ELi64ELc67ELc78EKfS1_fEEvlllT_PT11_llS4_llS2_PT12_llPT13_lli
		.amdhsa_group_segment_fixed_size 2048
		.amdhsa_private_segment_fixed_size 0
		.amdhsa_kernarg_size 140
		.amdhsa_user_sgpr_count 6
		.amdhsa_user_sgpr_private_segment_buffer 1
		.amdhsa_user_sgpr_dispatch_ptr 0
		.amdhsa_user_sgpr_queue_ptr 0
		.amdhsa_user_sgpr_kernarg_segment_ptr 1
		.amdhsa_user_sgpr_dispatch_id 0
		.amdhsa_user_sgpr_flat_scratch_init 0
		.amdhsa_user_sgpr_private_segment_size 0
		.amdhsa_wavefront_size32 1
		.amdhsa_uses_dynamic_stack 0
		.amdhsa_system_sgpr_private_segment_wavefront_offset 0
		.amdhsa_system_sgpr_workgroup_id_x 1
		.amdhsa_system_sgpr_workgroup_id_y 1
		.amdhsa_system_sgpr_workgroup_id_z 1
		.amdhsa_system_sgpr_workgroup_info 0
		.amdhsa_system_vgpr_workitem_id 1
		.amdhsa_next_free_vgpr 58
		.amdhsa_next_free_sgpr 22
		.amdhsa_reserve_vcc 1
		.amdhsa_reserve_flat_scratch 0
		.amdhsa_float_round_mode_32 0
		.amdhsa_float_round_mode_16_64 0
		.amdhsa_float_denorm_mode_32 3
		.amdhsa_float_denorm_mode_16_64 3
		.amdhsa_dx10_clamp 1
		.amdhsa_ieee_mode 1
		.amdhsa_fp16_overflow 0
		.amdhsa_workgroup_processor_mode 1
		.amdhsa_memory_ordered 1
		.amdhsa_forward_progress 1
		.amdhsa_shared_vgpr_count 0
		.amdhsa_exception_fp_ieee_invalid_op 0
		.amdhsa_exception_fp_denorm_src 0
		.amdhsa_exception_fp_ieee_div_zero 0
		.amdhsa_exception_fp_ieee_overflow 0
		.amdhsa_exception_fp_ieee_underflow 0
		.amdhsa_exception_fp_ieee_inexact 0
		.amdhsa_exception_int_div_zero 0
	.end_amdhsa_kernel
	.section	.text._ZN12_GLOBAL__N_127rocblas_gemm_batched_kernelIfLi16ELi16ELi64ELi64ELi4ELi64ELi4ELi4ELi64ELc67ELc78EKfS1_fEEvlllT_PT11_llS4_llS2_PT12_llPT13_lli,"axG",@progbits,_ZN12_GLOBAL__N_127rocblas_gemm_batched_kernelIfLi16ELi16ELi64ELi64ELi4ELi64ELi4ELi4ELi64ELc67ELc78EKfS1_fEEvlllT_PT11_llS4_llS2_PT12_llPT13_lli,comdat
.Lfunc_end36:
	.size	_ZN12_GLOBAL__N_127rocblas_gemm_batched_kernelIfLi16ELi16ELi64ELi64ELi4ELi64ELi4ELi4ELi64ELc67ELc78EKfS1_fEEvlllT_PT11_llS4_llS2_PT12_llPT13_lli, .Lfunc_end36-_ZN12_GLOBAL__N_127rocblas_gemm_batched_kernelIfLi16ELi16ELi64ELi64ELi4ELi64ELi4ELi4ELi64ELc67ELc78EKfS1_fEEvlllT_PT11_llS4_llS2_PT12_llPT13_lli
                                        ; -- End function
	.set _ZN12_GLOBAL__N_127rocblas_gemm_batched_kernelIfLi16ELi16ELi64ELi64ELi4ELi64ELi4ELi4ELi64ELc67ELc78EKfS1_fEEvlllT_PT11_llS4_llS2_PT12_llPT13_lli.num_vgpr, 58
	.set _ZN12_GLOBAL__N_127rocblas_gemm_batched_kernelIfLi16ELi16ELi64ELi64ELi4ELi64ELi4ELi4ELi64ELc67ELc78EKfS1_fEEvlllT_PT11_llS4_llS2_PT12_llPT13_lli.num_agpr, 0
	.set _ZN12_GLOBAL__N_127rocblas_gemm_batched_kernelIfLi16ELi16ELi64ELi64ELi4ELi64ELi4ELi4ELi64ELc67ELc78EKfS1_fEEvlllT_PT11_llS4_llS2_PT12_llPT13_lli.numbered_sgpr, 22
	.set _ZN12_GLOBAL__N_127rocblas_gemm_batched_kernelIfLi16ELi16ELi64ELi64ELi4ELi64ELi4ELi4ELi64ELc67ELc78EKfS1_fEEvlllT_PT11_llS4_llS2_PT12_llPT13_lli.num_named_barrier, 0
	.set _ZN12_GLOBAL__N_127rocblas_gemm_batched_kernelIfLi16ELi16ELi64ELi64ELi4ELi64ELi4ELi4ELi64ELc67ELc78EKfS1_fEEvlllT_PT11_llS4_llS2_PT12_llPT13_lli.private_seg_size, 0
	.set _ZN12_GLOBAL__N_127rocblas_gemm_batched_kernelIfLi16ELi16ELi64ELi64ELi4ELi64ELi4ELi4ELi64ELc67ELc78EKfS1_fEEvlllT_PT11_llS4_llS2_PT12_llPT13_lli.uses_vcc, 1
	.set _ZN12_GLOBAL__N_127rocblas_gemm_batched_kernelIfLi16ELi16ELi64ELi64ELi4ELi64ELi4ELi4ELi64ELc67ELc78EKfS1_fEEvlllT_PT11_llS4_llS2_PT12_llPT13_lli.uses_flat_scratch, 0
	.set _ZN12_GLOBAL__N_127rocblas_gemm_batched_kernelIfLi16ELi16ELi64ELi64ELi4ELi64ELi4ELi4ELi64ELc67ELc78EKfS1_fEEvlllT_PT11_llS4_llS2_PT12_llPT13_lli.has_dyn_sized_stack, 0
	.set _ZN12_GLOBAL__N_127rocblas_gemm_batched_kernelIfLi16ELi16ELi64ELi64ELi4ELi64ELi4ELi4ELi64ELc67ELc78EKfS1_fEEvlllT_PT11_llS4_llS2_PT12_llPT13_lli.has_recursion, 0
	.set _ZN12_GLOBAL__N_127rocblas_gemm_batched_kernelIfLi16ELi16ELi64ELi64ELi4ELi64ELi4ELi4ELi64ELc67ELc78EKfS1_fEEvlllT_PT11_llS4_llS2_PT12_llPT13_lli.has_indirect_call, 0
	.section	.AMDGPU.csdata,"",@progbits
; Kernel info:
; codeLenInByte = 2316
; TotalNumSgprs: 24
; NumVgprs: 58
; ScratchSize: 0
; MemoryBound: 0
; FloatMode: 240
; IeeeMode: 1
; LDSByteSize: 2048 bytes/workgroup (compile time only)
; SGPRBlocks: 0
; VGPRBlocks: 7
; NumSGPRsForWavesPerEU: 24
; NumVGPRsForWavesPerEU: 58
; Occupancy: 16
; WaveLimiterHint : 0
; COMPUTE_PGM_RSRC2:SCRATCH_EN: 0
; COMPUTE_PGM_RSRC2:USER_SGPR: 6
; COMPUTE_PGM_RSRC2:TRAP_HANDLER: 0
; COMPUTE_PGM_RSRC2:TGID_X_EN: 1
; COMPUTE_PGM_RSRC2:TGID_Y_EN: 1
; COMPUTE_PGM_RSRC2:TGID_Z_EN: 1
; COMPUTE_PGM_RSRC2:TIDIG_COMP_CNT: 1
	.section	.text._ZN12_GLOBAL__N_127rocblas_gemm_batched_kernelIfLi16ELi16ELi64ELi64ELi4ELi64ELi4ELi4ELi64ELc67ELc84EKfS1_fEEvlllT_PT11_llS4_llS2_PT12_llPT13_lli,"axG",@progbits,_ZN12_GLOBAL__N_127rocblas_gemm_batched_kernelIfLi16ELi16ELi64ELi64ELi4ELi64ELi4ELi4ELi64ELc67ELc84EKfS1_fEEvlllT_PT11_llS4_llS2_PT12_llPT13_lli,comdat
	.globl	_ZN12_GLOBAL__N_127rocblas_gemm_batched_kernelIfLi16ELi16ELi64ELi64ELi4ELi64ELi4ELi4ELi64ELc67ELc84EKfS1_fEEvlllT_PT11_llS4_llS2_PT12_llPT13_lli ; -- Begin function _ZN12_GLOBAL__N_127rocblas_gemm_batched_kernelIfLi16ELi16ELi64ELi64ELi4ELi64ELi4ELi4ELi64ELc67ELc84EKfS1_fEEvlllT_PT11_llS4_llS2_PT12_llPT13_lli
	.p2align	8
	.type	_ZN12_GLOBAL__N_127rocblas_gemm_batched_kernelIfLi16ELi16ELi64ELi64ELi4ELi64ELi4ELi4ELi64ELc67ELc84EKfS1_fEEvlllT_PT11_llS4_llS2_PT12_llPT13_lli,@function
_ZN12_GLOBAL__N_127rocblas_gemm_batched_kernelIfLi16ELi16ELi64ELi64ELi4ELi64ELi4ELi4ELi64ELc67ELc84EKfS1_fEEvlllT_PT11_llS4_llS2_PT12_llPT13_lli: ; @_ZN12_GLOBAL__N_127rocblas_gemm_batched_kernelIfLi16ELi16ELi64ELi64ELi4ELi64ELi4ELi4ELi64ELc67ELc84EKfS1_fEEvlllT_PT11_llS4_llS2_PT12_llPT13_lli
; %bb.0:
	s_load_dwordx2 s[20:21], s[4:5], 0x10
	s_mov_b32 s0, s7
	v_mov_b32_e32 v19, 0
	v_mov_b32_e32 v21, 0
	;; [unrolled: 1-line block ×16, first 2 shown]
	s_ashr_i32 s7, s6, 31
	s_ashr_i32 s1, s0, 31
	s_waitcnt lgkmcnt(0)
	v_cmp_lt_i64_e64 s2, s[20:21], 1
	s_lshl_b64 s[6:7], s[6:7], 6
	s_lshl_b64 s[10:11], s[0:1], 6
	s_and_b32 vcc_lo, exec_lo, s2
	s_cbranch_vccnz .LBB37_3
; %bb.1:
	v_lshlrev_b32_e32 v4, 4, v1
	s_clause 0x1
	s_load_dwordx4 s[0:3], s[4:5], 0x40
	s_load_dwordx8 s[12:19], s[4:5], 0x20
	v_and_b32_e32 v8, 3, v0
	v_mov_b32_e32 v3, 0
	v_add_nc_u32_e32 v5, v4, v0
	v_add_nc_u32_e32 v23, 0x400, v4
	v_lshlrev_b32_e32 v22, 2, v0
	v_lshlrev_b32_e32 v6, 2, v8
	v_mov_b32_e32 v13, v3
	v_and_b32_e32 v7, 63, v5
	v_lshrrev_b32_e32 v2, 2, v5
	v_lshrrev_b32_e32 v10, 6, v5
	v_mov_b32_e32 v14, v3
	v_mov_b32_e32 v15, v3
	v_lshlrev_b32_e32 v4, 2, v7
	v_lshl_or_b32 v9, v2, 4, v6
	v_add_co_u32 v6, s9, s6, v7
	v_add_co_ci_u32_e64 v7, null, s7, 0, s9
	v_lshl_or_b32 v24, v10, 8, v4
	s_waitcnt lgkmcnt(0)
	v_mad_u64_u32 v[4:5], null, s0, v8, v[2:3]
	v_mul_lo_u32 v11, s15, v6
	v_mul_lo_u32 v12, s14, v7
	v_mad_u64_u32 v[6:7], null, s14, v6, 0
	s_mul_i32 s3, s3, s8
	s_mul_hi_u32 s9, s2, s8
	v_mov_b32_e32 v2, v5
	s_mul_i32 s2, s2, s8
	s_add_i32 s3, s9, s3
	v_add_nc_u32_e32 v25, 0x400, v9
	v_add3_u32 v7, v7, v12, v11
	v_mad_u64_u32 v[8:9], null, s1, v8, v[2:3]
	s_lshl_b64 s[2:3], s[2:3], 2
	v_lshlrev_b32_e32 v2, 2, v10
	s_add_u32 s9, s18, s2
	s_addc_u32 s14, s19, s3
	s_mul_i32 s2, s17, s8
	s_mul_hi_u32 s3, s16, s8
	v_lshlrev_b64 v[5:6], 2, v[6:7]
	v_add_co_u32 v7, vcc_lo, v4, s10
	s_add_i32 s3, s3, s2
	s_mul_i32 s2, s16, s8
	v_add_co_ci_u32_e64 v8, null, s11, v8, vcc_lo
	s_lshl_b64 s[2:3], s[2:3], 2
	v_mov_b32_e32 v10, v3
	v_add_co_u32 v9, vcc_lo, v5, s2
	v_add_co_ci_u32_e64 v6, null, s3, v6, vcc_lo
	v_lshlrev_b64 v[4:5], 2, v[7:8]
	v_add_co_u32 v2, vcc_lo, v9, v2
	v_add_co_ci_u32_e64 v7, null, 0, v6, vcc_lo
	v_mov_b32_e32 v8, v3
	v_add_co_u32 v4, vcc_lo, s9, v4
	v_add_co_ci_u32_e64 v5, null, s14, v5, vcc_lo
	v_add_co_u32 v6, vcc_lo, s12, v2
	v_add_co_ci_u32_e64 v7, null, s13, v7, vcc_lo
	v_mov_b32_e32 v2, v3
	v_mov_b32_e32 v9, v3
	;; [unrolled: 1-line block ×10, first 2 shown]
	s_lshl_b64 s[0:1], s[0:1], 4
	s_mov_b64 s[2:3], 0
.LBB37_2:                               ; =>This Inner Loop Header: Depth=1
	global_load_dword v26, v[6:7], off
	global_load_dword v27, v[4:5], off
	s_add_u32 s2, s2, 4
	s_addc_u32 s3, s3, 0
	v_add_co_u32 v4, vcc_lo, v4, s0
	v_cmp_lt_i64_e64 s9, s[2:3], s[20:21]
	v_add_co_ci_u32_e64 v5, null, s1, v5, vcc_lo
	v_add_co_u32 v6, vcc_lo, v6, 16
	v_add_co_ci_u32_e64 v7, null, 0, v7, vcc_lo
	s_and_b32 vcc_lo, exec_lo, s9
	s_waitcnt vmcnt(1)
	ds_write_b32 v24, v26
	s_waitcnt vmcnt(0)
	ds_write_b32 v25, v27
	s_waitcnt lgkmcnt(0)
	s_barrier
	buffer_gl0_inv
	ds_read_b128 v[26:29], v23
	ds_read2_b32 v[42:43], v22 offset1:16
	ds_read2_b32 v[44:45], v22 offset0:32 offset1:48
	ds_read_b128 v[30:33], v23 offset:256
	ds_read_b128 v[34:37], v23 offset:512
	;; [unrolled: 1-line block ×3, first 2 shown]
	ds_read2_b32 v[46:47], v22 offset0:64 offset1:80
	ds_read2_b32 v[48:49], v22 offset0:96 offset1:112
	;; [unrolled: 1-line block ×6, first 2 shown]
	s_waitcnt lgkmcnt(0)
	s_barrier
	buffer_gl0_inv
	v_fmac_f32_e32 v19, v42, v26
	v_fmac_f32_e32 v21, v43, v26
	;; [unrolled: 1-line block ×64, first 2 shown]
	s_cbranch_vccnz .LBB37_2
.LBB37_3:
	s_clause 0x3
	s_load_dwordx4 s[0:3], s[4:5], 0x78
	s_load_dword s9, s[4:5], 0x50
	s_load_dwordx8 s[12:19], s[4:5], 0x58
	s_load_dword s4, s[4:5], 0x18
	v_add_co_u32 v5, s5, s6, v0
	v_add_co_ci_u32_e64 v6, null, s7, 0, s5
	v_add_co_u32 v4, s5, s10, v1
	v_add_co_ci_u32_e64 v7, null, s11, 0, s5
	v_lshlrev_b64 v[0:1], 2, v[5:6]
	s_waitcnt lgkmcnt(0)
	s_mul_i32 s3, s3, s8
	s_mul_hi_u32 s5, s2, s8
	v_mul_lo_u32 v5, v7, s0
	v_mul_lo_u32 v6, v4, s1
	s_mul_i32 s2, s2, s8
	v_cmp_neq_f32_e64 s6, s9, 0
	s_add_i32 s3, s5, s3
	s_mov_b32 s5, 0
	s_lshl_b64 s[2:3], s[2:3], 2
	s_add_u32 s2, s18, s2
	s_addc_u32 s3, s19, s3
	s_and_b32 vcc_lo, exec_lo, s6
	s_cbranch_vccnz .LBB37_7
; %bb.4:
	v_mad_u64_u32 v[22:23], null, v4, s0, 0
	s_lshl_b64 s[6:7], s[0:1], 6
	v_mul_f32_e32 v26, s4, v19
	v_mul_f32_e32 v27, s4, v21
	;; [unrolled: 1-line block ×5, first 2 shown]
	v_add3_u32 v23, v23, v6, v5
	v_mul_f32_e32 v31, s4, v16
	v_mul_f32_e32 v32, s4, v15
	v_mul_f32_e32 v33, s4, v14
	v_lshlrev_b64 v[22:23], 2, v[22:23]
	v_add_co_u32 v22, vcc_lo, s2, v22
	v_add_co_ci_u32_e64 v23, null, s3, v23, vcc_lo
	v_add_co_u32 v34, vcc_lo, v22, s6
	v_add_co_ci_u32_e64 v35, null, s7, v23, vcc_lo
	;; [unrolled: 2-line block ×4, first 2 shown]
	global_store_dword v[22:23], v26, off
	global_store_dword v[22:23], v27, off offset:64
	global_store_dword v[22:23], v28, off offset:128
	;; [unrolled: 1-line block ×3, first 2 shown]
	global_store_dword v[24:25], v30, off
	global_store_dword v[24:25], v31, off offset:64
	v_add_co_u32 v26, vcc_lo, v34, s6
	v_add_co_ci_u32_e64 v27, null, s7, v35, vcc_lo
	v_mul_f32_e32 v28, s4, v13
	v_add_co_u32 v22, vcc_lo, v26, v0
	v_add_co_ci_u32_e64 v23, null, v27, v1, vcc_lo
	v_mul_f32_e32 v29, s4, v12
	v_mul_f32_e32 v30, s4, v11
	global_store_dword v[24:25], v32, off offset:128
	global_store_dword v[24:25], v33, off offset:192
	global_store_dword v[22:23], v28, off
	global_store_dword v[22:23], v29, off offset:64
	global_store_dword v[22:23], v30, off offset:128
	v_add_co_u32 v24, vcc_lo, v26, s6
	v_add_co_ci_u32_e64 v25, null, s7, v27, vcc_lo
	v_mul_f32_e32 v28, s4, v10
	v_add_co_u32 v24, vcc_lo, v24, v0
	v_mul_f32_e32 v26, s4, v9
	v_add_co_ci_u32_e64 v25, null, v25, v1, vcc_lo
	v_mul_f32_e32 v27, s4, v8
	v_mul_f32_e32 v29, s4, v2
	;; [unrolled: 1-line block ×3, first 2 shown]
	global_store_dword v[22:23], v28, off offset:192
	global_store_dword v[24:25], v26, off
	global_store_dword v[24:25], v27, off offset:64
	global_store_dword v[24:25], v29, off offset:128
	global_store_dword v[24:25], v30, off offset:192
	s_andn2_b32 vcc_lo, exec_lo, s5
	s_cbranch_vccnz .LBB37_6
.LBB37_5:
	v_mul_lo_u32 v7, v7, s14
	v_mul_lo_u32 v24, v4, s15
	v_mad_u64_u32 v[22:23], null, v4, s14, 0
	s_mul_i32 s5, s17, s8
	s_mul_hi_u32 s7, s16, s8
	s_mul_i32 s6, s16, s8
	s_add_i32 s7, s7, s5
	s_lshl_b64 s[6:7], s[6:7], 2
	v_add3_u32 v23, v23, v24, v7
	s_add_u32 s5, s12, s6
	s_addc_u32 s6, s13, s7
	v_mad_u64_u32 v[24:25], null, v4, s0, 0
	v_lshlrev_b64 v[22:23], 2, v[22:23]
	s_lshl_b64 s[0:1], s[0:1], 6
	v_add3_u32 v25, v25, v6, v5
	v_add_co_u32 v7, vcc_lo, s5, v22
	v_add_co_ci_u32_e64 v26, null, s6, v23, vcc_lo
	v_lshlrev_b64 v[4:5], 2, v[24:25]
	v_add_co_u32 v22, vcc_lo, v7, v0
	v_add_co_ci_u32_e64 v23, null, v26, v1, vcc_lo
	v_add_co_u32 v24, vcc_lo, s2, v4
	global_load_dword v27, v[22:23], off
	v_add_co_ci_u32_e64 v25, null, s3, v5, vcc_lo
	v_add_co_u32 v4, vcc_lo, v24, v0
	s_lshl_b64 s[2:3], s[14:15], 6
	v_add_co_ci_u32_e64 v5, null, v25, v1, vcc_lo
	s_waitcnt vmcnt(0)
	v_mul_f32_e32 v6, s9, v27
	v_fmac_f32_e32 v6, s4, v19
	global_store_dword v[4:5], v6, off
	global_load_dword v6, v[22:23], off offset:64
	s_waitcnt vmcnt(0)
	v_mul_f32_e32 v6, s9, v6
	v_fmac_f32_e32 v6, s4, v21
	global_store_dword v[4:5], v6, off offset:64
	global_load_dword v6, v[22:23], off offset:128
	s_waitcnt vmcnt(0)
	v_mul_f32_e32 v6, s9, v6
	v_fmac_f32_e32 v6, s4, v20
	v_add_co_u32 v20, vcc_lo, v7, s2
	v_add_co_ci_u32_e64 v21, null, s3, v26, vcc_lo
	global_store_dword v[4:5], v6, off offset:128
	global_load_dword v6, v[22:23], off offset:192
	s_waitcnt vmcnt(0)
	v_mul_f32_e32 v19, s9, v6
	v_add_co_u32 v6, vcc_lo, v20, v0
	v_add_co_ci_u32_e64 v7, null, v21, v1, vcc_lo
	v_fmac_f32_e32 v19, s4, v18
	v_add_co_u32 v18, vcc_lo, v24, s0
	global_store_dword v[4:5], v19, off offset:192
	global_load_dword v4, v[6:7], off
	v_add_co_ci_u32_e64 v19, null, s1, v25, vcc_lo
	s_waitcnt vmcnt(0)
	v_mul_f32_e32 v22, s9, v4
	v_add_co_u32 v4, vcc_lo, v18, v0
	v_add_co_ci_u32_e64 v5, null, v19, v1, vcc_lo
	v_fmac_f32_e32 v22, s4, v17
	global_store_dword v[4:5], v22, off
	global_load_dword v17, v[6:7], off offset:64
	s_waitcnt vmcnt(0)
	v_mul_f32_e32 v17, s9, v17
	v_fmac_f32_e32 v17, s4, v16
	global_store_dword v[4:5], v17, off offset:64
	global_load_dword v16, v[6:7], off offset:128
	s_waitcnt vmcnt(0)
	v_mul_f32_e32 v16, s9, v16
	v_fmac_f32_e32 v16, s4, v15
	global_store_dword v[4:5], v16, off offset:128
	global_load_dword v6, v[6:7], off offset:192
	v_add_co_u32 v16, vcc_lo, v20, s2
	v_add_co_ci_u32_e64 v17, null, s3, v21, vcc_lo
	s_waitcnt vmcnt(0)
	v_mul_f32_e32 v15, s9, v6
	v_add_co_u32 v6, vcc_lo, v16, v0
	v_add_co_ci_u32_e64 v7, null, v17, v1, vcc_lo
	v_fmac_f32_e32 v15, s4, v14
	v_add_co_u32 v14, vcc_lo, v18, s0
	global_store_dword v[4:5], v15, off offset:192
	global_load_dword v4, v[6:7], off
	v_add_co_ci_u32_e64 v15, null, s1, v19, vcc_lo
	s_waitcnt vmcnt(0)
	v_mul_f32_e32 v18, s9, v4
	v_add_co_u32 v4, vcc_lo, v14, v0
	v_add_co_ci_u32_e64 v5, null, v15, v1, vcc_lo
	v_fmac_f32_e32 v18, s4, v13
	global_store_dword v[4:5], v18, off
	global_load_dword v13, v[6:7], off offset:64
	s_waitcnt vmcnt(0)
	v_mul_f32_e32 v13, s9, v13
	v_fmac_f32_e32 v13, s4, v12
	global_store_dword v[4:5], v13, off offset:64
	global_load_dword v12, v[6:7], off offset:128
	s_waitcnt vmcnt(0)
	v_mul_f32_e32 v12, s9, v12
	v_fmac_f32_e32 v12, s4, v11
	global_store_dword v[4:5], v12, off offset:128
	global_load_dword v6, v[6:7], off offset:192
	s_waitcnt vmcnt(0)
	v_mul_f32_e32 v11, s9, v6
	v_add_co_u32 v6, vcc_lo, v16, s2
	v_add_co_ci_u32_e64 v7, null, s3, v17, vcc_lo
	v_fmac_f32_e32 v11, s4, v10
	v_add_co_u32 v6, vcc_lo, v6, v0
	v_add_co_ci_u32_e64 v7, null, v7, v1, vcc_lo
	global_store_dword v[4:5], v11, off offset:192
	v_add_co_u32 v5, vcc_lo, v14, s0
	global_load_dword v4, v[6:7], off
	v_add_co_ci_u32_e64 v10, null, s1, v15, vcc_lo
	v_add_co_u32 v0, vcc_lo, v5, v0
	v_add_co_ci_u32_e64 v1, null, v10, v1, vcc_lo
	s_waitcnt vmcnt(0)
	v_mul_f32_e32 v4, s9, v4
	v_fmac_f32_e32 v4, s4, v9
	global_store_dword v[0:1], v4, off
	global_load_dword v4, v[6:7], off offset:64
	s_waitcnt vmcnt(0)
	v_mul_f32_e32 v4, s9, v4
	v_fmac_f32_e32 v4, s4, v8
	global_store_dword v[0:1], v4, off offset:64
	global_load_dword v4, v[6:7], off offset:128
	s_waitcnt vmcnt(0)
	v_mul_f32_e32 v4, s9, v4
	v_fmac_f32_e32 v4, s4, v2
	global_store_dword v[0:1], v4, off offset:128
	;; [unrolled: 5-line block ×3, first 2 shown]
.LBB37_6:
	s_endpgm
.LBB37_7:
	s_branch .LBB37_5
	.section	.rodata,"a",@progbits
	.p2align	6, 0x0
	.amdhsa_kernel _ZN12_GLOBAL__N_127rocblas_gemm_batched_kernelIfLi16ELi16ELi64ELi64ELi4ELi64ELi4ELi4ELi64ELc67ELc84EKfS1_fEEvlllT_PT11_llS4_llS2_PT12_llPT13_lli
		.amdhsa_group_segment_fixed_size 2048
		.amdhsa_private_segment_fixed_size 0
		.amdhsa_kernarg_size 140
		.amdhsa_user_sgpr_count 6
		.amdhsa_user_sgpr_private_segment_buffer 1
		.amdhsa_user_sgpr_dispatch_ptr 0
		.amdhsa_user_sgpr_queue_ptr 0
		.amdhsa_user_sgpr_kernarg_segment_ptr 1
		.amdhsa_user_sgpr_dispatch_id 0
		.amdhsa_user_sgpr_flat_scratch_init 0
		.amdhsa_user_sgpr_private_segment_size 0
		.amdhsa_wavefront_size32 1
		.amdhsa_uses_dynamic_stack 0
		.amdhsa_system_sgpr_private_segment_wavefront_offset 0
		.amdhsa_system_sgpr_workgroup_id_x 1
		.amdhsa_system_sgpr_workgroup_id_y 1
		.amdhsa_system_sgpr_workgroup_id_z 1
		.amdhsa_system_sgpr_workgroup_info 0
		.amdhsa_system_vgpr_workitem_id 1
		.amdhsa_next_free_vgpr 58
		.amdhsa_next_free_sgpr 22
		.amdhsa_reserve_vcc 1
		.amdhsa_reserve_flat_scratch 0
		.amdhsa_float_round_mode_32 0
		.amdhsa_float_round_mode_16_64 0
		.amdhsa_float_denorm_mode_32 3
		.amdhsa_float_denorm_mode_16_64 3
		.amdhsa_dx10_clamp 1
		.amdhsa_ieee_mode 1
		.amdhsa_fp16_overflow 0
		.amdhsa_workgroup_processor_mode 1
		.amdhsa_memory_ordered 1
		.amdhsa_forward_progress 1
		.amdhsa_shared_vgpr_count 0
		.amdhsa_exception_fp_ieee_invalid_op 0
		.amdhsa_exception_fp_denorm_src 0
		.amdhsa_exception_fp_ieee_div_zero 0
		.amdhsa_exception_fp_ieee_overflow 0
		.amdhsa_exception_fp_ieee_underflow 0
		.amdhsa_exception_fp_ieee_inexact 0
		.amdhsa_exception_int_div_zero 0
	.end_amdhsa_kernel
	.section	.text._ZN12_GLOBAL__N_127rocblas_gemm_batched_kernelIfLi16ELi16ELi64ELi64ELi4ELi64ELi4ELi4ELi64ELc67ELc84EKfS1_fEEvlllT_PT11_llS4_llS2_PT12_llPT13_lli,"axG",@progbits,_ZN12_GLOBAL__N_127rocblas_gemm_batched_kernelIfLi16ELi16ELi64ELi64ELi4ELi64ELi4ELi4ELi64ELc67ELc84EKfS1_fEEvlllT_PT11_llS4_llS2_PT12_llPT13_lli,comdat
.Lfunc_end37:
	.size	_ZN12_GLOBAL__N_127rocblas_gemm_batched_kernelIfLi16ELi16ELi64ELi64ELi4ELi64ELi4ELi4ELi64ELc67ELc84EKfS1_fEEvlllT_PT11_llS4_llS2_PT12_llPT13_lli, .Lfunc_end37-_ZN12_GLOBAL__N_127rocblas_gemm_batched_kernelIfLi16ELi16ELi64ELi64ELi4ELi64ELi4ELi4ELi64ELc67ELc84EKfS1_fEEvlllT_PT11_llS4_llS2_PT12_llPT13_lli
                                        ; -- End function
	.set _ZN12_GLOBAL__N_127rocblas_gemm_batched_kernelIfLi16ELi16ELi64ELi64ELi4ELi64ELi4ELi4ELi64ELc67ELc84EKfS1_fEEvlllT_PT11_llS4_llS2_PT12_llPT13_lli.num_vgpr, 58
	.set _ZN12_GLOBAL__N_127rocblas_gemm_batched_kernelIfLi16ELi16ELi64ELi64ELi4ELi64ELi4ELi4ELi64ELc67ELc84EKfS1_fEEvlllT_PT11_llS4_llS2_PT12_llPT13_lli.num_agpr, 0
	.set _ZN12_GLOBAL__N_127rocblas_gemm_batched_kernelIfLi16ELi16ELi64ELi64ELi4ELi64ELi4ELi4ELi64ELc67ELc84EKfS1_fEEvlllT_PT11_llS4_llS2_PT12_llPT13_lli.numbered_sgpr, 22
	.set _ZN12_GLOBAL__N_127rocblas_gemm_batched_kernelIfLi16ELi16ELi64ELi64ELi4ELi64ELi4ELi4ELi64ELc67ELc84EKfS1_fEEvlllT_PT11_llS4_llS2_PT12_llPT13_lli.num_named_barrier, 0
	.set _ZN12_GLOBAL__N_127rocblas_gemm_batched_kernelIfLi16ELi16ELi64ELi64ELi4ELi64ELi4ELi4ELi64ELc67ELc84EKfS1_fEEvlllT_PT11_llS4_llS2_PT12_llPT13_lli.private_seg_size, 0
	.set _ZN12_GLOBAL__N_127rocblas_gemm_batched_kernelIfLi16ELi16ELi64ELi64ELi4ELi64ELi4ELi4ELi64ELc67ELc84EKfS1_fEEvlllT_PT11_llS4_llS2_PT12_llPT13_lli.uses_vcc, 1
	.set _ZN12_GLOBAL__N_127rocblas_gemm_batched_kernelIfLi16ELi16ELi64ELi64ELi4ELi64ELi4ELi4ELi64ELc67ELc84EKfS1_fEEvlllT_PT11_llS4_llS2_PT12_llPT13_lli.uses_flat_scratch, 0
	.set _ZN12_GLOBAL__N_127rocblas_gemm_batched_kernelIfLi16ELi16ELi64ELi64ELi4ELi64ELi4ELi4ELi64ELc67ELc84EKfS1_fEEvlllT_PT11_llS4_llS2_PT12_llPT13_lli.has_dyn_sized_stack, 0
	.set _ZN12_GLOBAL__N_127rocblas_gemm_batched_kernelIfLi16ELi16ELi64ELi64ELi4ELi64ELi4ELi4ELi64ELc67ELc84EKfS1_fEEvlllT_PT11_llS4_llS2_PT12_llPT13_lli.has_recursion, 0
	.set _ZN12_GLOBAL__N_127rocblas_gemm_batched_kernelIfLi16ELi16ELi64ELi64ELi4ELi64ELi4ELi4ELi64ELc67ELc84EKfS1_fEEvlllT_PT11_llS4_llS2_PT12_llPT13_lli.has_indirect_call, 0
	.section	.AMDGPU.csdata,"",@progbits
; Kernel info:
; codeLenInByte = 2284
; TotalNumSgprs: 24
; NumVgprs: 58
; ScratchSize: 0
; MemoryBound: 0
; FloatMode: 240
; IeeeMode: 1
; LDSByteSize: 2048 bytes/workgroup (compile time only)
; SGPRBlocks: 0
; VGPRBlocks: 7
; NumSGPRsForWavesPerEU: 24
; NumVGPRsForWavesPerEU: 58
; Occupancy: 16
; WaveLimiterHint : 0
; COMPUTE_PGM_RSRC2:SCRATCH_EN: 0
; COMPUTE_PGM_RSRC2:USER_SGPR: 6
; COMPUTE_PGM_RSRC2:TRAP_HANDLER: 0
; COMPUTE_PGM_RSRC2:TGID_X_EN: 1
; COMPUTE_PGM_RSRC2:TGID_Y_EN: 1
; COMPUTE_PGM_RSRC2:TGID_Z_EN: 1
; COMPUTE_PGM_RSRC2:TIDIG_COMP_CNT: 1
	.section	.text._ZN12_GLOBAL__N_127rocblas_gemm_batched_kernelIfLi16ELi16ELi64ELi64ELi4ELi64ELi4ELi4ELi64ELc78ELc67EKfS1_fEEvlllT_PT11_llS4_llS2_PT12_llPT13_lli,"axG",@progbits,_ZN12_GLOBAL__N_127rocblas_gemm_batched_kernelIfLi16ELi16ELi64ELi64ELi4ELi64ELi4ELi4ELi64ELc78ELc67EKfS1_fEEvlllT_PT11_llS4_llS2_PT12_llPT13_lli,comdat
	.globl	_ZN12_GLOBAL__N_127rocblas_gemm_batched_kernelIfLi16ELi16ELi64ELi64ELi4ELi64ELi4ELi4ELi64ELc78ELc67EKfS1_fEEvlllT_PT11_llS4_llS2_PT12_llPT13_lli ; -- Begin function _ZN12_GLOBAL__N_127rocblas_gemm_batched_kernelIfLi16ELi16ELi64ELi64ELi4ELi64ELi4ELi4ELi64ELc78ELc67EKfS1_fEEvlllT_PT11_llS4_llS2_PT12_llPT13_lli
	.p2align	8
	.type	_ZN12_GLOBAL__N_127rocblas_gemm_batched_kernelIfLi16ELi16ELi64ELi64ELi4ELi64ELi4ELi4ELi64ELc78ELc67EKfS1_fEEvlllT_PT11_llS4_llS2_PT12_llPT13_lli,@function
_ZN12_GLOBAL__N_127rocblas_gemm_batched_kernelIfLi16ELi16ELi64ELi64ELi4ELi64ELi4ELi4ELi64ELc78ELc67EKfS1_fEEvlllT_PT11_llS4_llS2_PT12_llPT13_lli: ; @_ZN12_GLOBAL__N_127rocblas_gemm_batched_kernelIfLi16ELi16ELi64ELi64ELi4ELi64ELi4ELi4ELi64ELc78ELc67EKfS1_fEEvlllT_PT11_llS4_llS2_PT12_llPT13_lli
; %bb.0:
	s_load_dwordx2 s[20:21], s[4:5], 0x10
	s_mov_b32 s0, s7
	v_mov_b32_e32 v19, 0
	v_mov_b32_e32 v21, 0
	;; [unrolled: 1-line block ×16, first 2 shown]
	s_ashr_i32 s7, s6, 31
	s_ashr_i32 s1, s0, 31
	s_waitcnt lgkmcnt(0)
	v_cmp_lt_i64_e64 s2, s[20:21], 1
	s_lshl_b64 s[6:7], s[6:7], 6
	s_lshl_b64 s[10:11], s[0:1], 6
	s_and_b32 vcc_lo, exec_lo, s2
	s_cbranch_vccnz .LBB38_3
; %bb.1:
	v_lshlrev_b32_e32 v4, 4, v1
	s_clause 0x1
	s_load_dwordx4 s[0:3], s[4:5], 0x40
	s_load_dwordx8 s[12:19], s[4:5], 0x20
	v_and_b32_e32 v8, 3, v0
	v_lshlrev_b32_e32 v22, 2, v0
	v_add_nc_u32_e32 v3, v4, v0
	v_add_nc_u32_e32 v23, 0x400, v4
	v_lshlrev_b32_e32 v5, 2, v8
	v_lshrrev_b32_e32 v2, 2, v3
	v_and_b32_e32 v10, 63, v3
	v_lshrrev_b32_e32 v9, 6, v3
	v_mov_b32_e32 v3, 0
	v_lshl_or_b32 v5, v2, 4, v5
	v_lshlrev_b32_e32 v6, 2, v10
	v_mov_b32_e32 v11, v3
	v_mov_b32_e32 v12, v3
	v_add_nc_u32_e32 v25, 0x400, v5
	s_waitcnt lgkmcnt(0)
	v_mad_u64_u32 v[4:5], null, s0, v8, v[2:3]
	v_lshl_or_b32 v24, v9, 8, v6
	v_mad_u64_u32 v[6:7], null, s14, v9, s[6:7]
	s_mul_i32 s3, s3, s8
	s_mul_hi_u32 s9, s2, s8
	s_mul_i32 s2, s2, s8
	v_mov_b32_e32 v2, v5
	v_add_co_u32 v4, vcc_lo, v4, s10
	v_mov_b32_e32 v5, v7
	s_add_i32 s3, s9, s3
	v_mad_u64_u32 v[7:8], null, s1, v8, v[2:3]
	s_lshl_b64 s[2:3], s[2:3], 2
	v_mad_u64_u32 v[8:9], null, s15, v9, v[5:6]
	s_mul_i32 s17, s17, s8
	s_mul_hi_u32 s22, s16, s8
	s_add_u32 s9, s18, s2
	v_add_co_ci_u32_e64 v5, null, s11, v7, vcc_lo
	v_add_co_u32 v6, vcc_lo, v6, v10
	v_add_co_ci_u32_e64 v7, null, 0, v8, vcc_lo
	v_lshlrev_b64 v[4:5], 2, v[4:5]
	s_mul_i32 s16, s16, s8
	s_addc_u32 s18, s19, s3
	s_add_i32 s17, s22, s17
	v_lshlrev_b64 v[6:7], 2, v[6:7]
	s_lshl_b64 s[2:3], s[16:17], 2
	s_lshl_b64 s[0:1], s[0:1], 4
	v_add_co_u32 v4, vcc_lo, s9, v4
	s_add_u32 s2, s12, s2
	v_add_co_ci_u32_e64 v5, null, s18, v5, vcc_lo
	s_addc_u32 s3, s13, s3
	v_add_co_u32 v6, vcc_lo, s2, v6
	v_add_co_ci_u32_e64 v7, null, s3, v7, vcc_lo
	v_mov_b32_e32 v2, v3
	v_mov_b32_e32 v8, v3
	;; [unrolled: 1-line block ×13, first 2 shown]
	s_lshl_b64 s[2:3], s[14:15], 4
	s_mov_b64 s[12:13], 0
.LBB38_2:                               ; =>This Inner Loop Header: Depth=1
	global_load_dword v26, v[6:7], off
	global_load_dword v27, v[4:5], off
	s_add_u32 s12, s12, 4
	s_addc_u32 s13, s13, 0
	v_add_co_u32 v4, vcc_lo, v4, s0
	v_cmp_lt_i64_e64 s9, s[12:13], s[20:21]
	v_add_co_ci_u32_e64 v5, null, s1, v5, vcc_lo
	v_add_co_u32 v6, vcc_lo, v6, s2
	v_add_co_ci_u32_e64 v7, null, s3, v7, vcc_lo
	s_and_b32 vcc_lo, exec_lo, s9
	s_waitcnt vmcnt(1)
	ds_write_b32 v24, v26
	s_waitcnt vmcnt(0)
	ds_write_b32 v25, v27
	s_waitcnt lgkmcnt(0)
	s_barrier
	buffer_gl0_inv
	ds_read_b128 v[26:29], v23
	ds_read2_b32 v[42:43], v22 offset1:16
	ds_read2_b32 v[44:45], v22 offset0:32 offset1:48
	ds_read_b128 v[30:33], v23 offset:256
	ds_read_b128 v[34:37], v23 offset:512
	;; [unrolled: 1-line block ×3, first 2 shown]
	ds_read2_b32 v[46:47], v22 offset0:64 offset1:80
	ds_read2_b32 v[48:49], v22 offset0:96 offset1:112
	;; [unrolled: 1-line block ×6, first 2 shown]
	s_waitcnt lgkmcnt(0)
	s_barrier
	buffer_gl0_inv
	v_fmac_f32_e32 v19, v42, v26
	v_fmac_f32_e32 v21, v43, v26
	v_fmac_f32_e32 v20, v44, v26
	v_fmac_f32_e32 v18, v45, v26
	v_fmac_f32_e32 v17, v42, v30
	v_fmac_f32_e32 v16, v43, v30
	v_fmac_f32_e32 v15, v44, v30
	v_fmac_f32_e32 v14, v45, v30
	v_fmac_f32_e32 v13, v42, v34
	v_fmac_f32_e32 v12, v43, v34
	v_fmac_f32_e32 v11, v44, v34
	v_fmac_f32_e32 v10, v45, v34
	v_fmac_f32_e32 v9, v42, v38
	v_fmac_f32_e32 v8, v43, v38
	v_fmac_f32_e32 v2, v44, v38
	v_fmac_f32_e32 v3, v45, v38
	v_fmac_f32_e32 v19, v46, v27
	v_fmac_f32_e32 v21, v47, v27
	v_fmac_f32_e32 v20, v48, v27
	v_fmac_f32_e32 v18, v49, v27
	v_fmac_f32_e32 v17, v46, v31
	v_fmac_f32_e32 v16, v47, v31
	v_fmac_f32_e32 v15, v48, v31
	v_fmac_f32_e32 v14, v49, v31
	v_fmac_f32_e32 v13, v46, v35
	v_fmac_f32_e32 v12, v47, v35
	v_fmac_f32_e32 v11, v48, v35
	v_fmac_f32_e32 v10, v49, v35
	v_fmac_f32_e32 v9, v46, v39
	v_fmac_f32_e32 v8, v47, v39
	v_fmac_f32_e32 v2, v48, v39
	v_fmac_f32_e32 v3, v49, v39
	v_fmac_f32_e32 v19, v50, v28
	v_fmac_f32_e32 v21, v51, v28
	v_fmac_f32_e32 v20, v52, v28
	v_fmac_f32_e32 v18, v53, v28
	v_fmac_f32_e32 v17, v50, v32
	v_fmac_f32_e32 v16, v51, v32
	v_fmac_f32_e32 v15, v52, v32
	v_fmac_f32_e32 v14, v53, v32
	v_fmac_f32_e32 v13, v50, v36
	v_fmac_f32_e32 v12, v51, v36
	v_fmac_f32_e32 v11, v52, v36
	v_fmac_f32_e32 v10, v53, v36
	v_fmac_f32_e32 v9, v50, v40
	v_fmac_f32_e32 v8, v51, v40
	v_fmac_f32_e32 v2, v52, v40
	v_fmac_f32_e32 v3, v53, v40
	v_fmac_f32_e32 v19, v54, v29
	v_fmac_f32_e32 v21, v55, v29
	v_fmac_f32_e32 v20, v56, v29
	v_fmac_f32_e32 v18, v57, v29
	v_fmac_f32_e32 v17, v54, v33
	v_fmac_f32_e32 v16, v55, v33
	v_fmac_f32_e32 v15, v56, v33
	v_fmac_f32_e32 v14, v57, v33
	v_fmac_f32_e32 v13, v54, v37
	v_fmac_f32_e32 v12, v55, v37
	v_fmac_f32_e32 v11, v56, v37
	v_fmac_f32_e32 v10, v57, v37
	v_fmac_f32_e32 v9, v54, v41
	v_fmac_f32_e32 v8, v55, v41
	v_fmac_f32_e32 v2, v56, v41
	v_fmac_f32_e32 v3, v57, v41
	s_cbranch_vccnz .LBB38_2
.LBB38_3:
	s_clause 0x3
	s_load_dwordx4 s[0:3], s[4:5], 0x78
	s_load_dword s9, s[4:5], 0x50
	s_load_dwordx8 s[12:19], s[4:5], 0x58
	s_load_dword s4, s[4:5], 0x18
	v_add_co_u32 v5, s5, s6, v0
	v_add_co_ci_u32_e64 v6, null, s7, 0, s5
	v_add_co_u32 v4, s5, s10, v1
	v_add_co_ci_u32_e64 v7, null, s11, 0, s5
	v_lshlrev_b64 v[0:1], 2, v[5:6]
	s_waitcnt lgkmcnt(0)
	s_mul_i32 s3, s3, s8
	s_mul_hi_u32 s5, s2, s8
	v_mul_lo_u32 v5, v7, s0
	v_mul_lo_u32 v6, v4, s1
	s_mul_i32 s2, s2, s8
	v_cmp_neq_f32_e64 s6, s9, 0
	s_add_i32 s3, s5, s3
	s_mov_b32 s5, 0
	s_lshl_b64 s[2:3], s[2:3], 2
	s_add_u32 s2, s18, s2
	s_addc_u32 s3, s19, s3
	s_and_b32 vcc_lo, exec_lo, s6
	s_cbranch_vccnz .LBB38_7
; %bb.4:
	v_mad_u64_u32 v[22:23], null, v4, s0, 0
	s_lshl_b64 s[6:7], s[0:1], 6
	v_mul_f32_e32 v26, s4, v19
	v_mul_f32_e32 v27, s4, v21
	;; [unrolled: 1-line block ×5, first 2 shown]
	v_add3_u32 v23, v23, v6, v5
	v_mul_f32_e32 v31, s4, v16
	v_mul_f32_e32 v32, s4, v15
	;; [unrolled: 1-line block ×3, first 2 shown]
	v_lshlrev_b64 v[22:23], 2, v[22:23]
	v_add_co_u32 v22, vcc_lo, s2, v22
	v_add_co_ci_u32_e64 v23, null, s3, v23, vcc_lo
	v_add_co_u32 v34, vcc_lo, v22, s6
	v_add_co_ci_u32_e64 v35, null, s7, v23, vcc_lo
	;; [unrolled: 2-line block ×4, first 2 shown]
	global_store_dword v[22:23], v26, off
	global_store_dword v[22:23], v27, off offset:64
	global_store_dword v[22:23], v28, off offset:128
	;; [unrolled: 1-line block ×3, first 2 shown]
	global_store_dword v[24:25], v30, off
	global_store_dword v[24:25], v31, off offset:64
	v_add_co_u32 v26, vcc_lo, v34, s6
	v_add_co_ci_u32_e64 v27, null, s7, v35, vcc_lo
	v_mul_f32_e32 v28, s4, v13
	v_add_co_u32 v22, vcc_lo, v26, v0
	v_add_co_ci_u32_e64 v23, null, v27, v1, vcc_lo
	v_mul_f32_e32 v29, s4, v12
	v_mul_f32_e32 v30, s4, v11
	global_store_dword v[24:25], v32, off offset:128
	global_store_dword v[24:25], v33, off offset:192
	global_store_dword v[22:23], v28, off
	global_store_dword v[22:23], v29, off offset:64
	global_store_dword v[22:23], v30, off offset:128
	v_add_co_u32 v24, vcc_lo, v26, s6
	v_add_co_ci_u32_e64 v25, null, s7, v27, vcc_lo
	v_mul_f32_e32 v28, s4, v10
	v_add_co_u32 v24, vcc_lo, v24, v0
	v_mul_f32_e32 v26, s4, v9
	v_add_co_ci_u32_e64 v25, null, v25, v1, vcc_lo
	v_mul_f32_e32 v27, s4, v8
	v_mul_f32_e32 v29, s4, v2
	;; [unrolled: 1-line block ×3, first 2 shown]
	global_store_dword v[22:23], v28, off offset:192
	global_store_dword v[24:25], v26, off
	global_store_dword v[24:25], v27, off offset:64
	global_store_dword v[24:25], v29, off offset:128
	;; [unrolled: 1-line block ×3, first 2 shown]
	s_andn2_b32 vcc_lo, exec_lo, s5
	s_cbranch_vccnz .LBB38_6
.LBB38_5:
	v_mul_lo_u32 v7, v7, s14
	v_mul_lo_u32 v24, v4, s15
	v_mad_u64_u32 v[22:23], null, v4, s14, 0
	s_mul_i32 s5, s17, s8
	s_mul_hi_u32 s7, s16, s8
	s_mul_i32 s6, s16, s8
	s_add_i32 s7, s7, s5
	s_lshl_b64 s[6:7], s[6:7], 2
	v_add3_u32 v23, v23, v24, v7
	s_add_u32 s5, s12, s6
	s_addc_u32 s6, s13, s7
	v_mad_u64_u32 v[24:25], null, v4, s0, 0
	v_lshlrev_b64 v[22:23], 2, v[22:23]
	s_lshl_b64 s[0:1], s[0:1], 6
	v_add3_u32 v25, v25, v6, v5
	v_add_co_u32 v7, vcc_lo, s5, v22
	v_add_co_ci_u32_e64 v26, null, s6, v23, vcc_lo
	v_lshlrev_b64 v[4:5], 2, v[24:25]
	v_add_co_u32 v22, vcc_lo, v7, v0
	v_add_co_ci_u32_e64 v23, null, v26, v1, vcc_lo
	v_add_co_u32 v24, vcc_lo, s2, v4
	global_load_dword v27, v[22:23], off
	v_add_co_ci_u32_e64 v25, null, s3, v5, vcc_lo
	v_add_co_u32 v4, vcc_lo, v24, v0
	s_lshl_b64 s[2:3], s[14:15], 6
	v_add_co_ci_u32_e64 v5, null, v25, v1, vcc_lo
	s_waitcnt vmcnt(0)
	v_mul_f32_e32 v6, s9, v27
	v_fmac_f32_e32 v6, s4, v19
	global_store_dword v[4:5], v6, off
	global_load_dword v6, v[22:23], off offset:64
	s_waitcnt vmcnt(0)
	v_mul_f32_e32 v6, s9, v6
	v_fmac_f32_e32 v6, s4, v21
	global_store_dword v[4:5], v6, off offset:64
	global_load_dword v6, v[22:23], off offset:128
	s_waitcnt vmcnt(0)
	v_mul_f32_e32 v6, s9, v6
	v_fmac_f32_e32 v6, s4, v20
	v_add_co_u32 v20, vcc_lo, v7, s2
	v_add_co_ci_u32_e64 v21, null, s3, v26, vcc_lo
	global_store_dword v[4:5], v6, off offset:128
	global_load_dword v6, v[22:23], off offset:192
	s_waitcnt vmcnt(0)
	v_mul_f32_e32 v19, s9, v6
	v_add_co_u32 v6, vcc_lo, v20, v0
	v_add_co_ci_u32_e64 v7, null, v21, v1, vcc_lo
	v_fmac_f32_e32 v19, s4, v18
	v_add_co_u32 v18, vcc_lo, v24, s0
	global_store_dword v[4:5], v19, off offset:192
	global_load_dword v4, v[6:7], off
	v_add_co_ci_u32_e64 v19, null, s1, v25, vcc_lo
	s_waitcnt vmcnt(0)
	v_mul_f32_e32 v22, s9, v4
	v_add_co_u32 v4, vcc_lo, v18, v0
	v_add_co_ci_u32_e64 v5, null, v19, v1, vcc_lo
	v_fmac_f32_e32 v22, s4, v17
	global_store_dword v[4:5], v22, off
	global_load_dword v17, v[6:7], off offset:64
	s_waitcnt vmcnt(0)
	v_mul_f32_e32 v17, s9, v17
	v_fmac_f32_e32 v17, s4, v16
	global_store_dword v[4:5], v17, off offset:64
	global_load_dword v16, v[6:7], off offset:128
	s_waitcnt vmcnt(0)
	v_mul_f32_e32 v16, s9, v16
	v_fmac_f32_e32 v16, s4, v15
	global_store_dword v[4:5], v16, off offset:128
	global_load_dword v6, v[6:7], off offset:192
	v_add_co_u32 v16, vcc_lo, v20, s2
	v_add_co_ci_u32_e64 v17, null, s3, v21, vcc_lo
	s_waitcnt vmcnt(0)
	v_mul_f32_e32 v15, s9, v6
	v_add_co_u32 v6, vcc_lo, v16, v0
	v_add_co_ci_u32_e64 v7, null, v17, v1, vcc_lo
	v_fmac_f32_e32 v15, s4, v14
	v_add_co_u32 v14, vcc_lo, v18, s0
	global_store_dword v[4:5], v15, off offset:192
	global_load_dword v4, v[6:7], off
	v_add_co_ci_u32_e64 v15, null, s1, v19, vcc_lo
	s_waitcnt vmcnt(0)
	v_mul_f32_e32 v18, s9, v4
	v_add_co_u32 v4, vcc_lo, v14, v0
	v_add_co_ci_u32_e64 v5, null, v15, v1, vcc_lo
	v_fmac_f32_e32 v18, s4, v13
	global_store_dword v[4:5], v18, off
	global_load_dword v13, v[6:7], off offset:64
	s_waitcnt vmcnt(0)
	v_mul_f32_e32 v13, s9, v13
	v_fmac_f32_e32 v13, s4, v12
	global_store_dword v[4:5], v13, off offset:64
	global_load_dword v12, v[6:7], off offset:128
	s_waitcnt vmcnt(0)
	v_mul_f32_e32 v12, s9, v12
	v_fmac_f32_e32 v12, s4, v11
	global_store_dword v[4:5], v12, off offset:128
	global_load_dword v6, v[6:7], off offset:192
	s_waitcnt vmcnt(0)
	v_mul_f32_e32 v11, s9, v6
	v_add_co_u32 v6, vcc_lo, v16, s2
	v_add_co_ci_u32_e64 v7, null, s3, v17, vcc_lo
	v_fmac_f32_e32 v11, s4, v10
	v_add_co_u32 v6, vcc_lo, v6, v0
	v_add_co_ci_u32_e64 v7, null, v7, v1, vcc_lo
	global_store_dword v[4:5], v11, off offset:192
	v_add_co_u32 v5, vcc_lo, v14, s0
	global_load_dword v4, v[6:7], off
	v_add_co_ci_u32_e64 v10, null, s1, v15, vcc_lo
	v_add_co_u32 v0, vcc_lo, v5, v0
	v_add_co_ci_u32_e64 v1, null, v10, v1, vcc_lo
	s_waitcnt vmcnt(0)
	v_mul_f32_e32 v4, s9, v4
	v_fmac_f32_e32 v4, s4, v9
	global_store_dword v[0:1], v4, off
	global_load_dword v4, v[6:7], off offset:64
	s_waitcnt vmcnt(0)
	v_mul_f32_e32 v4, s9, v4
	v_fmac_f32_e32 v4, s4, v8
	global_store_dword v[0:1], v4, off offset:64
	global_load_dword v4, v[6:7], off offset:128
	s_waitcnt vmcnt(0)
	v_mul_f32_e32 v4, s9, v4
	v_fmac_f32_e32 v4, s4, v2
	global_store_dword v[0:1], v4, off offset:128
	;; [unrolled: 5-line block ×3, first 2 shown]
.LBB38_6:
	s_endpgm
.LBB38_7:
	s_branch .LBB38_5
	.section	.rodata,"a",@progbits
	.p2align	6, 0x0
	.amdhsa_kernel _ZN12_GLOBAL__N_127rocblas_gemm_batched_kernelIfLi16ELi16ELi64ELi64ELi4ELi64ELi4ELi4ELi64ELc78ELc67EKfS1_fEEvlllT_PT11_llS4_llS2_PT12_llPT13_lli
		.amdhsa_group_segment_fixed_size 2048
		.amdhsa_private_segment_fixed_size 0
		.amdhsa_kernarg_size 140
		.amdhsa_user_sgpr_count 6
		.amdhsa_user_sgpr_private_segment_buffer 1
		.amdhsa_user_sgpr_dispatch_ptr 0
		.amdhsa_user_sgpr_queue_ptr 0
		.amdhsa_user_sgpr_kernarg_segment_ptr 1
		.amdhsa_user_sgpr_dispatch_id 0
		.amdhsa_user_sgpr_flat_scratch_init 0
		.amdhsa_user_sgpr_private_segment_size 0
		.amdhsa_wavefront_size32 1
		.amdhsa_uses_dynamic_stack 0
		.amdhsa_system_sgpr_private_segment_wavefront_offset 0
		.amdhsa_system_sgpr_workgroup_id_x 1
		.amdhsa_system_sgpr_workgroup_id_y 1
		.amdhsa_system_sgpr_workgroup_id_z 1
		.amdhsa_system_sgpr_workgroup_info 0
		.amdhsa_system_vgpr_workitem_id 1
		.amdhsa_next_free_vgpr 58
		.amdhsa_next_free_sgpr 23
		.amdhsa_reserve_vcc 1
		.amdhsa_reserve_flat_scratch 0
		.amdhsa_float_round_mode_32 0
		.amdhsa_float_round_mode_16_64 0
		.amdhsa_float_denorm_mode_32 3
		.amdhsa_float_denorm_mode_16_64 3
		.amdhsa_dx10_clamp 1
		.amdhsa_ieee_mode 1
		.amdhsa_fp16_overflow 0
		.amdhsa_workgroup_processor_mode 1
		.amdhsa_memory_ordered 1
		.amdhsa_forward_progress 1
		.amdhsa_shared_vgpr_count 0
		.amdhsa_exception_fp_ieee_invalid_op 0
		.amdhsa_exception_fp_denorm_src 0
		.amdhsa_exception_fp_ieee_div_zero 0
		.amdhsa_exception_fp_ieee_overflow 0
		.amdhsa_exception_fp_ieee_underflow 0
		.amdhsa_exception_fp_ieee_inexact 0
		.amdhsa_exception_int_div_zero 0
	.end_amdhsa_kernel
	.section	.text._ZN12_GLOBAL__N_127rocblas_gemm_batched_kernelIfLi16ELi16ELi64ELi64ELi4ELi64ELi4ELi4ELi64ELc78ELc67EKfS1_fEEvlllT_PT11_llS4_llS2_PT12_llPT13_lli,"axG",@progbits,_ZN12_GLOBAL__N_127rocblas_gemm_batched_kernelIfLi16ELi16ELi64ELi64ELi4ELi64ELi4ELi4ELi64ELc78ELc67EKfS1_fEEvlllT_PT11_llS4_llS2_PT12_llPT13_lli,comdat
.Lfunc_end38:
	.size	_ZN12_GLOBAL__N_127rocblas_gemm_batched_kernelIfLi16ELi16ELi64ELi64ELi4ELi64ELi4ELi4ELi64ELc78ELc67EKfS1_fEEvlllT_PT11_llS4_llS2_PT12_llPT13_lli, .Lfunc_end38-_ZN12_GLOBAL__N_127rocblas_gemm_batched_kernelIfLi16ELi16ELi64ELi64ELi4ELi64ELi4ELi4ELi64ELc78ELc67EKfS1_fEEvlllT_PT11_llS4_llS2_PT12_llPT13_lli
                                        ; -- End function
	.set _ZN12_GLOBAL__N_127rocblas_gemm_batched_kernelIfLi16ELi16ELi64ELi64ELi4ELi64ELi4ELi4ELi64ELc78ELc67EKfS1_fEEvlllT_PT11_llS4_llS2_PT12_llPT13_lli.num_vgpr, 58
	.set _ZN12_GLOBAL__N_127rocblas_gemm_batched_kernelIfLi16ELi16ELi64ELi64ELi4ELi64ELi4ELi4ELi64ELc78ELc67EKfS1_fEEvlllT_PT11_llS4_llS2_PT12_llPT13_lli.num_agpr, 0
	.set _ZN12_GLOBAL__N_127rocblas_gemm_batched_kernelIfLi16ELi16ELi64ELi64ELi4ELi64ELi4ELi4ELi64ELc78ELc67EKfS1_fEEvlllT_PT11_llS4_llS2_PT12_llPT13_lli.numbered_sgpr, 23
	.set _ZN12_GLOBAL__N_127rocblas_gemm_batched_kernelIfLi16ELi16ELi64ELi64ELi4ELi64ELi4ELi4ELi64ELc78ELc67EKfS1_fEEvlllT_PT11_llS4_llS2_PT12_llPT13_lli.num_named_barrier, 0
	.set _ZN12_GLOBAL__N_127rocblas_gemm_batched_kernelIfLi16ELi16ELi64ELi64ELi4ELi64ELi4ELi4ELi64ELc78ELc67EKfS1_fEEvlllT_PT11_llS4_llS2_PT12_llPT13_lli.private_seg_size, 0
	.set _ZN12_GLOBAL__N_127rocblas_gemm_batched_kernelIfLi16ELi16ELi64ELi64ELi4ELi64ELi4ELi4ELi64ELc78ELc67EKfS1_fEEvlllT_PT11_llS4_llS2_PT12_llPT13_lli.uses_vcc, 1
	.set _ZN12_GLOBAL__N_127rocblas_gemm_batched_kernelIfLi16ELi16ELi64ELi64ELi4ELi64ELi4ELi4ELi64ELc78ELc67EKfS1_fEEvlllT_PT11_llS4_llS2_PT12_llPT13_lli.uses_flat_scratch, 0
	.set _ZN12_GLOBAL__N_127rocblas_gemm_batched_kernelIfLi16ELi16ELi64ELi64ELi4ELi64ELi4ELi4ELi64ELc78ELc67EKfS1_fEEvlllT_PT11_llS4_llS2_PT12_llPT13_lli.has_dyn_sized_stack, 0
	.set _ZN12_GLOBAL__N_127rocblas_gemm_batched_kernelIfLi16ELi16ELi64ELi64ELi4ELi64ELi4ELi4ELi64ELc78ELc67EKfS1_fEEvlllT_PT11_llS4_llS2_PT12_llPT13_lli.has_recursion, 0
	.set _ZN12_GLOBAL__N_127rocblas_gemm_batched_kernelIfLi16ELi16ELi64ELi64ELi4ELi64ELi4ELi4ELi64ELc78ELc67EKfS1_fEEvlllT_PT11_llS4_llS2_PT12_llPT13_lli.has_indirect_call, 0
	.section	.AMDGPU.csdata,"",@progbits
; Kernel info:
; codeLenInByte = 2248
; TotalNumSgprs: 25
; NumVgprs: 58
; ScratchSize: 0
; MemoryBound: 0
; FloatMode: 240
; IeeeMode: 1
; LDSByteSize: 2048 bytes/workgroup (compile time only)
; SGPRBlocks: 0
; VGPRBlocks: 7
; NumSGPRsForWavesPerEU: 25
; NumVGPRsForWavesPerEU: 58
; Occupancy: 16
; WaveLimiterHint : 0
; COMPUTE_PGM_RSRC2:SCRATCH_EN: 0
; COMPUTE_PGM_RSRC2:USER_SGPR: 6
; COMPUTE_PGM_RSRC2:TRAP_HANDLER: 0
; COMPUTE_PGM_RSRC2:TGID_X_EN: 1
; COMPUTE_PGM_RSRC2:TGID_Y_EN: 1
; COMPUTE_PGM_RSRC2:TGID_Z_EN: 1
; COMPUTE_PGM_RSRC2:TIDIG_COMP_CNT: 1
	.section	.text._ZN12_GLOBAL__N_127rocblas_gemm_batched_kernelIfLi16ELi16ELi64ELi64ELi4ELi64ELi4ELi4ELi64ELc84ELc67EKfS1_fEEvlllT_PT11_llS4_llS2_PT12_llPT13_lli,"axG",@progbits,_ZN12_GLOBAL__N_127rocblas_gemm_batched_kernelIfLi16ELi16ELi64ELi64ELi4ELi64ELi4ELi4ELi64ELc84ELc67EKfS1_fEEvlllT_PT11_llS4_llS2_PT12_llPT13_lli,comdat
	.globl	_ZN12_GLOBAL__N_127rocblas_gemm_batched_kernelIfLi16ELi16ELi64ELi64ELi4ELi64ELi4ELi4ELi64ELc84ELc67EKfS1_fEEvlllT_PT11_llS4_llS2_PT12_llPT13_lli ; -- Begin function _ZN12_GLOBAL__N_127rocblas_gemm_batched_kernelIfLi16ELi16ELi64ELi64ELi4ELi64ELi4ELi4ELi64ELc84ELc67EKfS1_fEEvlllT_PT11_llS4_llS2_PT12_llPT13_lli
	.p2align	8
	.type	_ZN12_GLOBAL__N_127rocblas_gemm_batched_kernelIfLi16ELi16ELi64ELi64ELi4ELi64ELi4ELi4ELi64ELc84ELc67EKfS1_fEEvlllT_PT11_llS4_llS2_PT12_llPT13_lli,@function
_ZN12_GLOBAL__N_127rocblas_gemm_batched_kernelIfLi16ELi16ELi64ELi64ELi4ELi64ELi4ELi4ELi64ELc84ELc67EKfS1_fEEvlllT_PT11_llS4_llS2_PT12_llPT13_lli: ; @_ZN12_GLOBAL__N_127rocblas_gemm_batched_kernelIfLi16ELi16ELi64ELi64ELi4ELi64ELi4ELi4ELi64ELc84ELc67EKfS1_fEEvlllT_PT11_llS4_llS2_PT12_llPT13_lli
; %bb.0:
	s_load_dwordx2 s[20:21], s[4:5], 0x10
	s_mov_b32 s0, s7
	v_mov_b32_e32 v19, 0
	v_mov_b32_e32 v21, 0
	v_mov_b32_e32 v20, 0
	v_mov_b32_e32 v18, 0
	v_mov_b32_e32 v17, 0
	v_mov_b32_e32 v16, 0
	v_mov_b32_e32 v15, 0
	v_mov_b32_e32 v14, 0
	v_mov_b32_e32 v13, 0
	v_mov_b32_e32 v12, 0
	v_mov_b32_e32 v11, 0
	v_mov_b32_e32 v10, 0
	v_mov_b32_e32 v9, 0
	v_mov_b32_e32 v8, 0
	v_mov_b32_e32 v2, 0
	v_mov_b32_e32 v3, 0
	s_ashr_i32 s7, s6, 31
	s_ashr_i32 s1, s0, 31
	s_waitcnt lgkmcnt(0)
	v_cmp_lt_i64_e64 s2, s[20:21], 1
	s_lshl_b64 s[6:7], s[6:7], 6
	s_lshl_b64 s[10:11], s[0:1], 6
	s_and_b32 vcc_lo, exec_lo, s2
	s_cbranch_vccnz .LBB39_3
; %bb.1:
	v_lshlrev_b32_e32 v4, 4, v1
	s_clause 0x1
	s_load_dwordx4 s[0:3], s[4:5], 0x40
	s_load_dwordx8 s[12:19], s[4:5], 0x20
	v_and_b32_e32 v8, 3, v0
	v_mov_b32_e32 v3, 0
	v_add_nc_u32_e32 v5, v4, v0
	v_add_nc_u32_e32 v23, 0x400, v4
	v_lshlrev_b32_e32 v22, 2, v0
	v_lshlrev_b32_e32 v6, 2, v8
	v_mov_b32_e32 v13, v3
	v_and_b32_e32 v7, 63, v5
	v_lshrrev_b32_e32 v2, 2, v5
	v_lshrrev_b32_e32 v10, 6, v5
	v_mov_b32_e32 v14, v3
	v_mov_b32_e32 v15, v3
	v_lshlrev_b32_e32 v4, 2, v7
	v_lshl_or_b32 v9, v2, 4, v6
	v_add_co_u32 v6, s9, s6, v7
	v_add_co_ci_u32_e64 v7, null, s7, 0, s9
	v_lshl_or_b32 v24, v10, 8, v4
	s_waitcnt lgkmcnt(0)
	v_mad_u64_u32 v[4:5], null, s0, v8, v[2:3]
	v_mul_lo_u32 v11, s15, v6
	v_mul_lo_u32 v12, s14, v7
	v_mad_u64_u32 v[6:7], null, s14, v6, 0
	s_mul_i32 s3, s3, s8
	s_mul_hi_u32 s9, s2, s8
	v_mov_b32_e32 v2, v5
	s_mul_i32 s2, s2, s8
	s_add_i32 s3, s9, s3
	v_add_nc_u32_e32 v25, 0x400, v9
	v_add3_u32 v7, v7, v12, v11
	v_mad_u64_u32 v[8:9], null, s1, v8, v[2:3]
	s_lshl_b64 s[2:3], s[2:3], 2
	v_lshlrev_b32_e32 v2, 2, v10
	s_add_u32 s9, s18, s2
	s_addc_u32 s14, s19, s3
	s_mul_i32 s2, s17, s8
	s_mul_hi_u32 s3, s16, s8
	v_lshlrev_b64 v[5:6], 2, v[6:7]
	v_add_co_u32 v7, vcc_lo, v4, s10
	s_add_i32 s3, s3, s2
	s_mul_i32 s2, s16, s8
	v_add_co_ci_u32_e64 v8, null, s11, v8, vcc_lo
	s_lshl_b64 s[2:3], s[2:3], 2
	v_mov_b32_e32 v10, v3
	v_add_co_u32 v9, vcc_lo, v5, s2
	v_add_co_ci_u32_e64 v6, null, s3, v6, vcc_lo
	v_lshlrev_b64 v[4:5], 2, v[7:8]
	v_add_co_u32 v2, vcc_lo, v9, v2
	v_add_co_ci_u32_e64 v7, null, 0, v6, vcc_lo
	v_mov_b32_e32 v8, v3
	v_add_co_u32 v4, vcc_lo, s9, v4
	v_add_co_ci_u32_e64 v5, null, s14, v5, vcc_lo
	v_add_co_u32 v6, vcc_lo, s12, v2
	v_add_co_ci_u32_e64 v7, null, s13, v7, vcc_lo
	v_mov_b32_e32 v2, v3
	v_mov_b32_e32 v9, v3
	;; [unrolled: 1-line block ×10, first 2 shown]
	s_lshl_b64 s[0:1], s[0:1], 4
	s_mov_b64 s[2:3], 0
.LBB39_2:                               ; =>This Inner Loop Header: Depth=1
	global_load_dword v26, v[6:7], off
	global_load_dword v27, v[4:5], off
	s_add_u32 s2, s2, 4
	s_addc_u32 s3, s3, 0
	v_add_co_u32 v4, vcc_lo, v4, s0
	v_cmp_lt_i64_e64 s9, s[2:3], s[20:21]
	v_add_co_ci_u32_e64 v5, null, s1, v5, vcc_lo
	v_add_co_u32 v6, vcc_lo, v6, 16
	v_add_co_ci_u32_e64 v7, null, 0, v7, vcc_lo
	s_and_b32 vcc_lo, exec_lo, s9
	s_waitcnt vmcnt(1)
	ds_write_b32 v24, v26
	s_waitcnt vmcnt(0)
	ds_write_b32 v25, v27
	s_waitcnt lgkmcnt(0)
	s_barrier
	buffer_gl0_inv
	ds_read_b128 v[26:29], v23
	ds_read2_b32 v[42:43], v22 offset1:16
	ds_read2_b32 v[44:45], v22 offset0:32 offset1:48
	ds_read_b128 v[30:33], v23 offset:256
	ds_read_b128 v[34:37], v23 offset:512
	;; [unrolled: 1-line block ×3, first 2 shown]
	ds_read2_b32 v[46:47], v22 offset0:64 offset1:80
	ds_read2_b32 v[48:49], v22 offset0:96 offset1:112
	;; [unrolled: 1-line block ×6, first 2 shown]
	s_waitcnt lgkmcnt(0)
	s_barrier
	buffer_gl0_inv
	v_fmac_f32_e32 v19, v42, v26
	v_fmac_f32_e32 v21, v43, v26
	;; [unrolled: 1-line block ×64, first 2 shown]
	s_cbranch_vccnz .LBB39_2
.LBB39_3:
	s_clause 0x3
	s_load_dwordx4 s[0:3], s[4:5], 0x78
	s_load_dword s9, s[4:5], 0x50
	s_load_dwordx8 s[12:19], s[4:5], 0x58
	s_load_dword s4, s[4:5], 0x18
	v_add_co_u32 v5, s5, s6, v0
	v_add_co_ci_u32_e64 v6, null, s7, 0, s5
	v_add_co_u32 v4, s5, s10, v1
	v_add_co_ci_u32_e64 v7, null, s11, 0, s5
	v_lshlrev_b64 v[0:1], 2, v[5:6]
	s_waitcnt lgkmcnt(0)
	s_mul_i32 s3, s3, s8
	s_mul_hi_u32 s5, s2, s8
	v_mul_lo_u32 v5, v7, s0
	v_mul_lo_u32 v6, v4, s1
	s_mul_i32 s2, s2, s8
	v_cmp_neq_f32_e64 s6, s9, 0
	s_add_i32 s3, s5, s3
	s_mov_b32 s5, 0
	s_lshl_b64 s[2:3], s[2:3], 2
	s_add_u32 s2, s18, s2
	s_addc_u32 s3, s19, s3
	s_and_b32 vcc_lo, exec_lo, s6
	s_cbranch_vccnz .LBB39_7
; %bb.4:
	v_mad_u64_u32 v[22:23], null, v4, s0, 0
	s_lshl_b64 s[6:7], s[0:1], 6
	v_mul_f32_e32 v26, s4, v19
	v_mul_f32_e32 v27, s4, v21
	;; [unrolled: 1-line block ×5, first 2 shown]
	v_add3_u32 v23, v23, v6, v5
	v_mul_f32_e32 v31, s4, v16
	v_mul_f32_e32 v32, s4, v15
	v_mul_f32_e32 v33, s4, v14
	v_lshlrev_b64 v[22:23], 2, v[22:23]
	v_add_co_u32 v22, vcc_lo, s2, v22
	v_add_co_ci_u32_e64 v23, null, s3, v23, vcc_lo
	v_add_co_u32 v34, vcc_lo, v22, s6
	v_add_co_ci_u32_e64 v35, null, s7, v23, vcc_lo
	;; [unrolled: 2-line block ×4, first 2 shown]
	global_store_dword v[22:23], v26, off
	global_store_dword v[22:23], v27, off offset:64
	global_store_dword v[22:23], v28, off offset:128
	;; [unrolled: 1-line block ×3, first 2 shown]
	global_store_dword v[24:25], v30, off
	global_store_dword v[24:25], v31, off offset:64
	v_add_co_u32 v26, vcc_lo, v34, s6
	v_add_co_ci_u32_e64 v27, null, s7, v35, vcc_lo
	v_mul_f32_e32 v28, s4, v13
	v_add_co_u32 v22, vcc_lo, v26, v0
	v_add_co_ci_u32_e64 v23, null, v27, v1, vcc_lo
	v_mul_f32_e32 v29, s4, v12
	v_mul_f32_e32 v30, s4, v11
	global_store_dword v[24:25], v32, off offset:128
	global_store_dword v[24:25], v33, off offset:192
	global_store_dword v[22:23], v28, off
	global_store_dword v[22:23], v29, off offset:64
	global_store_dword v[22:23], v30, off offset:128
	v_add_co_u32 v24, vcc_lo, v26, s6
	v_add_co_ci_u32_e64 v25, null, s7, v27, vcc_lo
	v_mul_f32_e32 v28, s4, v10
	v_add_co_u32 v24, vcc_lo, v24, v0
	v_mul_f32_e32 v26, s4, v9
	v_add_co_ci_u32_e64 v25, null, v25, v1, vcc_lo
	v_mul_f32_e32 v27, s4, v8
	v_mul_f32_e32 v29, s4, v2
	;; [unrolled: 1-line block ×3, first 2 shown]
	global_store_dword v[22:23], v28, off offset:192
	global_store_dword v[24:25], v26, off
	global_store_dword v[24:25], v27, off offset:64
	global_store_dword v[24:25], v29, off offset:128
	;; [unrolled: 1-line block ×3, first 2 shown]
	s_andn2_b32 vcc_lo, exec_lo, s5
	s_cbranch_vccnz .LBB39_6
.LBB39_5:
	v_mul_lo_u32 v7, v7, s14
	v_mul_lo_u32 v24, v4, s15
	v_mad_u64_u32 v[22:23], null, v4, s14, 0
	s_mul_i32 s5, s17, s8
	s_mul_hi_u32 s7, s16, s8
	s_mul_i32 s6, s16, s8
	s_add_i32 s7, s7, s5
	s_lshl_b64 s[6:7], s[6:7], 2
	v_add3_u32 v23, v23, v24, v7
	s_add_u32 s5, s12, s6
	s_addc_u32 s6, s13, s7
	v_mad_u64_u32 v[24:25], null, v4, s0, 0
	v_lshlrev_b64 v[22:23], 2, v[22:23]
	s_lshl_b64 s[0:1], s[0:1], 6
	v_add3_u32 v25, v25, v6, v5
	v_add_co_u32 v7, vcc_lo, s5, v22
	v_add_co_ci_u32_e64 v26, null, s6, v23, vcc_lo
	v_lshlrev_b64 v[4:5], 2, v[24:25]
	v_add_co_u32 v22, vcc_lo, v7, v0
	v_add_co_ci_u32_e64 v23, null, v26, v1, vcc_lo
	v_add_co_u32 v24, vcc_lo, s2, v4
	global_load_dword v27, v[22:23], off
	v_add_co_ci_u32_e64 v25, null, s3, v5, vcc_lo
	v_add_co_u32 v4, vcc_lo, v24, v0
	s_lshl_b64 s[2:3], s[14:15], 6
	v_add_co_ci_u32_e64 v5, null, v25, v1, vcc_lo
	s_waitcnt vmcnt(0)
	v_mul_f32_e32 v6, s9, v27
	v_fmac_f32_e32 v6, s4, v19
	global_store_dword v[4:5], v6, off
	global_load_dword v6, v[22:23], off offset:64
	s_waitcnt vmcnt(0)
	v_mul_f32_e32 v6, s9, v6
	v_fmac_f32_e32 v6, s4, v21
	global_store_dword v[4:5], v6, off offset:64
	global_load_dword v6, v[22:23], off offset:128
	s_waitcnt vmcnt(0)
	v_mul_f32_e32 v6, s9, v6
	v_fmac_f32_e32 v6, s4, v20
	v_add_co_u32 v20, vcc_lo, v7, s2
	v_add_co_ci_u32_e64 v21, null, s3, v26, vcc_lo
	global_store_dword v[4:5], v6, off offset:128
	global_load_dword v6, v[22:23], off offset:192
	s_waitcnt vmcnt(0)
	v_mul_f32_e32 v19, s9, v6
	v_add_co_u32 v6, vcc_lo, v20, v0
	v_add_co_ci_u32_e64 v7, null, v21, v1, vcc_lo
	v_fmac_f32_e32 v19, s4, v18
	v_add_co_u32 v18, vcc_lo, v24, s0
	global_store_dword v[4:5], v19, off offset:192
	global_load_dword v4, v[6:7], off
	v_add_co_ci_u32_e64 v19, null, s1, v25, vcc_lo
	s_waitcnt vmcnt(0)
	v_mul_f32_e32 v22, s9, v4
	v_add_co_u32 v4, vcc_lo, v18, v0
	v_add_co_ci_u32_e64 v5, null, v19, v1, vcc_lo
	v_fmac_f32_e32 v22, s4, v17
	global_store_dword v[4:5], v22, off
	global_load_dword v17, v[6:7], off offset:64
	s_waitcnt vmcnt(0)
	v_mul_f32_e32 v17, s9, v17
	v_fmac_f32_e32 v17, s4, v16
	global_store_dword v[4:5], v17, off offset:64
	global_load_dword v16, v[6:7], off offset:128
	s_waitcnt vmcnt(0)
	v_mul_f32_e32 v16, s9, v16
	v_fmac_f32_e32 v16, s4, v15
	global_store_dword v[4:5], v16, off offset:128
	global_load_dword v6, v[6:7], off offset:192
	v_add_co_u32 v16, vcc_lo, v20, s2
	v_add_co_ci_u32_e64 v17, null, s3, v21, vcc_lo
	s_waitcnt vmcnt(0)
	v_mul_f32_e32 v15, s9, v6
	v_add_co_u32 v6, vcc_lo, v16, v0
	v_add_co_ci_u32_e64 v7, null, v17, v1, vcc_lo
	v_fmac_f32_e32 v15, s4, v14
	v_add_co_u32 v14, vcc_lo, v18, s0
	global_store_dword v[4:5], v15, off offset:192
	global_load_dword v4, v[6:7], off
	v_add_co_ci_u32_e64 v15, null, s1, v19, vcc_lo
	s_waitcnt vmcnt(0)
	v_mul_f32_e32 v18, s9, v4
	v_add_co_u32 v4, vcc_lo, v14, v0
	v_add_co_ci_u32_e64 v5, null, v15, v1, vcc_lo
	v_fmac_f32_e32 v18, s4, v13
	global_store_dword v[4:5], v18, off
	global_load_dword v13, v[6:7], off offset:64
	s_waitcnt vmcnt(0)
	v_mul_f32_e32 v13, s9, v13
	v_fmac_f32_e32 v13, s4, v12
	global_store_dword v[4:5], v13, off offset:64
	global_load_dword v12, v[6:7], off offset:128
	s_waitcnt vmcnt(0)
	v_mul_f32_e32 v12, s9, v12
	v_fmac_f32_e32 v12, s4, v11
	global_store_dword v[4:5], v12, off offset:128
	global_load_dword v6, v[6:7], off offset:192
	s_waitcnt vmcnt(0)
	v_mul_f32_e32 v11, s9, v6
	v_add_co_u32 v6, vcc_lo, v16, s2
	v_add_co_ci_u32_e64 v7, null, s3, v17, vcc_lo
	v_fmac_f32_e32 v11, s4, v10
	v_add_co_u32 v6, vcc_lo, v6, v0
	v_add_co_ci_u32_e64 v7, null, v7, v1, vcc_lo
	global_store_dword v[4:5], v11, off offset:192
	v_add_co_u32 v5, vcc_lo, v14, s0
	global_load_dword v4, v[6:7], off
	v_add_co_ci_u32_e64 v10, null, s1, v15, vcc_lo
	v_add_co_u32 v0, vcc_lo, v5, v0
	v_add_co_ci_u32_e64 v1, null, v10, v1, vcc_lo
	s_waitcnt vmcnt(0)
	v_mul_f32_e32 v4, s9, v4
	v_fmac_f32_e32 v4, s4, v9
	global_store_dword v[0:1], v4, off
	global_load_dword v4, v[6:7], off offset:64
	s_waitcnt vmcnt(0)
	v_mul_f32_e32 v4, s9, v4
	v_fmac_f32_e32 v4, s4, v8
	global_store_dword v[0:1], v4, off offset:64
	global_load_dword v4, v[6:7], off offset:128
	s_waitcnt vmcnt(0)
	v_mul_f32_e32 v4, s9, v4
	v_fmac_f32_e32 v4, s4, v2
	global_store_dword v[0:1], v4, off offset:128
	;; [unrolled: 5-line block ×3, first 2 shown]
.LBB39_6:
	s_endpgm
.LBB39_7:
	s_branch .LBB39_5
	.section	.rodata,"a",@progbits
	.p2align	6, 0x0
	.amdhsa_kernel _ZN12_GLOBAL__N_127rocblas_gemm_batched_kernelIfLi16ELi16ELi64ELi64ELi4ELi64ELi4ELi4ELi64ELc84ELc67EKfS1_fEEvlllT_PT11_llS4_llS2_PT12_llPT13_lli
		.amdhsa_group_segment_fixed_size 2048
		.amdhsa_private_segment_fixed_size 0
		.amdhsa_kernarg_size 140
		.amdhsa_user_sgpr_count 6
		.amdhsa_user_sgpr_private_segment_buffer 1
		.amdhsa_user_sgpr_dispatch_ptr 0
		.amdhsa_user_sgpr_queue_ptr 0
		.amdhsa_user_sgpr_kernarg_segment_ptr 1
		.amdhsa_user_sgpr_dispatch_id 0
		.amdhsa_user_sgpr_flat_scratch_init 0
		.amdhsa_user_sgpr_private_segment_size 0
		.amdhsa_wavefront_size32 1
		.amdhsa_uses_dynamic_stack 0
		.amdhsa_system_sgpr_private_segment_wavefront_offset 0
		.amdhsa_system_sgpr_workgroup_id_x 1
		.amdhsa_system_sgpr_workgroup_id_y 1
		.amdhsa_system_sgpr_workgroup_id_z 1
		.amdhsa_system_sgpr_workgroup_info 0
		.amdhsa_system_vgpr_workitem_id 1
		.amdhsa_next_free_vgpr 58
		.amdhsa_next_free_sgpr 22
		.amdhsa_reserve_vcc 1
		.amdhsa_reserve_flat_scratch 0
		.amdhsa_float_round_mode_32 0
		.amdhsa_float_round_mode_16_64 0
		.amdhsa_float_denorm_mode_32 3
		.amdhsa_float_denorm_mode_16_64 3
		.amdhsa_dx10_clamp 1
		.amdhsa_ieee_mode 1
		.amdhsa_fp16_overflow 0
		.amdhsa_workgroup_processor_mode 1
		.amdhsa_memory_ordered 1
		.amdhsa_forward_progress 1
		.amdhsa_shared_vgpr_count 0
		.amdhsa_exception_fp_ieee_invalid_op 0
		.amdhsa_exception_fp_denorm_src 0
		.amdhsa_exception_fp_ieee_div_zero 0
		.amdhsa_exception_fp_ieee_overflow 0
		.amdhsa_exception_fp_ieee_underflow 0
		.amdhsa_exception_fp_ieee_inexact 0
		.amdhsa_exception_int_div_zero 0
	.end_amdhsa_kernel
	.section	.text._ZN12_GLOBAL__N_127rocblas_gemm_batched_kernelIfLi16ELi16ELi64ELi64ELi4ELi64ELi4ELi4ELi64ELc84ELc67EKfS1_fEEvlllT_PT11_llS4_llS2_PT12_llPT13_lli,"axG",@progbits,_ZN12_GLOBAL__N_127rocblas_gemm_batched_kernelIfLi16ELi16ELi64ELi64ELi4ELi64ELi4ELi4ELi64ELc84ELc67EKfS1_fEEvlllT_PT11_llS4_llS2_PT12_llPT13_lli,comdat
.Lfunc_end39:
	.size	_ZN12_GLOBAL__N_127rocblas_gemm_batched_kernelIfLi16ELi16ELi64ELi64ELi4ELi64ELi4ELi4ELi64ELc84ELc67EKfS1_fEEvlllT_PT11_llS4_llS2_PT12_llPT13_lli, .Lfunc_end39-_ZN12_GLOBAL__N_127rocblas_gemm_batched_kernelIfLi16ELi16ELi64ELi64ELi4ELi64ELi4ELi4ELi64ELc84ELc67EKfS1_fEEvlllT_PT11_llS4_llS2_PT12_llPT13_lli
                                        ; -- End function
	.set _ZN12_GLOBAL__N_127rocblas_gemm_batched_kernelIfLi16ELi16ELi64ELi64ELi4ELi64ELi4ELi4ELi64ELc84ELc67EKfS1_fEEvlllT_PT11_llS4_llS2_PT12_llPT13_lli.num_vgpr, 58
	.set _ZN12_GLOBAL__N_127rocblas_gemm_batched_kernelIfLi16ELi16ELi64ELi64ELi4ELi64ELi4ELi4ELi64ELc84ELc67EKfS1_fEEvlllT_PT11_llS4_llS2_PT12_llPT13_lli.num_agpr, 0
	.set _ZN12_GLOBAL__N_127rocblas_gemm_batched_kernelIfLi16ELi16ELi64ELi64ELi4ELi64ELi4ELi4ELi64ELc84ELc67EKfS1_fEEvlllT_PT11_llS4_llS2_PT12_llPT13_lli.numbered_sgpr, 22
	.set _ZN12_GLOBAL__N_127rocblas_gemm_batched_kernelIfLi16ELi16ELi64ELi64ELi4ELi64ELi4ELi4ELi64ELc84ELc67EKfS1_fEEvlllT_PT11_llS4_llS2_PT12_llPT13_lli.num_named_barrier, 0
	.set _ZN12_GLOBAL__N_127rocblas_gemm_batched_kernelIfLi16ELi16ELi64ELi64ELi4ELi64ELi4ELi4ELi64ELc84ELc67EKfS1_fEEvlllT_PT11_llS4_llS2_PT12_llPT13_lli.private_seg_size, 0
	.set _ZN12_GLOBAL__N_127rocblas_gemm_batched_kernelIfLi16ELi16ELi64ELi64ELi4ELi64ELi4ELi4ELi64ELc84ELc67EKfS1_fEEvlllT_PT11_llS4_llS2_PT12_llPT13_lli.uses_vcc, 1
	.set _ZN12_GLOBAL__N_127rocblas_gemm_batched_kernelIfLi16ELi16ELi64ELi64ELi4ELi64ELi4ELi4ELi64ELc84ELc67EKfS1_fEEvlllT_PT11_llS4_llS2_PT12_llPT13_lli.uses_flat_scratch, 0
	.set _ZN12_GLOBAL__N_127rocblas_gemm_batched_kernelIfLi16ELi16ELi64ELi64ELi4ELi64ELi4ELi4ELi64ELc84ELc67EKfS1_fEEvlllT_PT11_llS4_llS2_PT12_llPT13_lli.has_dyn_sized_stack, 0
	.set _ZN12_GLOBAL__N_127rocblas_gemm_batched_kernelIfLi16ELi16ELi64ELi64ELi4ELi64ELi4ELi4ELi64ELc84ELc67EKfS1_fEEvlllT_PT11_llS4_llS2_PT12_llPT13_lli.has_recursion, 0
	.set _ZN12_GLOBAL__N_127rocblas_gemm_batched_kernelIfLi16ELi16ELi64ELi64ELi4ELi64ELi4ELi4ELi64ELc84ELc67EKfS1_fEEvlllT_PT11_llS4_llS2_PT12_llPT13_lli.has_indirect_call, 0
	.section	.AMDGPU.csdata,"",@progbits
; Kernel info:
; codeLenInByte = 2284
; TotalNumSgprs: 24
; NumVgprs: 58
; ScratchSize: 0
; MemoryBound: 0
; FloatMode: 240
; IeeeMode: 1
; LDSByteSize: 2048 bytes/workgroup (compile time only)
; SGPRBlocks: 0
; VGPRBlocks: 7
; NumSGPRsForWavesPerEU: 24
; NumVGPRsForWavesPerEU: 58
; Occupancy: 16
; WaveLimiterHint : 0
; COMPUTE_PGM_RSRC2:SCRATCH_EN: 0
; COMPUTE_PGM_RSRC2:USER_SGPR: 6
; COMPUTE_PGM_RSRC2:TRAP_HANDLER: 0
; COMPUTE_PGM_RSRC2:TGID_X_EN: 1
; COMPUTE_PGM_RSRC2:TGID_Y_EN: 1
; COMPUTE_PGM_RSRC2:TGID_Z_EN: 1
; COMPUTE_PGM_RSRC2:TIDIG_COMP_CNT: 1
	.section	.text._ZN12_GLOBAL__N_127rocblas_gemm_batched_kernelIfLi16ELi16ELi32ELi32ELi8ELi32ELi8ELi8ELi32ELc78ELc78EKfS1_fEEvlllT_PT11_llS4_llS2_PT12_llPT13_lli,"axG",@progbits,_ZN12_GLOBAL__N_127rocblas_gemm_batched_kernelIfLi16ELi16ELi32ELi32ELi8ELi32ELi8ELi8ELi32ELc78ELc78EKfS1_fEEvlllT_PT11_llS4_llS2_PT12_llPT13_lli,comdat
	.globl	_ZN12_GLOBAL__N_127rocblas_gemm_batched_kernelIfLi16ELi16ELi32ELi32ELi8ELi32ELi8ELi8ELi32ELc78ELc78EKfS1_fEEvlllT_PT11_llS4_llS2_PT12_llPT13_lli ; -- Begin function _ZN12_GLOBAL__N_127rocblas_gemm_batched_kernelIfLi16ELi16ELi32ELi32ELi8ELi32ELi8ELi8ELi32ELc78ELc78EKfS1_fEEvlllT_PT11_llS4_llS2_PT12_llPT13_lli
	.p2align	8
	.type	_ZN12_GLOBAL__N_127rocblas_gemm_batched_kernelIfLi16ELi16ELi32ELi32ELi8ELi32ELi8ELi8ELi32ELc78ELc78EKfS1_fEEvlllT_PT11_llS4_llS2_PT12_llPT13_lli,@function
_ZN12_GLOBAL__N_127rocblas_gemm_batched_kernelIfLi16ELi16ELi32ELi32ELi8ELi32ELi8ELi8ELi32ELc78ELc78EKfS1_fEEvlllT_PT11_llS4_llS2_PT12_llPT13_lli: ; @_ZN12_GLOBAL__N_127rocblas_gemm_batched_kernelIfLi16ELi16ELi32ELi32ELi8ELi32ELi8ELi8ELi32ELc78ELc78EKfS1_fEEvlllT_PT11_llS4_llS2_PT12_llPT13_lli
; %bb.0:
	s_load_dwordx2 s[20:21], s[4:5], 0x10
	s_mov_b32 s0, s7
	v_mov_b32_e32 v9, 0
	v_mov_b32_e32 v8, 0
	;; [unrolled: 1-line block ×4, first 2 shown]
	s_ashr_i32 s7, s6, 31
	s_ashr_i32 s1, s0, 31
	s_lshl_b64 s[6:7], s[6:7], 5
	s_lshl_b64 s[10:11], s[0:1], 5
	s_waitcnt lgkmcnt(0)
	v_cmp_lt_i64_e64 s2, s[20:21], 1
	s_and_b32 vcc_lo, exec_lo, s2
	s_cbranch_vccnz .LBB40_3
; %bb.1:
	s_load_dwordx4 s[0:3], s[4:5], 0x40
	v_lshl_add_u32 v2, v1, 4, v0
	s_load_dwordx8 s[12:19], s[4:5], 0x20
	v_and_b32_e32 v3, 7, v0
	v_mov_b32_e32 v6, 0
	v_lshlrev_b32_e32 v10, 2, v0
	v_lshrrev_b32_e32 v4, 3, v2
	v_and_b32_e32 v9, 31, v2
	v_lshlrev_b32_e32 v14, 2, v3
	v_lshrrev_b32_e32 v7, 5, v2
	v_lshl_add_u32 v11, v1, 5, 0x400
	v_add_co_u32 v3, s9, v4, s10
	v_add_co_ci_u32_e64 v5, null, 0, s11, s9
	v_lshl_or_b32 v13, v4, 5, v14
	v_lshlrev_b32_e32 v8, 2, v9
	v_add_nc_u32_e32 v13, 0x400, v13
	s_waitcnt lgkmcnt(0)
	v_mul_lo_u32 v15, s1, v3
	v_mul_lo_u32 v16, s0, v5
	v_mad_u64_u32 v[2:3], null, s0, v3, 0
	v_mad_u64_u32 v[4:5], null, s14, v7, s[6:7]
	s_mul_i32 s1, s3, s8
	s_mul_hi_u32 s3, s2, s8
	v_lshl_or_b32 v12, v7, 7, v8
	s_mul_i32 s0, s2, s8
	v_add3_u32 v3, v3, v16, v15
	s_add_i32 s1, s3, s1
	v_mad_u64_u32 v[7:8], null, s15, v7, v[5:6]
	s_lshl_b64 s[0:1], s[0:1], 2
	v_lshlrev_b64 v[2:3], 2, v[2:3]
	s_mul_i32 s2, s17, s8
	s_mul_hi_u32 s3, s16, s8
	v_add_co_u32 v5, vcc_lo, v2, s0
	v_add_co_ci_u32_e64 v8, null, s1, v3, vcc_lo
	v_add_co_u32 v2, vcc_lo, v4, v9
	v_add_co_ci_u32_e64 v3, null, 0, v7, vcc_lo
	v_add_co_u32 v7, vcc_lo, v5, v14
	s_add_i32 s1, s3, s2
	s_mul_i32 s0, s16, s8
	v_lshlrev_b64 v[4:5], 2, v[2:3]
	v_add_co_ci_u32_e64 v8, null, 0, v8, vcc_lo
	s_lshl_b64 s[0:1], s[0:1], 2
	v_add_co_u32 v2, vcc_lo, s18, v7
	s_add_u32 s0, s12, s0
	v_add_co_ci_u32_e64 v3, null, s19, v8, vcc_lo
	s_addc_u32 s1, s13, s1
	v_add_co_u32 v4, vcc_lo, s0, v4
	v_add_co_ci_u32_e64 v5, null, s1, v5, vcc_lo
	v_mov_b32_e32 v7, 0
	v_mov_b32_e32 v8, 0
	;; [unrolled: 1-line block ×3, first 2 shown]
	s_lshl_b64 s[0:1], s[14:15], 5
	s_mov_b64 s[2:3], 0
.LBB40_2:                               ; =>This Inner Loop Header: Depth=1
	global_load_dword v14, v[4:5], off
	global_load_dword v15, v[2:3], off
	s_add_u32 s2, s2, 8
	s_addc_u32 s3, s3, 0
	v_add_co_u32 v2, vcc_lo, v2, 32
	v_cmp_lt_i64_e64 s9, s[2:3], s[20:21]
	v_add_co_ci_u32_e64 v3, null, 0, v3, vcc_lo
	v_add_co_u32 v4, vcc_lo, v4, s0
	v_add_co_ci_u32_e64 v5, null, s1, v5, vcc_lo
	s_and_b32 vcc_lo, exec_lo, s9
	s_waitcnt vmcnt(1)
	ds_write_b32 v12, v14
	s_waitcnt vmcnt(0)
	ds_write_b32 v13, v15
	s_waitcnt lgkmcnt(0)
	s_barrier
	buffer_gl0_inv
	ds_read_b128 v[14:17], v11
	ds_read2_b32 v[30:31], v10 offset1:16
	ds_read_b128 v[18:21], v11 offset:512
	ds_read2_b32 v[32:33], v10 offset0:32 offset1:48
	ds_read2_b32 v[34:35], v10 offset0:64 offset1:80
	ds_read_b128 v[22:25], v11 offset:16
	ds_read2_b32 v[36:37], v10 offset0:96 offset1:112
	ds_read2_b32 v[38:39], v10 offset0:128 offset1:144
	;; [unrolled: 3-line block ×3, first 2 shown]
	ds_read2_b32 v[44:45], v10 offset0:224 offset1:240
	s_waitcnt lgkmcnt(0)
	s_barrier
	buffer_gl0_inv
	v_fmac_f32_e32 v9, v30, v14
	v_fmac_f32_e32 v8, v31, v14
	;; [unrolled: 1-line block ×32, first 2 shown]
	s_cbranch_vccnz .LBB40_2
.LBB40_3:
	s_clause 0x3
	s_load_dwordx4 s[0:3], s[4:5], 0x78
	s_load_dword s9, s[4:5], 0x50
	s_load_dwordx8 s[12:19], s[4:5], 0x58
	s_load_dword s4, s[4:5], 0x18
	v_add_co_u32 v3, s5, s6, v0
	v_add_co_ci_u32_e64 v4, null, s7, 0, s5
	v_add_co_u32 v2, s5, s10, v1
	v_add_co_ci_u32_e64 v5, null, s11, 0, s5
	v_lshlrev_b64 v[0:1], 2, v[3:4]
	s_waitcnt lgkmcnt(0)
	s_mul_i32 s3, s3, s8
	s_mul_hi_u32 s5, s2, s8
	v_mul_lo_u32 v3, v5, s0
	v_mul_lo_u32 v4, v2, s1
	s_mul_i32 s2, s2, s8
	v_cmp_neq_f32_e64 s6, s9, 0
	s_add_i32 s3, s5, s3
	s_mov_b32 s5, 0
	s_lshl_b64 s[2:3], s[2:3], 2
	s_add_u32 s2, s18, s2
	s_addc_u32 s3, s19, s3
	s_and_b32 vcc_lo, exec_lo, s6
	s_cbranch_vccnz .LBB40_7
; %bb.4:
	v_mad_u64_u32 v[10:11], null, v2, s0, 0
	s_lshl_b64 s[6:7], s[0:1], 6
	v_mul_f32_e32 v14, s4, v9
	v_mul_f32_e32 v15, s4, v8
	v_mul_f32_e32 v16, s4, v7
	v_mul_f32_e32 v17, s4, v6
	v_add3_u32 v11, v11, v4, v3
	v_lshlrev_b64 v[10:11], 2, v[10:11]
	v_add_co_u32 v10, vcc_lo, s2, v10
	v_add_co_ci_u32_e64 v11, null, s3, v11, vcc_lo
	v_add_co_u32 v12, vcc_lo, v10, s6
	v_add_co_ci_u32_e64 v13, null, s7, v11, vcc_lo
	;; [unrolled: 2-line block ×4, first 2 shown]
	global_store_dword v[10:11], v14, off
	global_store_dword v[10:11], v15, off offset:64
	global_store_dword v[12:13], v16, off
	global_store_dword v[12:13], v17, off offset:64
	s_andn2_b32 vcc_lo, exec_lo, s5
	s_cbranch_vccnz .LBB40_6
.LBB40_5:
	v_mul_lo_u32 v5, v5, s14
	v_mul_lo_u32 v12, v2, s15
	v_mad_u64_u32 v[10:11], null, v2, s14, 0
	s_mul_i32 s5, s17, s8
	s_mul_hi_u32 s7, s16, s8
	s_mul_i32 s6, s16, s8
	s_add_i32 s7, s7, s5
	s_lshl_b64 s[6:7], s[6:7], 2
	v_add3_u32 v11, v11, v12, v5
	s_add_u32 s5, s12, s6
	s_addc_u32 s6, s13, s7
	v_mad_u64_u32 v[12:13], null, v2, s0, 0
	v_lshlrev_b64 v[10:11], 2, v[10:11]
	s_lshl_b64 s[0:1], s[0:1], 6
	v_add3_u32 v13, v13, v4, v3
	v_add_co_u32 v5, vcc_lo, s5, v10
	v_add_co_ci_u32_e64 v14, null, s6, v11, vcc_lo
	v_lshlrev_b64 v[2:3], 2, v[12:13]
	v_add_co_u32 v10, vcc_lo, v5, v0
	v_add_co_ci_u32_e64 v11, null, v14, v1, vcc_lo
	v_add_co_u32 v12, vcc_lo, s2, v2
	global_load_dword v15, v[10:11], off
	v_add_co_ci_u32_e64 v13, null, s3, v3, vcc_lo
	v_add_co_u32 v2, vcc_lo, v12, v0
	s_lshl_b64 s[2:3], s[14:15], 6
	v_add_co_ci_u32_e64 v3, null, v13, v1, vcc_lo
	s_waitcnt vmcnt(0)
	v_mul_f32_e32 v4, s9, v15
	v_fmac_f32_e32 v4, s4, v9
	global_store_dword v[2:3], v4, off
	global_load_dword v4, v[10:11], off offset:64
	s_waitcnt vmcnt(0)
	v_mul_f32_e32 v9, s9, v4
	v_add_co_u32 v4, vcc_lo, v5, s2
	v_add_co_ci_u32_e64 v5, null, s3, v14, vcc_lo
	v_fmac_f32_e32 v9, s4, v8
	v_add_co_u32 v4, vcc_lo, v4, v0
	v_add_co_ci_u32_e64 v5, null, v5, v1, vcc_lo
	global_store_dword v[2:3], v9, off offset:64
	v_add_co_u32 v3, vcc_lo, v12, s0
	global_load_dword v2, v[4:5], off
	v_add_co_ci_u32_e64 v8, null, s1, v13, vcc_lo
	v_add_co_u32 v0, vcc_lo, v3, v0
	v_add_co_ci_u32_e64 v1, null, v8, v1, vcc_lo
	s_waitcnt vmcnt(0)
	v_mul_f32_e32 v2, s9, v2
	v_fmac_f32_e32 v2, s4, v7
	global_store_dword v[0:1], v2, off
	global_load_dword v2, v[4:5], off offset:64
	s_waitcnt vmcnt(0)
	v_mul_f32_e32 v2, s9, v2
	v_fmac_f32_e32 v2, s4, v6
	global_store_dword v[0:1], v2, off offset:64
.LBB40_6:
	s_endpgm
.LBB40_7:
	s_branch .LBB40_5
	.section	.rodata,"a",@progbits
	.p2align	6, 0x0
	.amdhsa_kernel _ZN12_GLOBAL__N_127rocblas_gemm_batched_kernelIfLi16ELi16ELi32ELi32ELi8ELi32ELi8ELi8ELi32ELc78ELc78EKfS1_fEEvlllT_PT11_llS4_llS2_PT12_llPT13_lli
		.amdhsa_group_segment_fixed_size 2048
		.amdhsa_private_segment_fixed_size 0
		.amdhsa_kernarg_size 140
		.amdhsa_user_sgpr_count 6
		.amdhsa_user_sgpr_private_segment_buffer 1
		.amdhsa_user_sgpr_dispatch_ptr 0
		.amdhsa_user_sgpr_queue_ptr 0
		.amdhsa_user_sgpr_kernarg_segment_ptr 1
		.amdhsa_user_sgpr_dispatch_id 0
		.amdhsa_user_sgpr_flat_scratch_init 0
		.amdhsa_user_sgpr_private_segment_size 0
		.amdhsa_wavefront_size32 1
		.amdhsa_uses_dynamic_stack 0
		.amdhsa_system_sgpr_private_segment_wavefront_offset 0
		.amdhsa_system_sgpr_workgroup_id_x 1
		.amdhsa_system_sgpr_workgroup_id_y 1
		.amdhsa_system_sgpr_workgroup_id_z 1
		.amdhsa_system_sgpr_workgroup_info 0
		.amdhsa_system_vgpr_workitem_id 1
		.amdhsa_next_free_vgpr 46
		.amdhsa_next_free_sgpr 22
		.amdhsa_reserve_vcc 1
		.amdhsa_reserve_flat_scratch 0
		.amdhsa_float_round_mode_32 0
		.amdhsa_float_round_mode_16_64 0
		.amdhsa_float_denorm_mode_32 3
		.amdhsa_float_denorm_mode_16_64 3
		.amdhsa_dx10_clamp 1
		.amdhsa_ieee_mode 1
		.amdhsa_fp16_overflow 0
		.amdhsa_workgroup_processor_mode 1
		.amdhsa_memory_ordered 1
		.amdhsa_forward_progress 1
		.amdhsa_shared_vgpr_count 0
		.amdhsa_exception_fp_ieee_invalid_op 0
		.amdhsa_exception_fp_denorm_src 0
		.amdhsa_exception_fp_ieee_div_zero 0
		.amdhsa_exception_fp_ieee_overflow 0
		.amdhsa_exception_fp_ieee_underflow 0
		.amdhsa_exception_fp_ieee_inexact 0
		.amdhsa_exception_int_div_zero 0
	.end_amdhsa_kernel
	.section	.text._ZN12_GLOBAL__N_127rocblas_gemm_batched_kernelIfLi16ELi16ELi32ELi32ELi8ELi32ELi8ELi8ELi32ELc78ELc78EKfS1_fEEvlllT_PT11_llS4_llS2_PT12_llPT13_lli,"axG",@progbits,_ZN12_GLOBAL__N_127rocblas_gemm_batched_kernelIfLi16ELi16ELi32ELi32ELi8ELi32ELi8ELi8ELi32ELc78ELc78EKfS1_fEEvlllT_PT11_llS4_llS2_PT12_llPT13_lli,comdat
.Lfunc_end40:
	.size	_ZN12_GLOBAL__N_127rocblas_gemm_batched_kernelIfLi16ELi16ELi32ELi32ELi8ELi32ELi8ELi8ELi32ELc78ELc78EKfS1_fEEvlllT_PT11_llS4_llS2_PT12_llPT13_lli, .Lfunc_end40-_ZN12_GLOBAL__N_127rocblas_gemm_batched_kernelIfLi16ELi16ELi32ELi32ELi8ELi32ELi8ELi8ELi32ELc78ELc78EKfS1_fEEvlllT_PT11_llS4_llS2_PT12_llPT13_lli
                                        ; -- End function
	.set _ZN12_GLOBAL__N_127rocblas_gemm_batched_kernelIfLi16ELi16ELi32ELi32ELi8ELi32ELi8ELi8ELi32ELc78ELc78EKfS1_fEEvlllT_PT11_llS4_llS2_PT12_llPT13_lli.num_vgpr, 46
	.set _ZN12_GLOBAL__N_127rocblas_gemm_batched_kernelIfLi16ELi16ELi32ELi32ELi8ELi32ELi8ELi8ELi32ELc78ELc78EKfS1_fEEvlllT_PT11_llS4_llS2_PT12_llPT13_lli.num_agpr, 0
	.set _ZN12_GLOBAL__N_127rocblas_gemm_batched_kernelIfLi16ELi16ELi32ELi32ELi8ELi32ELi8ELi8ELi32ELc78ELc78EKfS1_fEEvlllT_PT11_llS4_llS2_PT12_llPT13_lli.numbered_sgpr, 22
	.set _ZN12_GLOBAL__N_127rocblas_gemm_batched_kernelIfLi16ELi16ELi32ELi32ELi8ELi32ELi8ELi8ELi32ELc78ELc78EKfS1_fEEvlllT_PT11_llS4_llS2_PT12_llPT13_lli.num_named_barrier, 0
	.set _ZN12_GLOBAL__N_127rocblas_gemm_batched_kernelIfLi16ELi16ELi32ELi32ELi8ELi32ELi8ELi8ELi32ELc78ELc78EKfS1_fEEvlllT_PT11_llS4_llS2_PT12_llPT13_lli.private_seg_size, 0
	.set _ZN12_GLOBAL__N_127rocblas_gemm_batched_kernelIfLi16ELi16ELi32ELi32ELi8ELi32ELi8ELi8ELi32ELc78ELc78EKfS1_fEEvlllT_PT11_llS4_llS2_PT12_llPT13_lli.uses_vcc, 1
	.set _ZN12_GLOBAL__N_127rocblas_gemm_batched_kernelIfLi16ELi16ELi32ELi32ELi8ELi32ELi8ELi8ELi32ELc78ELc78EKfS1_fEEvlllT_PT11_llS4_llS2_PT12_llPT13_lli.uses_flat_scratch, 0
	.set _ZN12_GLOBAL__N_127rocblas_gemm_batched_kernelIfLi16ELi16ELi32ELi32ELi8ELi32ELi8ELi8ELi32ELc78ELc78EKfS1_fEEvlllT_PT11_llS4_llS2_PT12_llPT13_lli.has_dyn_sized_stack, 0
	.set _ZN12_GLOBAL__N_127rocblas_gemm_batched_kernelIfLi16ELi16ELi32ELi32ELi8ELi32ELi8ELi8ELi32ELc78ELc78EKfS1_fEEvlllT_PT11_llS4_llS2_PT12_llPT13_lli.has_recursion, 0
	.set _ZN12_GLOBAL__N_127rocblas_gemm_batched_kernelIfLi16ELi16ELi32ELi32ELi8ELi32ELi8ELi8ELi32ELc78ELc78EKfS1_fEEvlllT_PT11_llS4_llS2_PT12_llPT13_lli.has_indirect_call, 0
	.section	.AMDGPU.csdata,"",@progbits
; Kernel info:
; codeLenInByte = 1380
; TotalNumSgprs: 24
; NumVgprs: 46
; ScratchSize: 0
; MemoryBound: 0
; FloatMode: 240
; IeeeMode: 1
; LDSByteSize: 2048 bytes/workgroup (compile time only)
; SGPRBlocks: 0
; VGPRBlocks: 5
; NumSGPRsForWavesPerEU: 24
; NumVGPRsForWavesPerEU: 46
; Occupancy: 16
; WaveLimiterHint : 0
; COMPUTE_PGM_RSRC2:SCRATCH_EN: 0
; COMPUTE_PGM_RSRC2:USER_SGPR: 6
; COMPUTE_PGM_RSRC2:TRAP_HANDLER: 0
; COMPUTE_PGM_RSRC2:TGID_X_EN: 1
; COMPUTE_PGM_RSRC2:TGID_Y_EN: 1
; COMPUTE_PGM_RSRC2:TGID_Z_EN: 1
; COMPUTE_PGM_RSRC2:TIDIG_COMP_CNT: 1
	.section	.text._ZN12_GLOBAL__N_127rocblas_gemm_batched_kernelIfLi16ELi16ELi32ELi32ELi8ELi32ELi8ELi8ELi32ELc84ELc78EKfS1_fEEvlllT_PT11_llS4_llS2_PT12_llPT13_lli,"axG",@progbits,_ZN12_GLOBAL__N_127rocblas_gemm_batched_kernelIfLi16ELi16ELi32ELi32ELi8ELi32ELi8ELi8ELi32ELc84ELc78EKfS1_fEEvlllT_PT11_llS4_llS2_PT12_llPT13_lli,comdat
	.globl	_ZN12_GLOBAL__N_127rocblas_gemm_batched_kernelIfLi16ELi16ELi32ELi32ELi8ELi32ELi8ELi8ELi32ELc84ELc78EKfS1_fEEvlllT_PT11_llS4_llS2_PT12_llPT13_lli ; -- Begin function _ZN12_GLOBAL__N_127rocblas_gemm_batched_kernelIfLi16ELi16ELi32ELi32ELi8ELi32ELi8ELi8ELi32ELc84ELc78EKfS1_fEEvlllT_PT11_llS4_llS2_PT12_llPT13_lli
	.p2align	8
	.type	_ZN12_GLOBAL__N_127rocblas_gemm_batched_kernelIfLi16ELi16ELi32ELi32ELi8ELi32ELi8ELi8ELi32ELc84ELc78EKfS1_fEEvlllT_PT11_llS4_llS2_PT12_llPT13_lli,@function
_ZN12_GLOBAL__N_127rocblas_gemm_batched_kernelIfLi16ELi16ELi32ELi32ELi8ELi32ELi8ELi8ELi32ELc84ELc78EKfS1_fEEvlllT_PT11_llS4_llS2_PT12_llPT13_lli: ; @_ZN12_GLOBAL__N_127rocblas_gemm_batched_kernelIfLi16ELi16ELi32ELi32ELi8ELi32ELi8ELi8ELi32ELc84ELc78EKfS1_fEEvlllT_PT11_llS4_llS2_PT12_llPT13_lli
; %bb.0:
	s_load_dwordx2 s[20:21], s[4:5], 0x10
	s_mov_b32 s0, s7
	v_mov_b32_e32 v9, 0
	v_mov_b32_e32 v8, 0
	;; [unrolled: 1-line block ×4, first 2 shown]
	s_ashr_i32 s7, s6, 31
	s_ashr_i32 s1, s0, 31
	s_lshl_b64 s[6:7], s[6:7], 5
	s_lshl_b64 s[10:11], s[0:1], 5
	s_waitcnt lgkmcnt(0)
	v_cmp_lt_i64_e64 s2, s[20:21], 1
	s_and_b32 vcc_lo, exec_lo, s2
	s_cbranch_vccnz .LBB41_3
; %bb.1:
	s_load_dwordx4 s[0:3], s[4:5], 0x40
	v_lshl_add_u32 v2, v1, 4, v0
	s_load_dwordx8 s[12:19], s[4:5], 0x20
	v_and_b32_e32 v3, 7, v0
	v_mov_b32_e32 v6, 0
	v_lshrrev_b32_e32 v4, 3, v2
	v_and_b32_e32 v5, 31, v2
	v_lshrrev_b32_e32 v7, 5, v2
	v_lshlrev_b32_e32 v8, 2, v3
	v_add_co_u32 v2, s9, v4, s10
	v_add_co_ci_u32_e64 v3, null, 0, s11, s9
	v_lshlrev_b32_e32 v9, 2, v5
	v_add_co_u32 v5, s9, s6, v5
	v_lshl_or_b32 v4, v4, 5, v8
	v_add_co_ci_u32_e64 v12, null, s7, 0, s9
	s_waitcnt lgkmcnt(0)
	v_mul_lo_u32 v13, s1, v2
	v_mul_lo_u32 v14, s0, v3
	v_mad_u64_u32 v[2:3], null, s0, v2, 0
	v_lshl_or_b32 v10, v7, 7, v9
	v_add_nc_u32_e32 v11, 0x400, v4
	v_mul_lo_u32 v9, s15, v5
	v_mul_lo_u32 v15, s14, v12
	v_mad_u64_u32 v[4:5], null, s14, v5, 0
	v_add3_u32 v3, v3, v14, v13
	s_mul_i32 s0, s3, s8
	s_mul_hi_u32 s1, s2, s8
	s_mul_hi_u32 s3, s16, s8
	s_add_i32 s1, s1, s0
	v_lshlrev_b64 v[2:3], 2, v[2:3]
	v_add3_u32 v5, v5, v15, v9
	s_mul_i32 s0, s2, s8
	s_mul_i32 s2, s17, s8
	s_lshl_b64 s[0:1], s[0:1], 2
	s_add_i32 s3, s3, s2
	v_lshlrev_b64 v[4:5], 2, v[4:5]
	s_mul_i32 s2, s16, s8
	v_add_co_u32 v2, vcc_lo, v2, s0
	v_add_co_ci_u32_e64 v3, null, s1, v3, vcc_lo
	s_lshl_b64 s[0:1], s[2:3], 2
	v_lshlrev_b32_e32 v7, 2, v7
	v_add_co_u32 v4, vcc_lo, v4, s0
	v_add_co_ci_u32_e64 v5, null, s1, v5, vcc_lo
	v_add_co_u32 v2, vcc_lo, v2, v8
	v_add_co_ci_u32_e64 v3, null, 0, v3, vcc_lo
	;; [unrolled: 2-line block ×4, first 2 shown]
	v_add_co_u32 v4, vcc_lo, s12, v4
	v_lshlrev_b32_e32 v12, 2, v0
	v_lshl_add_u32 v13, v1, 5, 0x400
	v_add_co_ci_u32_e64 v5, null, s13, v5, vcc_lo
	v_mov_b32_e32 v7, 0
	v_mov_b32_e32 v8, 0
	;; [unrolled: 1-line block ×3, first 2 shown]
	s_mov_b64 s[0:1], 0
.LBB41_2:                               ; =>This Inner Loop Header: Depth=1
	global_load_dword v14, v[4:5], off
	global_load_dword v15, v[2:3], off
	s_add_u32 s0, s0, 8
	s_addc_u32 s1, s1, 0
	v_add_co_u32 v2, vcc_lo, v2, 32
	v_cmp_lt_i64_e64 s2, s[0:1], s[20:21]
	v_add_co_ci_u32_e64 v3, null, 0, v3, vcc_lo
	v_add_co_u32 v4, vcc_lo, v4, 32
	v_add_co_ci_u32_e64 v5, null, 0, v5, vcc_lo
	s_and_b32 vcc_lo, exec_lo, s2
	s_waitcnt vmcnt(1)
	ds_write_b32 v10, v14
	s_waitcnt vmcnt(0)
	ds_write_b32 v11, v15
	s_waitcnt lgkmcnt(0)
	s_barrier
	buffer_gl0_inv
	ds_read_b128 v[14:17], v13
	ds_read2_b32 v[30:31], v12 offset1:16
	ds_read_b128 v[18:21], v13 offset:512
	ds_read2_b32 v[32:33], v12 offset0:32 offset1:48
	ds_read2_b32 v[34:35], v12 offset0:64 offset1:80
	ds_read_b128 v[22:25], v13 offset:16
	ds_read2_b32 v[36:37], v12 offset0:96 offset1:112
	ds_read2_b32 v[38:39], v12 offset0:128 offset1:144
	;; [unrolled: 3-line block ×3, first 2 shown]
	ds_read2_b32 v[44:45], v12 offset0:224 offset1:240
	s_waitcnt lgkmcnt(0)
	s_barrier
	buffer_gl0_inv
	v_fmac_f32_e32 v9, v30, v14
	v_fmac_f32_e32 v8, v31, v14
	;; [unrolled: 1-line block ×32, first 2 shown]
	s_cbranch_vccnz .LBB41_2
.LBB41_3:
	s_clause 0x3
	s_load_dwordx4 s[0:3], s[4:5], 0x78
	s_load_dword s9, s[4:5], 0x50
	s_load_dwordx8 s[12:19], s[4:5], 0x58
	s_load_dword s4, s[4:5], 0x18
	v_add_co_u32 v3, s5, s6, v0
	v_add_co_ci_u32_e64 v4, null, s7, 0, s5
	v_add_co_u32 v2, s5, s10, v1
	v_add_co_ci_u32_e64 v5, null, s11, 0, s5
	v_lshlrev_b64 v[0:1], 2, v[3:4]
	s_waitcnt lgkmcnt(0)
	s_mul_i32 s3, s3, s8
	s_mul_hi_u32 s5, s2, s8
	v_mul_lo_u32 v3, v5, s0
	v_mul_lo_u32 v4, v2, s1
	s_mul_i32 s2, s2, s8
	v_cmp_neq_f32_e64 s6, s9, 0
	s_add_i32 s3, s5, s3
	s_mov_b32 s5, 0
	s_lshl_b64 s[2:3], s[2:3], 2
	s_add_u32 s2, s18, s2
	s_addc_u32 s3, s19, s3
	s_and_b32 vcc_lo, exec_lo, s6
	s_cbranch_vccnz .LBB41_7
; %bb.4:
	v_mad_u64_u32 v[10:11], null, v2, s0, 0
	s_lshl_b64 s[6:7], s[0:1], 6
	v_mul_f32_e32 v14, s4, v9
	v_mul_f32_e32 v15, s4, v8
	;; [unrolled: 1-line block ×4, first 2 shown]
	v_add3_u32 v11, v11, v4, v3
	v_lshlrev_b64 v[10:11], 2, v[10:11]
	v_add_co_u32 v10, vcc_lo, s2, v10
	v_add_co_ci_u32_e64 v11, null, s3, v11, vcc_lo
	v_add_co_u32 v12, vcc_lo, v10, s6
	v_add_co_ci_u32_e64 v13, null, s7, v11, vcc_lo
	;; [unrolled: 2-line block ×4, first 2 shown]
	global_store_dword v[10:11], v14, off
	global_store_dword v[10:11], v15, off offset:64
	global_store_dword v[12:13], v16, off
	global_store_dword v[12:13], v17, off offset:64
	s_andn2_b32 vcc_lo, exec_lo, s5
	s_cbranch_vccnz .LBB41_6
.LBB41_5:
	v_mul_lo_u32 v5, v5, s14
	v_mul_lo_u32 v12, v2, s15
	v_mad_u64_u32 v[10:11], null, v2, s14, 0
	s_mul_i32 s5, s17, s8
	s_mul_hi_u32 s7, s16, s8
	s_mul_i32 s6, s16, s8
	s_add_i32 s7, s7, s5
	s_lshl_b64 s[6:7], s[6:7], 2
	v_add3_u32 v11, v11, v12, v5
	s_add_u32 s5, s12, s6
	s_addc_u32 s6, s13, s7
	v_mad_u64_u32 v[12:13], null, v2, s0, 0
	v_lshlrev_b64 v[10:11], 2, v[10:11]
	s_lshl_b64 s[0:1], s[0:1], 6
	v_add3_u32 v13, v13, v4, v3
	v_add_co_u32 v5, vcc_lo, s5, v10
	v_add_co_ci_u32_e64 v14, null, s6, v11, vcc_lo
	v_lshlrev_b64 v[2:3], 2, v[12:13]
	v_add_co_u32 v10, vcc_lo, v5, v0
	v_add_co_ci_u32_e64 v11, null, v14, v1, vcc_lo
	v_add_co_u32 v12, vcc_lo, s2, v2
	global_load_dword v15, v[10:11], off
	v_add_co_ci_u32_e64 v13, null, s3, v3, vcc_lo
	v_add_co_u32 v2, vcc_lo, v12, v0
	s_lshl_b64 s[2:3], s[14:15], 6
	v_add_co_ci_u32_e64 v3, null, v13, v1, vcc_lo
	s_waitcnt vmcnt(0)
	v_mul_f32_e32 v4, s9, v15
	v_fmac_f32_e32 v4, s4, v9
	global_store_dword v[2:3], v4, off
	global_load_dword v4, v[10:11], off offset:64
	s_waitcnt vmcnt(0)
	v_mul_f32_e32 v9, s9, v4
	v_add_co_u32 v4, vcc_lo, v5, s2
	v_add_co_ci_u32_e64 v5, null, s3, v14, vcc_lo
	v_fmac_f32_e32 v9, s4, v8
	v_add_co_u32 v4, vcc_lo, v4, v0
	v_add_co_ci_u32_e64 v5, null, v5, v1, vcc_lo
	global_store_dword v[2:3], v9, off offset:64
	v_add_co_u32 v3, vcc_lo, v12, s0
	global_load_dword v2, v[4:5], off
	v_add_co_ci_u32_e64 v8, null, s1, v13, vcc_lo
	v_add_co_u32 v0, vcc_lo, v3, v0
	v_add_co_ci_u32_e64 v1, null, v8, v1, vcc_lo
	s_waitcnt vmcnt(0)
	v_mul_f32_e32 v2, s9, v2
	v_fmac_f32_e32 v2, s4, v7
	global_store_dword v[0:1], v2, off
	global_load_dword v2, v[4:5], off offset:64
	s_waitcnt vmcnt(0)
	v_mul_f32_e32 v2, s9, v2
	v_fmac_f32_e32 v2, s4, v6
	global_store_dword v[0:1], v2, off offset:64
.LBB41_6:
	s_endpgm
.LBB41_7:
	s_branch .LBB41_5
	.section	.rodata,"a",@progbits
	.p2align	6, 0x0
	.amdhsa_kernel _ZN12_GLOBAL__N_127rocblas_gemm_batched_kernelIfLi16ELi16ELi32ELi32ELi8ELi32ELi8ELi8ELi32ELc84ELc78EKfS1_fEEvlllT_PT11_llS4_llS2_PT12_llPT13_lli
		.amdhsa_group_segment_fixed_size 2048
		.amdhsa_private_segment_fixed_size 0
		.amdhsa_kernarg_size 140
		.amdhsa_user_sgpr_count 6
		.amdhsa_user_sgpr_private_segment_buffer 1
		.amdhsa_user_sgpr_dispatch_ptr 0
		.amdhsa_user_sgpr_queue_ptr 0
		.amdhsa_user_sgpr_kernarg_segment_ptr 1
		.amdhsa_user_sgpr_dispatch_id 0
		.amdhsa_user_sgpr_flat_scratch_init 0
		.amdhsa_user_sgpr_private_segment_size 0
		.amdhsa_wavefront_size32 1
		.amdhsa_uses_dynamic_stack 0
		.amdhsa_system_sgpr_private_segment_wavefront_offset 0
		.amdhsa_system_sgpr_workgroup_id_x 1
		.amdhsa_system_sgpr_workgroup_id_y 1
		.amdhsa_system_sgpr_workgroup_id_z 1
		.amdhsa_system_sgpr_workgroup_info 0
		.amdhsa_system_vgpr_workitem_id 1
		.amdhsa_next_free_vgpr 46
		.amdhsa_next_free_sgpr 22
		.amdhsa_reserve_vcc 1
		.amdhsa_reserve_flat_scratch 0
		.amdhsa_float_round_mode_32 0
		.amdhsa_float_round_mode_16_64 0
		.amdhsa_float_denorm_mode_32 3
		.amdhsa_float_denorm_mode_16_64 3
		.amdhsa_dx10_clamp 1
		.amdhsa_ieee_mode 1
		.amdhsa_fp16_overflow 0
		.amdhsa_workgroup_processor_mode 1
		.amdhsa_memory_ordered 1
		.amdhsa_forward_progress 1
		.amdhsa_shared_vgpr_count 0
		.amdhsa_exception_fp_ieee_invalid_op 0
		.amdhsa_exception_fp_denorm_src 0
		.amdhsa_exception_fp_ieee_div_zero 0
		.amdhsa_exception_fp_ieee_overflow 0
		.amdhsa_exception_fp_ieee_underflow 0
		.amdhsa_exception_fp_ieee_inexact 0
		.amdhsa_exception_int_div_zero 0
	.end_amdhsa_kernel
	.section	.text._ZN12_GLOBAL__N_127rocblas_gemm_batched_kernelIfLi16ELi16ELi32ELi32ELi8ELi32ELi8ELi8ELi32ELc84ELc78EKfS1_fEEvlllT_PT11_llS4_llS2_PT12_llPT13_lli,"axG",@progbits,_ZN12_GLOBAL__N_127rocblas_gemm_batched_kernelIfLi16ELi16ELi32ELi32ELi8ELi32ELi8ELi8ELi32ELc84ELc78EKfS1_fEEvlllT_PT11_llS4_llS2_PT12_llPT13_lli,comdat
.Lfunc_end41:
	.size	_ZN12_GLOBAL__N_127rocblas_gemm_batched_kernelIfLi16ELi16ELi32ELi32ELi8ELi32ELi8ELi8ELi32ELc84ELc78EKfS1_fEEvlllT_PT11_llS4_llS2_PT12_llPT13_lli, .Lfunc_end41-_ZN12_GLOBAL__N_127rocblas_gemm_batched_kernelIfLi16ELi16ELi32ELi32ELi8ELi32ELi8ELi8ELi32ELc84ELc78EKfS1_fEEvlllT_PT11_llS4_llS2_PT12_llPT13_lli
                                        ; -- End function
	.set _ZN12_GLOBAL__N_127rocblas_gemm_batched_kernelIfLi16ELi16ELi32ELi32ELi8ELi32ELi8ELi8ELi32ELc84ELc78EKfS1_fEEvlllT_PT11_llS4_llS2_PT12_llPT13_lli.num_vgpr, 46
	.set _ZN12_GLOBAL__N_127rocblas_gemm_batched_kernelIfLi16ELi16ELi32ELi32ELi8ELi32ELi8ELi8ELi32ELc84ELc78EKfS1_fEEvlllT_PT11_llS4_llS2_PT12_llPT13_lli.num_agpr, 0
	.set _ZN12_GLOBAL__N_127rocblas_gemm_batched_kernelIfLi16ELi16ELi32ELi32ELi8ELi32ELi8ELi8ELi32ELc84ELc78EKfS1_fEEvlllT_PT11_llS4_llS2_PT12_llPT13_lli.numbered_sgpr, 22
	.set _ZN12_GLOBAL__N_127rocblas_gemm_batched_kernelIfLi16ELi16ELi32ELi32ELi8ELi32ELi8ELi8ELi32ELc84ELc78EKfS1_fEEvlllT_PT11_llS4_llS2_PT12_llPT13_lli.num_named_barrier, 0
	.set _ZN12_GLOBAL__N_127rocblas_gemm_batched_kernelIfLi16ELi16ELi32ELi32ELi8ELi32ELi8ELi8ELi32ELc84ELc78EKfS1_fEEvlllT_PT11_llS4_llS2_PT12_llPT13_lli.private_seg_size, 0
	.set _ZN12_GLOBAL__N_127rocblas_gemm_batched_kernelIfLi16ELi16ELi32ELi32ELi8ELi32ELi8ELi8ELi32ELc84ELc78EKfS1_fEEvlllT_PT11_llS4_llS2_PT12_llPT13_lli.uses_vcc, 1
	.set _ZN12_GLOBAL__N_127rocblas_gemm_batched_kernelIfLi16ELi16ELi32ELi32ELi8ELi32ELi8ELi8ELi32ELc84ELc78EKfS1_fEEvlllT_PT11_llS4_llS2_PT12_llPT13_lli.uses_flat_scratch, 0
	.set _ZN12_GLOBAL__N_127rocblas_gemm_batched_kernelIfLi16ELi16ELi32ELi32ELi8ELi32ELi8ELi8ELi32ELc84ELc78EKfS1_fEEvlllT_PT11_llS4_llS2_PT12_llPT13_lli.has_dyn_sized_stack, 0
	.set _ZN12_GLOBAL__N_127rocblas_gemm_batched_kernelIfLi16ELi16ELi32ELi32ELi8ELi32ELi8ELi8ELi32ELc84ELc78EKfS1_fEEvlllT_PT11_llS4_llS2_PT12_llPT13_lli.has_recursion, 0
	.set _ZN12_GLOBAL__N_127rocblas_gemm_batched_kernelIfLi16ELi16ELi32ELi32ELi8ELi32ELi8ELi8ELi32ELc84ELc78EKfS1_fEEvlllT_PT11_llS4_llS2_PT12_llPT13_lli.has_indirect_call, 0
	.section	.AMDGPU.csdata,"",@progbits
; Kernel info:
; codeLenInByte = 1420
; TotalNumSgprs: 24
; NumVgprs: 46
; ScratchSize: 0
; MemoryBound: 0
; FloatMode: 240
; IeeeMode: 1
; LDSByteSize: 2048 bytes/workgroup (compile time only)
; SGPRBlocks: 0
; VGPRBlocks: 5
; NumSGPRsForWavesPerEU: 24
; NumVGPRsForWavesPerEU: 46
; Occupancy: 16
; WaveLimiterHint : 0
; COMPUTE_PGM_RSRC2:SCRATCH_EN: 0
; COMPUTE_PGM_RSRC2:USER_SGPR: 6
; COMPUTE_PGM_RSRC2:TRAP_HANDLER: 0
; COMPUTE_PGM_RSRC2:TGID_X_EN: 1
; COMPUTE_PGM_RSRC2:TGID_Y_EN: 1
; COMPUTE_PGM_RSRC2:TGID_Z_EN: 1
; COMPUTE_PGM_RSRC2:TIDIG_COMP_CNT: 1
	.section	.text._ZN12_GLOBAL__N_127rocblas_gemm_batched_kernelIfLi16ELi16ELi32ELi32ELi8ELi32ELi8ELi8ELi32ELc78ELc84EKfS1_fEEvlllT_PT11_llS4_llS2_PT12_llPT13_lli,"axG",@progbits,_ZN12_GLOBAL__N_127rocblas_gemm_batched_kernelIfLi16ELi16ELi32ELi32ELi8ELi32ELi8ELi8ELi32ELc78ELc84EKfS1_fEEvlllT_PT11_llS4_llS2_PT12_llPT13_lli,comdat
	.globl	_ZN12_GLOBAL__N_127rocblas_gemm_batched_kernelIfLi16ELi16ELi32ELi32ELi8ELi32ELi8ELi8ELi32ELc78ELc84EKfS1_fEEvlllT_PT11_llS4_llS2_PT12_llPT13_lli ; -- Begin function _ZN12_GLOBAL__N_127rocblas_gemm_batched_kernelIfLi16ELi16ELi32ELi32ELi8ELi32ELi8ELi8ELi32ELc78ELc84EKfS1_fEEvlllT_PT11_llS4_llS2_PT12_llPT13_lli
	.p2align	8
	.type	_ZN12_GLOBAL__N_127rocblas_gemm_batched_kernelIfLi16ELi16ELi32ELi32ELi8ELi32ELi8ELi8ELi32ELc78ELc84EKfS1_fEEvlllT_PT11_llS4_llS2_PT12_llPT13_lli,@function
_ZN12_GLOBAL__N_127rocblas_gemm_batched_kernelIfLi16ELi16ELi32ELi32ELi8ELi32ELi8ELi8ELi32ELc78ELc84EKfS1_fEEvlllT_PT11_llS4_llS2_PT12_llPT13_lli: ; @_ZN12_GLOBAL__N_127rocblas_gemm_batched_kernelIfLi16ELi16ELi32ELi32ELi8ELi32ELi8ELi8ELi32ELc78ELc84EKfS1_fEEvlllT_PT11_llS4_llS2_PT12_llPT13_lli
; %bb.0:
	s_load_dwordx2 s[20:21], s[4:5], 0x10
	s_mov_b32 s0, s7
	v_mov_b32_e32 v9, 0
	v_mov_b32_e32 v8, 0
	;; [unrolled: 1-line block ×4, first 2 shown]
	s_ashr_i32 s7, s6, 31
	s_ashr_i32 s1, s0, 31
	s_lshl_b64 s[6:7], s[6:7], 5
	s_lshl_b64 s[10:11], s[0:1], 5
	s_waitcnt lgkmcnt(0)
	v_cmp_lt_i64_e64 s2, s[20:21], 1
	s_and_b32 vcc_lo, exec_lo, s2
	s_cbranch_vccnz .LBB42_3
; %bb.1:
	s_clause 0x1
	s_load_dwordx4 s[0:3], s[4:5], 0x40
	s_load_dwordx8 s[12:19], s[4:5], 0x20
	v_lshl_add_u32 v3, v1, 4, v0
	v_and_b32_e32 v8, 7, v0
	v_lshlrev_b32_e32 v10, 2, v0
	v_lshl_add_u32 v11, v1, 5, 0x400
	v_lshrrev_b32_e32 v2, 3, v3
	v_and_b32_e32 v14, 31, v3
	v_lshlrev_b32_e32 v4, 2, v8
	v_lshrrev_b32_e32 v9, 5, v3
	v_mov_b32_e32 v3, 0
	v_lshlrev_b32_e32 v5, 2, v14
	v_lshl_or_b32 v4, v2, 5, v4
	v_lshl_or_b32 v12, v9, 7, v5
	v_add_nc_u32_e32 v13, 0x400, v4
	s_waitcnt lgkmcnt(0)
	v_mad_u64_u32 v[4:5], null, s0, v8, v[2:3]
	v_mad_u64_u32 v[6:7], null, s14, v9, s[6:7]
	s_mul_i32 s3, s3, s8
	s_mul_hi_u32 s9, s2, s8
	s_mul_i32 s2, s2, s8
	s_add_i32 s3, s9, s3
	v_mov_b32_e32 v2, v5
	v_add_co_u32 v4, vcc_lo, v4, s10
	v_mov_b32_e32 v5, v7
	s_lshl_b64 s[2:3], s[2:3], 2
	v_mad_u64_u32 v[7:8], null, s1, v8, v[2:3]
	s_mul_i32 s17, s17, s8
	v_mad_u64_u32 v[8:9], null, s15, v9, v[5:6]
	s_mul_hi_u32 s9, s16, s8
	s_add_u32 s18, s18, s2
	s_mul_i32 s16, s16, s8
	v_add_co_ci_u32_e64 v5, null, s11, v7, vcc_lo
	v_add_co_u32 v6, vcc_lo, v6, v14
	v_add_co_ci_u32_e64 v7, null, 0, v8, vcc_lo
	v_lshlrev_b64 v[4:5], 2, v[4:5]
	s_addc_u32 s19, s19, s3
	s_add_i32 s17, s9, s17
	v_lshlrev_b64 v[6:7], 2, v[6:7]
	s_lshl_b64 s[2:3], s[16:17], 2
	s_lshl_b64 s[0:1], s[0:1], 5
	s_add_u32 s2, s12, s2
	v_add_co_u32 v4, vcc_lo, s18, v4
	v_add_co_ci_u32_e64 v5, null, s19, v5, vcc_lo
	s_addc_u32 s3, s13, s3
	v_add_co_u32 v6, vcc_lo, s2, v6
	v_add_co_ci_u32_e64 v7, null, s3, v7, vcc_lo
	v_mov_b32_e32 v2, v3
	v_mov_b32_e32 v8, v3
	;; [unrolled: 1-line block ×3, first 2 shown]
	s_lshl_b64 s[2:3], s[14:15], 5
	s_mov_b64 s[12:13], 0
.LBB42_2:                               ; =>This Inner Loop Header: Depth=1
	global_load_dword v14, v[6:7], off
	global_load_dword v15, v[4:5], off
	s_add_u32 s12, s12, 8
	s_addc_u32 s13, s13, 0
	v_add_co_u32 v4, vcc_lo, v4, s0
	v_cmp_lt_i64_e64 s9, s[12:13], s[20:21]
	v_add_co_ci_u32_e64 v5, null, s1, v5, vcc_lo
	v_add_co_u32 v6, vcc_lo, v6, s2
	v_add_co_ci_u32_e64 v7, null, s3, v7, vcc_lo
	s_and_b32 vcc_lo, exec_lo, s9
	s_waitcnt vmcnt(1)
	ds_write_b32 v12, v14
	s_waitcnt vmcnt(0)
	ds_write_b32 v13, v15
	s_waitcnt lgkmcnt(0)
	s_barrier
	buffer_gl0_inv
	ds_read_b128 v[14:17], v11
	ds_read2_b32 v[30:31], v10 offset1:16
	ds_read_b128 v[18:21], v11 offset:512
	ds_read2_b32 v[32:33], v10 offset0:32 offset1:48
	ds_read2_b32 v[34:35], v10 offset0:64 offset1:80
	ds_read_b128 v[22:25], v11 offset:16
	ds_read2_b32 v[36:37], v10 offset0:96 offset1:112
	ds_read2_b32 v[38:39], v10 offset0:128 offset1:144
	;; [unrolled: 3-line block ×3, first 2 shown]
	ds_read2_b32 v[44:45], v10 offset0:224 offset1:240
	s_waitcnt lgkmcnt(0)
	s_barrier
	buffer_gl0_inv
	v_fmac_f32_e32 v9, v30, v14
	v_fmac_f32_e32 v8, v31, v14
	;; [unrolled: 1-line block ×32, first 2 shown]
	s_cbranch_vccnz .LBB42_2
.LBB42_3:
	s_clause 0x3
	s_load_dwordx4 s[0:3], s[4:5], 0x78
	s_load_dword s9, s[4:5], 0x50
	s_load_dwordx8 s[12:19], s[4:5], 0x58
	s_load_dword s4, s[4:5], 0x18
	v_add_co_u32 v5, s5, s6, v0
	v_add_co_ci_u32_e64 v6, null, s7, 0, s5
	v_add_co_u32 v4, s5, s10, v1
	v_add_co_ci_u32_e64 v7, null, s11, 0, s5
	v_lshlrev_b64 v[0:1], 2, v[5:6]
	s_waitcnt lgkmcnt(0)
	s_mul_i32 s3, s3, s8
	s_mul_hi_u32 s5, s2, s8
	v_mul_lo_u32 v5, v7, s0
	v_mul_lo_u32 v6, v4, s1
	s_mul_i32 s2, s2, s8
	v_cmp_neq_f32_e64 s6, s9, 0
	s_add_i32 s3, s5, s3
	s_mov_b32 s5, 0
	s_lshl_b64 s[2:3], s[2:3], 2
	s_add_u32 s2, s18, s2
	s_addc_u32 s3, s19, s3
	s_and_b32 vcc_lo, exec_lo, s6
	s_cbranch_vccnz .LBB42_7
; %bb.4:
	v_mad_u64_u32 v[10:11], null, v4, s0, 0
	s_lshl_b64 s[6:7], s[0:1], 6
	v_mul_f32_e32 v14, s4, v9
	v_mul_f32_e32 v15, s4, v8
	;; [unrolled: 1-line block ×4, first 2 shown]
	v_add3_u32 v11, v11, v6, v5
	v_lshlrev_b64 v[10:11], 2, v[10:11]
	v_add_co_u32 v10, vcc_lo, s2, v10
	v_add_co_ci_u32_e64 v11, null, s3, v11, vcc_lo
	v_add_co_u32 v12, vcc_lo, v10, s6
	v_add_co_ci_u32_e64 v13, null, s7, v11, vcc_lo
	;; [unrolled: 2-line block ×4, first 2 shown]
	global_store_dword v[10:11], v14, off
	global_store_dword v[10:11], v15, off offset:64
	global_store_dword v[12:13], v16, off
	global_store_dword v[12:13], v17, off offset:64
	s_andn2_b32 vcc_lo, exec_lo, s5
	s_cbranch_vccnz .LBB42_6
.LBB42_5:
	v_mul_lo_u32 v7, v7, s14
	v_mul_lo_u32 v12, v4, s15
	v_mad_u64_u32 v[10:11], null, v4, s14, 0
	s_mul_i32 s5, s17, s8
	s_mul_hi_u32 s7, s16, s8
	s_mul_i32 s6, s16, s8
	s_add_i32 s7, s7, s5
	s_lshl_b64 s[6:7], s[6:7], 2
	v_add3_u32 v11, v11, v12, v7
	s_add_u32 s5, s12, s6
	s_addc_u32 s6, s13, s7
	v_mad_u64_u32 v[12:13], null, v4, s0, 0
	v_lshlrev_b64 v[10:11], 2, v[10:11]
	s_lshl_b64 s[0:1], s[0:1], 6
	v_add3_u32 v13, v13, v6, v5
	v_add_co_u32 v7, vcc_lo, s5, v10
	v_add_co_ci_u32_e64 v14, null, s6, v11, vcc_lo
	v_lshlrev_b64 v[4:5], 2, v[12:13]
	v_add_co_u32 v10, vcc_lo, v7, v0
	v_add_co_ci_u32_e64 v11, null, v14, v1, vcc_lo
	v_add_co_u32 v12, vcc_lo, s2, v4
	global_load_dword v15, v[10:11], off
	v_add_co_ci_u32_e64 v13, null, s3, v5, vcc_lo
	v_add_co_u32 v4, vcc_lo, v12, v0
	s_lshl_b64 s[2:3], s[14:15], 6
	v_add_co_ci_u32_e64 v5, null, v13, v1, vcc_lo
	s_waitcnt vmcnt(0)
	v_mul_f32_e32 v6, s9, v15
	v_fmac_f32_e32 v6, s4, v9
	global_store_dword v[4:5], v6, off
	global_load_dword v6, v[10:11], off offset:64
	s_waitcnt vmcnt(0)
	v_mul_f32_e32 v9, s9, v6
	v_add_co_u32 v6, vcc_lo, v7, s2
	v_add_co_ci_u32_e64 v7, null, s3, v14, vcc_lo
	v_fmac_f32_e32 v9, s4, v8
	v_add_co_u32 v6, vcc_lo, v6, v0
	v_add_co_ci_u32_e64 v7, null, v7, v1, vcc_lo
	global_store_dword v[4:5], v9, off offset:64
	v_add_co_u32 v5, vcc_lo, v12, s0
	global_load_dword v4, v[6:7], off
	v_add_co_ci_u32_e64 v8, null, s1, v13, vcc_lo
	v_add_co_u32 v0, vcc_lo, v5, v0
	v_add_co_ci_u32_e64 v1, null, v8, v1, vcc_lo
	s_waitcnt vmcnt(0)
	v_mul_f32_e32 v4, s9, v4
	v_fmac_f32_e32 v4, s4, v2
	global_store_dword v[0:1], v4, off
	global_load_dword v2, v[6:7], off offset:64
	s_waitcnt vmcnt(0)
	v_mul_f32_e32 v2, s9, v2
	v_fmac_f32_e32 v2, s4, v3
	global_store_dword v[0:1], v2, off offset:64
.LBB42_6:
	s_endpgm
.LBB42_7:
	s_branch .LBB42_5
	.section	.rodata,"a",@progbits
	.p2align	6, 0x0
	.amdhsa_kernel _ZN12_GLOBAL__N_127rocblas_gemm_batched_kernelIfLi16ELi16ELi32ELi32ELi8ELi32ELi8ELi8ELi32ELc78ELc84EKfS1_fEEvlllT_PT11_llS4_llS2_PT12_llPT13_lli
		.amdhsa_group_segment_fixed_size 2048
		.amdhsa_private_segment_fixed_size 0
		.amdhsa_kernarg_size 140
		.amdhsa_user_sgpr_count 6
		.amdhsa_user_sgpr_private_segment_buffer 1
		.amdhsa_user_sgpr_dispatch_ptr 0
		.amdhsa_user_sgpr_queue_ptr 0
		.amdhsa_user_sgpr_kernarg_segment_ptr 1
		.amdhsa_user_sgpr_dispatch_id 0
		.amdhsa_user_sgpr_flat_scratch_init 0
		.amdhsa_user_sgpr_private_segment_size 0
		.amdhsa_wavefront_size32 1
		.amdhsa_uses_dynamic_stack 0
		.amdhsa_system_sgpr_private_segment_wavefront_offset 0
		.amdhsa_system_sgpr_workgroup_id_x 1
		.amdhsa_system_sgpr_workgroup_id_y 1
		.amdhsa_system_sgpr_workgroup_id_z 1
		.amdhsa_system_sgpr_workgroup_info 0
		.amdhsa_system_vgpr_workitem_id 1
		.amdhsa_next_free_vgpr 46
		.amdhsa_next_free_sgpr 22
		.amdhsa_reserve_vcc 1
		.amdhsa_reserve_flat_scratch 0
		.amdhsa_float_round_mode_32 0
		.amdhsa_float_round_mode_16_64 0
		.amdhsa_float_denorm_mode_32 3
		.amdhsa_float_denorm_mode_16_64 3
		.amdhsa_dx10_clamp 1
		.amdhsa_ieee_mode 1
		.amdhsa_fp16_overflow 0
		.amdhsa_workgroup_processor_mode 1
		.amdhsa_memory_ordered 1
		.amdhsa_forward_progress 1
		.amdhsa_shared_vgpr_count 0
		.amdhsa_exception_fp_ieee_invalid_op 0
		.amdhsa_exception_fp_denorm_src 0
		.amdhsa_exception_fp_ieee_div_zero 0
		.amdhsa_exception_fp_ieee_overflow 0
		.amdhsa_exception_fp_ieee_underflow 0
		.amdhsa_exception_fp_ieee_inexact 0
		.amdhsa_exception_int_div_zero 0
	.end_amdhsa_kernel
	.section	.text._ZN12_GLOBAL__N_127rocblas_gemm_batched_kernelIfLi16ELi16ELi32ELi32ELi8ELi32ELi8ELi8ELi32ELc78ELc84EKfS1_fEEvlllT_PT11_llS4_llS2_PT12_llPT13_lli,"axG",@progbits,_ZN12_GLOBAL__N_127rocblas_gemm_batched_kernelIfLi16ELi16ELi32ELi32ELi8ELi32ELi8ELi8ELi32ELc78ELc84EKfS1_fEEvlllT_PT11_llS4_llS2_PT12_llPT13_lli,comdat
.Lfunc_end42:
	.size	_ZN12_GLOBAL__N_127rocblas_gemm_batched_kernelIfLi16ELi16ELi32ELi32ELi8ELi32ELi8ELi8ELi32ELc78ELc84EKfS1_fEEvlllT_PT11_llS4_llS2_PT12_llPT13_lli, .Lfunc_end42-_ZN12_GLOBAL__N_127rocblas_gemm_batched_kernelIfLi16ELi16ELi32ELi32ELi8ELi32ELi8ELi8ELi32ELc78ELc84EKfS1_fEEvlllT_PT11_llS4_llS2_PT12_llPT13_lli
                                        ; -- End function
	.set _ZN12_GLOBAL__N_127rocblas_gemm_batched_kernelIfLi16ELi16ELi32ELi32ELi8ELi32ELi8ELi8ELi32ELc78ELc84EKfS1_fEEvlllT_PT11_llS4_llS2_PT12_llPT13_lli.num_vgpr, 46
	.set _ZN12_GLOBAL__N_127rocblas_gemm_batched_kernelIfLi16ELi16ELi32ELi32ELi8ELi32ELi8ELi8ELi32ELc78ELc84EKfS1_fEEvlllT_PT11_llS4_llS2_PT12_llPT13_lli.num_agpr, 0
	.set _ZN12_GLOBAL__N_127rocblas_gemm_batched_kernelIfLi16ELi16ELi32ELi32ELi8ELi32ELi8ELi8ELi32ELc78ELc84EKfS1_fEEvlllT_PT11_llS4_llS2_PT12_llPT13_lli.numbered_sgpr, 22
	.set _ZN12_GLOBAL__N_127rocblas_gemm_batched_kernelIfLi16ELi16ELi32ELi32ELi8ELi32ELi8ELi8ELi32ELc78ELc84EKfS1_fEEvlllT_PT11_llS4_llS2_PT12_llPT13_lli.num_named_barrier, 0
	.set _ZN12_GLOBAL__N_127rocblas_gemm_batched_kernelIfLi16ELi16ELi32ELi32ELi8ELi32ELi8ELi8ELi32ELc78ELc84EKfS1_fEEvlllT_PT11_llS4_llS2_PT12_llPT13_lli.private_seg_size, 0
	.set _ZN12_GLOBAL__N_127rocblas_gemm_batched_kernelIfLi16ELi16ELi32ELi32ELi8ELi32ELi8ELi8ELi32ELc78ELc84EKfS1_fEEvlllT_PT11_llS4_llS2_PT12_llPT13_lli.uses_vcc, 1
	.set _ZN12_GLOBAL__N_127rocblas_gemm_batched_kernelIfLi16ELi16ELi32ELi32ELi8ELi32ELi8ELi8ELi32ELc78ELc84EKfS1_fEEvlllT_PT11_llS4_llS2_PT12_llPT13_lli.uses_flat_scratch, 0
	.set _ZN12_GLOBAL__N_127rocblas_gemm_batched_kernelIfLi16ELi16ELi32ELi32ELi8ELi32ELi8ELi8ELi32ELc78ELc84EKfS1_fEEvlllT_PT11_llS4_llS2_PT12_llPT13_lli.has_dyn_sized_stack, 0
	.set _ZN12_GLOBAL__N_127rocblas_gemm_batched_kernelIfLi16ELi16ELi32ELi32ELi8ELi32ELi8ELi8ELi32ELc78ELc84EKfS1_fEEvlllT_PT11_llS4_llS2_PT12_llPT13_lli.has_recursion, 0
	.set _ZN12_GLOBAL__N_127rocblas_gemm_batched_kernelIfLi16ELi16ELi32ELi32ELi8ELi32ELi8ELi8ELi32ELc78ELc84EKfS1_fEEvlllT_PT11_llS4_llS2_PT12_llPT13_lli.has_indirect_call, 0
	.section	.AMDGPU.csdata,"",@progbits
; Kernel info:
; codeLenInByte = 1356
; TotalNumSgprs: 24
; NumVgprs: 46
; ScratchSize: 0
; MemoryBound: 0
; FloatMode: 240
; IeeeMode: 1
; LDSByteSize: 2048 bytes/workgroup (compile time only)
; SGPRBlocks: 0
; VGPRBlocks: 5
; NumSGPRsForWavesPerEU: 24
; NumVGPRsForWavesPerEU: 46
; Occupancy: 16
; WaveLimiterHint : 0
; COMPUTE_PGM_RSRC2:SCRATCH_EN: 0
; COMPUTE_PGM_RSRC2:USER_SGPR: 6
; COMPUTE_PGM_RSRC2:TRAP_HANDLER: 0
; COMPUTE_PGM_RSRC2:TGID_X_EN: 1
; COMPUTE_PGM_RSRC2:TGID_Y_EN: 1
; COMPUTE_PGM_RSRC2:TGID_Z_EN: 1
; COMPUTE_PGM_RSRC2:TIDIG_COMP_CNT: 1
	.section	.text._ZN12_GLOBAL__N_127rocblas_gemm_batched_kernelIfLi16ELi16ELi32ELi32ELi8ELi32ELi8ELi8ELi32ELc84ELc84EKfS1_fEEvlllT_PT11_llS4_llS2_PT12_llPT13_lli,"axG",@progbits,_ZN12_GLOBAL__N_127rocblas_gemm_batched_kernelIfLi16ELi16ELi32ELi32ELi8ELi32ELi8ELi8ELi32ELc84ELc84EKfS1_fEEvlllT_PT11_llS4_llS2_PT12_llPT13_lli,comdat
	.globl	_ZN12_GLOBAL__N_127rocblas_gemm_batched_kernelIfLi16ELi16ELi32ELi32ELi8ELi32ELi8ELi8ELi32ELc84ELc84EKfS1_fEEvlllT_PT11_llS4_llS2_PT12_llPT13_lli ; -- Begin function _ZN12_GLOBAL__N_127rocblas_gemm_batched_kernelIfLi16ELi16ELi32ELi32ELi8ELi32ELi8ELi8ELi32ELc84ELc84EKfS1_fEEvlllT_PT11_llS4_llS2_PT12_llPT13_lli
	.p2align	8
	.type	_ZN12_GLOBAL__N_127rocblas_gemm_batched_kernelIfLi16ELi16ELi32ELi32ELi8ELi32ELi8ELi8ELi32ELc84ELc84EKfS1_fEEvlllT_PT11_llS4_llS2_PT12_llPT13_lli,@function
_ZN12_GLOBAL__N_127rocblas_gemm_batched_kernelIfLi16ELi16ELi32ELi32ELi8ELi32ELi8ELi8ELi32ELc84ELc84EKfS1_fEEvlllT_PT11_llS4_llS2_PT12_llPT13_lli: ; @_ZN12_GLOBAL__N_127rocblas_gemm_batched_kernelIfLi16ELi16ELi32ELi32ELi8ELi32ELi8ELi8ELi32ELc84ELc84EKfS1_fEEvlllT_PT11_llS4_llS2_PT12_llPT13_lli
; %bb.0:
	s_load_dwordx2 s[20:21], s[4:5], 0x10
	s_mov_b32 s0, s7
	v_mov_b32_e32 v9, 0
	v_mov_b32_e32 v8, 0
	;; [unrolled: 1-line block ×4, first 2 shown]
	s_ashr_i32 s7, s6, 31
	s_ashr_i32 s1, s0, 31
	s_lshl_b64 s[6:7], s[6:7], 5
	s_lshl_b64 s[10:11], s[0:1], 5
	s_waitcnt lgkmcnt(0)
	v_cmp_lt_i64_e64 s2, s[20:21], 1
	s_and_b32 vcc_lo, exec_lo, s2
	s_cbranch_vccnz .LBB43_3
; %bb.1:
	s_clause 0x1
	s_load_dwordx8 s[12:19], s[4:5], 0x20
	s_load_dwordx4 s[0:3], s[4:5], 0x40
	v_lshl_add_u32 v4, v1, 4, v0
	v_and_b32_e32 v8, 7, v0
	v_mov_b32_e32 v3, 0
	v_lshlrev_b32_e32 v10, 2, v0
	v_lshl_add_u32 v11, v1, 5, 0x400
	v_and_b32_e32 v5, 31, v4
	v_lshrrev_b32_e32 v2, 3, v4
	v_lshlrev_b32_e32 v6, 2, v8
	v_lshrrev_b32_e32 v14, 5, v4
	v_lshlrev_b32_e32 v4, 2, v5
	v_lshl_or_b32 v9, v2, 5, v6
	v_add_co_u32 v6, s9, s6, v5
	v_add_co_ci_u32_e64 v7, null, s7, 0, s9
	v_lshl_or_b32 v12, v14, 7, v4
	s_waitcnt lgkmcnt(0)
	v_mul_lo_u32 v15, s15, v6
	v_mad_u64_u32 v[4:5], null, s0, v8, v[2:3]
	v_mul_lo_u32 v16, s14, v7
	v_mad_u64_u32 v[6:7], null, s14, v6, 0
	s_mul_i32 s3, s3, s8
	s_mul_hi_u32 s9, s2, s8
	s_mul_i32 s2, s2, s8
	v_mov_b32_e32 v2, v5
	s_add_i32 s3, s9, s3
	v_add_nc_u32_e32 v13, 0x400, v9
	v_add3_u32 v7, v7, v16, v15
	s_lshl_b64 s[2:3], s[2:3], 2
	v_mad_u64_u32 v[8:9], null, s1, v8, v[2:3]
	s_add_u32 s9, s18, s2
	s_addc_u32 s14, s19, s3
	s_mul_i32 s2, s17, s8
	s_mul_hi_u32 s3, s16, s8
	v_lshlrev_b64 v[5:6], 2, v[6:7]
	v_add_co_u32 v7, vcc_lo, v4, s10
	s_add_i32 s3, s3, s2
	s_mul_i32 s2, s16, s8
	v_add_co_ci_u32_e64 v8, null, s11, v8, vcc_lo
	s_lshl_b64 s[2:3], s[2:3], 2
	v_lshlrev_b32_e32 v2, 2, v14
	v_add_co_u32 v9, vcc_lo, v5, s2
	v_add_co_ci_u32_e64 v6, null, s3, v6, vcc_lo
	v_lshlrev_b64 v[4:5], 2, v[7:8]
	v_add_co_u32 v2, vcc_lo, v9, v2
	v_add_co_ci_u32_e64 v7, null, 0, v6, vcc_lo
	v_mov_b32_e32 v8, v3
	v_add_co_u32 v4, vcc_lo, s9, v4
	v_add_co_ci_u32_e64 v5, null, s14, v5, vcc_lo
	v_add_co_u32 v6, vcc_lo, s12, v2
	v_add_co_ci_u32_e64 v7, null, s13, v7, vcc_lo
	v_mov_b32_e32 v2, v3
	v_mov_b32_e32 v9, v3
	s_lshl_b64 s[0:1], s[0:1], 5
	s_mov_b64 s[2:3], 0
.LBB43_2:                               ; =>This Inner Loop Header: Depth=1
	global_load_dword v14, v[6:7], off
	global_load_dword v15, v[4:5], off
	s_add_u32 s2, s2, 8
	s_addc_u32 s3, s3, 0
	v_add_co_u32 v4, vcc_lo, v4, s0
	v_cmp_lt_i64_e64 s9, s[2:3], s[20:21]
	v_add_co_ci_u32_e64 v5, null, s1, v5, vcc_lo
	v_add_co_u32 v6, vcc_lo, v6, 32
	v_add_co_ci_u32_e64 v7, null, 0, v7, vcc_lo
	s_and_b32 vcc_lo, exec_lo, s9
	s_waitcnt vmcnt(1)
	ds_write_b32 v12, v14
	s_waitcnt vmcnt(0)
	ds_write_b32 v13, v15
	s_waitcnt lgkmcnt(0)
	s_barrier
	buffer_gl0_inv
	ds_read_b128 v[14:17], v11
	ds_read2_b32 v[30:31], v10 offset1:16
	ds_read_b128 v[18:21], v11 offset:512
	ds_read2_b32 v[32:33], v10 offset0:32 offset1:48
	ds_read2_b32 v[34:35], v10 offset0:64 offset1:80
	ds_read_b128 v[22:25], v11 offset:16
	ds_read2_b32 v[36:37], v10 offset0:96 offset1:112
	ds_read2_b32 v[38:39], v10 offset0:128 offset1:144
	;; [unrolled: 3-line block ×3, first 2 shown]
	ds_read2_b32 v[44:45], v10 offset0:224 offset1:240
	s_waitcnt lgkmcnt(0)
	s_barrier
	buffer_gl0_inv
	v_fmac_f32_e32 v9, v30, v14
	v_fmac_f32_e32 v8, v31, v14
	;; [unrolled: 1-line block ×32, first 2 shown]
	s_cbranch_vccnz .LBB43_2
.LBB43_3:
	s_clause 0x3
	s_load_dwordx4 s[0:3], s[4:5], 0x78
	s_load_dword s9, s[4:5], 0x50
	s_load_dwordx8 s[12:19], s[4:5], 0x58
	s_load_dword s4, s[4:5], 0x18
	v_add_co_u32 v5, s5, s6, v0
	v_add_co_ci_u32_e64 v6, null, s7, 0, s5
	v_add_co_u32 v4, s5, s10, v1
	v_add_co_ci_u32_e64 v7, null, s11, 0, s5
	v_lshlrev_b64 v[0:1], 2, v[5:6]
	s_waitcnt lgkmcnt(0)
	s_mul_i32 s3, s3, s8
	s_mul_hi_u32 s5, s2, s8
	v_mul_lo_u32 v5, v7, s0
	v_mul_lo_u32 v6, v4, s1
	s_mul_i32 s2, s2, s8
	v_cmp_neq_f32_e64 s6, s9, 0
	s_add_i32 s3, s5, s3
	s_mov_b32 s5, 0
	s_lshl_b64 s[2:3], s[2:3], 2
	s_add_u32 s2, s18, s2
	s_addc_u32 s3, s19, s3
	s_and_b32 vcc_lo, exec_lo, s6
	s_cbranch_vccnz .LBB43_7
; %bb.4:
	v_mad_u64_u32 v[10:11], null, v4, s0, 0
	s_lshl_b64 s[6:7], s[0:1], 6
	v_mul_f32_e32 v14, s4, v9
	v_mul_f32_e32 v15, s4, v8
	;; [unrolled: 1-line block ×4, first 2 shown]
	v_add3_u32 v11, v11, v6, v5
	v_lshlrev_b64 v[10:11], 2, v[10:11]
	v_add_co_u32 v10, vcc_lo, s2, v10
	v_add_co_ci_u32_e64 v11, null, s3, v11, vcc_lo
	v_add_co_u32 v12, vcc_lo, v10, s6
	v_add_co_ci_u32_e64 v13, null, s7, v11, vcc_lo
	;; [unrolled: 2-line block ×4, first 2 shown]
	global_store_dword v[10:11], v14, off
	global_store_dword v[10:11], v15, off offset:64
	global_store_dword v[12:13], v16, off
	global_store_dword v[12:13], v17, off offset:64
	s_andn2_b32 vcc_lo, exec_lo, s5
	s_cbranch_vccnz .LBB43_6
.LBB43_5:
	v_mul_lo_u32 v7, v7, s14
	v_mul_lo_u32 v12, v4, s15
	v_mad_u64_u32 v[10:11], null, v4, s14, 0
	s_mul_i32 s5, s17, s8
	s_mul_hi_u32 s7, s16, s8
	s_mul_i32 s6, s16, s8
	s_add_i32 s7, s7, s5
	s_lshl_b64 s[6:7], s[6:7], 2
	v_add3_u32 v11, v11, v12, v7
	s_add_u32 s5, s12, s6
	s_addc_u32 s6, s13, s7
	v_mad_u64_u32 v[12:13], null, v4, s0, 0
	v_lshlrev_b64 v[10:11], 2, v[10:11]
	s_lshl_b64 s[0:1], s[0:1], 6
	v_add3_u32 v13, v13, v6, v5
	v_add_co_u32 v7, vcc_lo, s5, v10
	v_add_co_ci_u32_e64 v14, null, s6, v11, vcc_lo
	v_lshlrev_b64 v[4:5], 2, v[12:13]
	v_add_co_u32 v10, vcc_lo, v7, v0
	v_add_co_ci_u32_e64 v11, null, v14, v1, vcc_lo
	v_add_co_u32 v12, vcc_lo, s2, v4
	global_load_dword v15, v[10:11], off
	v_add_co_ci_u32_e64 v13, null, s3, v5, vcc_lo
	v_add_co_u32 v4, vcc_lo, v12, v0
	s_lshl_b64 s[2:3], s[14:15], 6
	v_add_co_ci_u32_e64 v5, null, v13, v1, vcc_lo
	s_waitcnt vmcnt(0)
	v_mul_f32_e32 v6, s9, v15
	v_fmac_f32_e32 v6, s4, v9
	global_store_dword v[4:5], v6, off
	global_load_dword v6, v[10:11], off offset:64
	s_waitcnt vmcnt(0)
	v_mul_f32_e32 v9, s9, v6
	v_add_co_u32 v6, vcc_lo, v7, s2
	v_add_co_ci_u32_e64 v7, null, s3, v14, vcc_lo
	v_fmac_f32_e32 v9, s4, v8
	v_add_co_u32 v6, vcc_lo, v6, v0
	v_add_co_ci_u32_e64 v7, null, v7, v1, vcc_lo
	global_store_dword v[4:5], v9, off offset:64
	v_add_co_u32 v5, vcc_lo, v12, s0
	global_load_dword v4, v[6:7], off
	v_add_co_ci_u32_e64 v8, null, s1, v13, vcc_lo
	v_add_co_u32 v0, vcc_lo, v5, v0
	v_add_co_ci_u32_e64 v1, null, v8, v1, vcc_lo
	s_waitcnt vmcnt(0)
	v_mul_f32_e32 v4, s9, v4
	v_fmac_f32_e32 v4, s4, v2
	global_store_dword v[0:1], v4, off
	global_load_dword v2, v[6:7], off offset:64
	s_waitcnt vmcnt(0)
	v_mul_f32_e32 v2, s9, v2
	v_fmac_f32_e32 v2, s4, v3
	global_store_dword v[0:1], v2, off offset:64
.LBB43_6:
	s_endpgm
.LBB43_7:
	s_branch .LBB43_5
	.section	.rodata,"a",@progbits
	.p2align	6, 0x0
	.amdhsa_kernel _ZN12_GLOBAL__N_127rocblas_gemm_batched_kernelIfLi16ELi16ELi32ELi32ELi8ELi32ELi8ELi8ELi32ELc84ELc84EKfS1_fEEvlllT_PT11_llS4_llS2_PT12_llPT13_lli
		.amdhsa_group_segment_fixed_size 2048
		.amdhsa_private_segment_fixed_size 0
		.amdhsa_kernarg_size 140
		.amdhsa_user_sgpr_count 6
		.amdhsa_user_sgpr_private_segment_buffer 1
		.amdhsa_user_sgpr_dispatch_ptr 0
		.amdhsa_user_sgpr_queue_ptr 0
		.amdhsa_user_sgpr_kernarg_segment_ptr 1
		.amdhsa_user_sgpr_dispatch_id 0
		.amdhsa_user_sgpr_flat_scratch_init 0
		.amdhsa_user_sgpr_private_segment_size 0
		.amdhsa_wavefront_size32 1
		.amdhsa_uses_dynamic_stack 0
		.amdhsa_system_sgpr_private_segment_wavefront_offset 0
		.amdhsa_system_sgpr_workgroup_id_x 1
		.amdhsa_system_sgpr_workgroup_id_y 1
		.amdhsa_system_sgpr_workgroup_id_z 1
		.amdhsa_system_sgpr_workgroup_info 0
		.amdhsa_system_vgpr_workitem_id 1
		.amdhsa_next_free_vgpr 46
		.amdhsa_next_free_sgpr 22
		.amdhsa_reserve_vcc 1
		.amdhsa_reserve_flat_scratch 0
		.amdhsa_float_round_mode_32 0
		.amdhsa_float_round_mode_16_64 0
		.amdhsa_float_denorm_mode_32 3
		.amdhsa_float_denorm_mode_16_64 3
		.amdhsa_dx10_clamp 1
		.amdhsa_ieee_mode 1
		.amdhsa_fp16_overflow 0
		.amdhsa_workgroup_processor_mode 1
		.amdhsa_memory_ordered 1
		.amdhsa_forward_progress 1
		.amdhsa_shared_vgpr_count 0
		.amdhsa_exception_fp_ieee_invalid_op 0
		.amdhsa_exception_fp_denorm_src 0
		.amdhsa_exception_fp_ieee_div_zero 0
		.amdhsa_exception_fp_ieee_overflow 0
		.amdhsa_exception_fp_ieee_underflow 0
		.amdhsa_exception_fp_ieee_inexact 0
		.amdhsa_exception_int_div_zero 0
	.end_amdhsa_kernel
	.section	.text._ZN12_GLOBAL__N_127rocblas_gemm_batched_kernelIfLi16ELi16ELi32ELi32ELi8ELi32ELi8ELi8ELi32ELc84ELc84EKfS1_fEEvlllT_PT11_llS4_llS2_PT12_llPT13_lli,"axG",@progbits,_ZN12_GLOBAL__N_127rocblas_gemm_batched_kernelIfLi16ELi16ELi32ELi32ELi8ELi32ELi8ELi8ELi32ELc84ELc84EKfS1_fEEvlllT_PT11_llS4_llS2_PT12_llPT13_lli,comdat
.Lfunc_end43:
	.size	_ZN12_GLOBAL__N_127rocblas_gemm_batched_kernelIfLi16ELi16ELi32ELi32ELi8ELi32ELi8ELi8ELi32ELc84ELc84EKfS1_fEEvlllT_PT11_llS4_llS2_PT12_llPT13_lli, .Lfunc_end43-_ZN12_GLOBAL__N_127rocblas_gemm_batched_kernelIfLi16ELi16ELi32ELi32ELi8ELi32ELi8ELi8ELi32ELc84ELc84EKfS1_fEEvlllT_PT11_llS4_llS2_PT12_llPT13_lli
                                        ; -- End function
	.set _ZN12_GLOBAL__N_127rocblas_gemm_batched_kernelIfLi16ELi16ELi32ELi32ELi8ELi32ELi8ELi8ELi32ELc84ELc84EKfS1_fEEvlllT_PT11_llS4_llS2_PT12_llPT13_lli.num_vgpr, 46
	.set _ZN12_GLOBAL__N_127rocblas_gemm_batched_kernelIfLi16ELi16ELi32ELi32ELi8ELi32ELi8ELi8ELi32ELc84ELc84EKfS1_fEEvlllT_PT11_llS4_llS2_PT12_llPT13_lli.num_agpr, 0
	.set _ZN12_GLOBAL__N_127rocblas_gemm_batched_kernelIfLi16ELi16ELi32ELi32ELi8ELi32ELi8ELi8ELi32ELc84ELc84EKfS1_fEEvlllT_PT11_llS4_llS2_PT12_llPT13_lli.numbered_sgpr, 22
	.set _ZN12_GLOBAL__N_127rocblas_gemm_batched_kernelIfLi16ELi16ELi32ELi32ELi8ELi32ELi8ELi8ELi32ELc84ELc84EKfS1_fEEvlllT_PT11_llS4_llS2_PT12_llPT13_lli.num_named_barrier, 0
	.set _ZN12_GLOBAL__N_127rocblas_gemm_batched_kernelIfLi16ELi16ELi32ELi32ELi8ELi32ELi8ELi8ELi32ELc84ELc84EKfS1_fEEvlllT_PT11_llS4_llS2_PT12_llPT13_lli.private_seg_size, 0
	.set _ZN12_GLOBAL__N_127rocblas_gemm_batched_kernelIfLi16ELi16ELi32ELi32ELi8ELi32ELi8ELi8ELi32ELc84ELc84EKfS1_fEEvlllT_PT11_llS4_llS2_PT12_llPT13_lli.uses_vcc, 1
	.set _ZN12_GLOBAL__N_127rocblas_gemm_batched_kernelIfLi16ELi16ELi32ELi32ELi8ELi32ELi8ELi8ELi32ELc84ELc84EKfS1_fEEvlllT_PT11_llS4_llS2_PT12_llPT13_lli.uses_flat_scratch, 0
	.set _ZN12_GLOBAL__N_127rocblas_gemm_batched_kernelIfLi16ELi16ELi32ELi32ELi8ELi32ELi8ELi8ELi32ELc84ELc84EKfS1_fEEvlllT_PT11_llS4_llS2_PT12_llPT13_lli.has_dyn_sized_stack, 0
	.set _ZN12_GLOBAL__N_127rocblas_gemm_batched_kernelIfLi16ELi16ELi32ELi32ELi8ELi32ELi8ELi8ELi32ELc84ELc84EKfS1_fEEvlllT_PT11_llS4_llS2_PT12_llPT13_lli.has_recursion, 0
	.set _ZN12_GLOBAL__N_127rocblas_gemm_batched_kernelIfLi16ELi16ELi32ELi32ELi8ELi32ELi8ELi8ELi32ELc84ELc84EKfS1_fEEvlllT_PT11_llS4_llS2_PT12_llPT13_lli.has_indirect_call, 0
	.section	.AMDGPU.csdata,"",@progbits
; Kernel info:
; codeLenInByte = 1392
; TotalNumSgprs: 24
; NumVgprs: 46
; ScratchSize: 0
; MemoryBound: 0
; FloatMode: 240
; IeeeMode: 1
; LDSByteSize: 2048 bytes/workgroup (compile time only)
; SGPRBlocks: 0
; VGPRBlocks: 5
; NumSGPRsForWavesPerEU: 24
; NumVGPRsForWavesPerEU: 46
; Occupancy: 16
; WaveLimiterHint : 0
; COMPUTE_PGM_RSRC2:SCRATCH_EN: 0
; COMPUTE_PGM_RSRC2:USER_SGPR: 6
; COMPUTE_PGM_RSRC2:TRAP_HANDLER: 0
; COMPUTE_PGM_RSRC2:TGID_X_EN: 1
; COMPUTE_PGM_RSRC2:TGID_Y_EN: 1
; COMPUTE_PGM_RSRC2:TGID_Z_EN: 1
; COMPUTE_PGM_RSRC2:TIDIG_COMP_CNT: 1
	.section	.text._ZN12_GLOBAL__N_127rocblas_gemm_batched_kernelIfLi16ELi16ELi32ELi32ELi8ELi32ELi8ELi8ELi32ELc67ELc67EKfS1_fEEvlllT_PT11_llS4_llS2_PT12_llPT13_lli,"axG",@progbits,_ZN12_GLOBAL__N_127rocblas_gemm_batched_kernelIfLi16ELi16ELi32ELi32ELi8ELi32ELi8ELi8ELi32ELc67ELc67EKfS1_fEEvlllT_PT11_llS4_llS2_PT12_llPT13_lli,comdat
	.globl	_ZN12_GLOBAL__N_127rocblas_gemm_batched_kernelIfLi16ELi16ELi32ELi32ELi8ELi32ELi8ELi8ELi32ELc67ELc67EKfS1_fEEvlllT_PT11_llS4_llS2_PT12_llPT13_lli ; -- Begin function _ZN12_GLOBAL__N_127rocblas_gemm_batched_kernelIfLi16ELi16ELi32ELi32ELi8ELi32ELi8ELi8ELi32ELc67ELc67EKfS1_fEEvlllT_PT11_llS4_llS2_PT12_llPT13_lli
	.p2align	8
	.type	_ZN12_GLOBAL__N_127rocblas_gemm_batched_kernelIfLi16ELi16ELi32ELi32ELi8ELi32ELi8ELi8ELi32ELc67ELc67EKfS1_fEEvlllT_PT11_llS4_llS2_PT12_llPT13_lli,@function
_ZN12_GLOBAL__N_127rocblas_gemm_batched_kernelIfLi16ELi16ELi32ELi32ELi8ELi32ELi8ELi8ELi32ELc67ELc67EKfS1_fEEvlllT_PT11_llS4_llS2_PT12_llPT13_lli: ; @_ZN12_GLOBAL__N_127rocblas_gemm_batched_kernelIfLi16ELi16ELi32ELi32ELi8ELi32ELi8ELi8ELi32ELc67ELc67EKfS1_fEEvlllT_PT11_llS4_llS2_PT12_llPT13_lli
; %bb.0:
	s_load_dwordx2 s[20:21], s[4:5], 0x10
	s_mov_b32 s0, s7
	v_mov_b32_e32 v9, 0
	v_mov_b32_e32 v8, 0
	;; [unrolled: 1-line block ×4, first 2 shown]
	s_ashr_i32 s7, s6, 31
	s_ashr_i32 s1, s0, 31
	s_lshl_b64 s[6:7], s[6:7], 5
	s_lshl_b64 s[10:11], s[0:1], 5
	s_waitcnt lgkmcnt(0)
	v_cmp_lt_i64_e64 s2, s[20:21], 1
	s_and_b32 vcc_lo, exec_lo, s2
	s_cbranch_vccnz .LBB44_3
; %bb.1:
	s_clause 0x1
	s_load_dwordx8 s[12:19], s[4:5], 0x20
	s_load_dwordx4 s[0:3], s[4:5], 0x40
	v_lshl_add_u32 v4, v1, 4, v0
	v_and_b32_e32 v8, 7, v0
	v_mov_b32_e32 v3, 0
	v_lshlrev_b32_e32 v10, 2, v0
	v_lshl_add_u32 v11, v1, 5, 0x400
	v_and_b32_e32 v5, 31, v4
	v_lshrrev_b32_e32 v2, 3, v4
	v_lshlrev_b32_e32 v6, 2, v8
	v_lshrrev_b32_e32 v14, 5, v4
	v_lshlrev_b32_e32 v4, 2, v5
	v_lshl_or_b32 v9, v2, 5, v6
	v_add_co_u32 v6, s9, s6, v5
	v_add_co_ci_u32_e64 v7, null, s7, 0, s9
	v_lshl_or_b32 v12, v14, 7, v4
	s_waitcnt lgkmcnt(0)
	v_mul_lo_u32 v15, s15, v6
	v_mad_u64_u32 v[4:5], null, s0, v8, v[2:3]
	v_mul_lo_u32 v16, s14, v7
	v_mad_u64_u32 v[6:7], null, s14, v6, 0
	s_mul_i32 s3, s3, s8
	s_mul_hi_u32 s9, s2, s8
	s_mul_i32 s2, s2, s8
	v_mov_b32_e32 v2, v5
	s_add_i32 s3, s9, s3
	v_add_nc_u32_e32 v13, 0x400, v9
	v_add3_u32 v7, v7, v16, v15
	s_lshl_b64 s[2:3], s[2:3], 2
	v_mad_u64_u32 v[8:9], null, s1, v8, v[2:3]
	s_add_u32 s9, s18, s2
	s_addc_u32 s14, s19, s3
	s_mul_i32 s2, s17, s8
	s_mul_hi_u32 s3, s16, s8
	v_lshlrev_b64 v[5:6], 2, v[6:7]
	v_add_co_u32 v7, vcc_lo, v4, s10
	s_add_i32 s3, s3, s2
	s_mul_i32 s2, s16, s8
	v_add_co_ci_u32_e64 v8, null, s11, v8, vcc_lo
	s_lshl_b64 s[2:3], s[2:3], 2
	v_lshlrev_b32_e32 v2, 2, v14
	v_add_co_u32 v9, vcc_lo, v5, s2
	v_add_co_ci_u32_e64 v6, null, s3, v6, vcc_lo
	v_lshlrev_b64 v[4:5], 2, v[7:8]
	v_add_co_u32 v2, vcc_lo, v9, v2
	v_add_co_ci_u32_e64 v7, null, 0, v6, vcc_lo
	v_mov_b32_e32 v8, v3
	v_add_co_u32 v4, vcc_lo, s9, v4
	v_add_co_ci_u32_e64 v5, null, s14, v5, vcc_lo
	v_add_co_u32 v6, vcc_lo, s12, v2
	v_add_co_ci_u32_e64 v7, null, s13, v7, vcc_lo
	v_mov_b32_e32 v2, v3
	v_mov_b32_e32 v9, v3
	s_lshl_b64 s[0:1], s[0:1], 5
	s_mov_b64 s[2:3], 0
.LBB44_2:                               ; =>This Inner Loop Header: Depth=1
	global_load_dword v14, v[6:7], off
	global_load_dword v15, v[4:5], off
	s_add_u32 s2, s2, 8
	s_addc_u32 s3, s3, 0
	v_add_co_u32 v4, vcc_lo, v4, s0
	v_cmp_lt_i64_e64 s9, s[2:3], s[20:21]
	v_add_co_ci_u32_e64 v5, null, s1, v5, vcc_lo
	v_add_co_u32 v6, vcc_lo, v6, 32
	v_add_co_ci_u32_e64 v7, null, 0, v7, vcc_lo
	s_and_b32 vcc_lo, exec_lo, s9
	s_waitcnt vmcnt(1)
	ds_write_b32 v12, v14
	s_waitcnt vmcnt(0)
	ds_write_b32 v13, v15
	s_waitcnt lgkmcnt(0)
	s_barrier
	buffer_gl0_inv
	ds_read_b128 v[14:17], v11
	ds_read2_b32 v[30:31], v10 offset1:16
	ds_read_b128 v[18:21], v11 offset:512
	ds_read2_b32 v[32:33], v10 offset0:32 offset1:48
	ds_read2_b32 v[34:35], v10 offset0:64 offset1:80
	ds_read_b128 v[22:25], v11 offset:16
	ds_read2_b32 v[36:37], v10 offset0:96 offset1:112
	ds_read2_b32 v[38:39], v10 offset0:128 offset1:144
	;; [unrolled: 3-line block ×3, first 2 shown]
	ds_read2_b32 v[44:45], v10 offset0:224 offset1:240
	s_waitcnt lgkmcnt(0)
	s_barrier
	buffer_gl0_inv
	v_fmac_f32_e32 v9, v30, v14
	v_fmac_f32_e32 v8, v31, v14
	;; [unrolled: 1-line block ×32, first 2 shown]
	s_cbranch_vccnz .LBB44_2
.LBB44_3:
	s_clause 0x3
	s_load_dwordx4 s[0:3], s[4:5], 0x78
	s_load_dword s9, s[4:5], 0x50
	s_load_dwordx8 s[12:19], s[4:5], 0x58
	s_load_dword s4, s[4:5], 0x18
	v_add_co_u32 v5, s5, s6, v0
	v_add_co_ci_u32_e64 v6, null, s7, 0, s5
	v_add_co_u32 v4, s5, s10, v1
	v_add_co_ci_u32_e64 v7, null, s11, 0, s5
	v_lshlrev_b64 v[0:1], 2, v[5:6]
	s_waitcnt lgkmcnt(0)
	s_mul_i32 s3, s3, s8
	s_mul_hi_u32 s5, s2, s8
	v_mul_lo_u32 v5, v7, s0
	v_mul_lo_u32 v6, v4, s1
	s_mul_i32 s2, s2, s8
	v_cmp_neq_f32_e64 s6, s9, 0
	s_add_i32 s3, s5, s3
	s_mov_b32 s5, 0
	s_lshl_b64 s[2:3], s[2:3], 2
	s_add_u32 s2, s18, s2
	s_addc_u32 s3, s19, s3
	s_and_b32 vcc_lo, exec_lo, s6
	s_cbranch_vccnz .LBB44_7
; %bb.4:
	v_mad_u64_u32 v[10:11], null, v4, s0, 0
	s_lshl_b64 s[6:7], s[0:1], 6
	v_mul_f32_e32 v14, s4, v9
	v_mul_f32_e32 v15, s4, v8
	;; [unrolled: 1-line block ×4, first 2 shown]
	v_add3_u32 v11, v11, v6, v5
	v_lshlrev_b64 v[10:11], 2, v[10:11]
	v_add_co_u32 v10, vcc_lo, s2, v10
	v_add_co_ci_u32_e64 v11, null, s3, v11, vcc_lo
	v_add_co_u32 v12, vcc_lo, v10, s6
	v_add_co_ci_u32_e64 v13, null, s7, v11, vcc_lo
	;; [unrolled: 2-line block ×4, first 2 shown]
	global_store_dword v[10:11], v14, off
	global_store_dword v[10:11], v15, off offset:64
	global_store_dword v[12:13], v16, off
	global_store_dword v[12:13], v17, off offset:64
	s_andn2_b32 vcc_lo, exec_lo, s5
	s_cbranch_vccnz .LBB44_6
.LBB44_5:
	v_mul_lo_u32 v7, v7, s14
	v_mul_lo_u32 v12, v4, s15
	v_mad_u64_u32 v[10:11], null, v4, s14, 0
	s_mul_i32 s5, s17, s8
	s_mul_hi_u32 s7, s16, s8
	s_mul_i32 s6, s16, s8
	s_add_i32 s7, s7, s5
	s_lshl_b64 s[6:7], s[6:7], 2
	v_add3_u32 v11, v11, v12, v7
	s_add_u32 s5, s12, s6
	s_addc_u32 s6, s13, s7
	v_mad_u64_u32 v[12:13], null, v4, s0, 0
	v_lshlrev_b64 v[10:11], 2, v[10:11]
	s_lshl_b64 s[0:1], s[0:1], 6
	v_add3_u32 v13, v13, v6, v5
	v_add_co_u32 v7, vcc_lo, s5, v10
	v_add_co_ci_u32_e64 v14, null, s6, v11, vcc_lo
	v_lshlrev_b64 v[4:5], 2, v[12:13]
	v_add_co_u32 v10, vcc_lo, v7, v0
	v_add_co_ci_u32_e64 v11, null, v14, v1, vcc_lo
	v_add_co_u32 v12, vcc_lo, s2, v4
	global_load_dword v15, v[10:11], off
	v_add_co_ci_u32_e64 v13, null, s3, v5, vcc_lo
	v_add_co_u32 v4, vcc_lo, v12, v0
	s_lshl_b64 s[2:3], s[14:15], 6
	v_add_co_ci_u32_e64 v5, null, v13, v1, vcc_lo
	s_waitcnt vmcnt(0)
	v_mul_f32_e32 v6, s9, v15
	v_fmac_f32_e32 v6, s4, v9
	global_store_dword v[4:5], v6, off
	global_load_dword v6, v[10:11], off offset:64
	s_waitcnt vmcnt(0)
	v_mul_f32_e32 v9, s9, v6
	v_add_co_u32 v6, vcc_lo, v7, s2
	v_add_co_ci_u32_e64 v7, null, s3, v14, vcc_lo
	v_fmac_f32_e32 v9, s4, v8
	v_add_co_u32 v6, vcc_lo, v6, v0
	v_add_co_ci_u32_e64 v7, null, v7, v1, vcc_lo
	global_store_dword v[4:5], v9, off offset:64
	v_add_co_u32 v5, vcc_lo, v12, s0
	global_load_dword v4, v[6:7], off
	v_add_co_ci_u32_e64 v8, null, s1, v13, vcc_lo
	v_add_co_u32 v0, vcc_lo, v5, v0
	v_add_co_ci_u32_e64 v1, null, v8, v1, vcc_lo
	s_waitcnt vmcnt(0)
	v_mul_f32_e32 v4, s9, v4
	v_fmac_f32_e32 v4, s4, v2
	global_store_dword v[0:1], v4, off
	global_load_dword v2, v[6:7], off offset:64
	s_waitcnt vmcnt(0)
	v_mul_f32_e32 v2, s9, v2
	v_fmac_f32_e32 v2, s4, v3
	global_store_dword v[0:1], v2, off offset:64
.LBB44_6:
	s_endpgm
.LBB44_7:
	s_branch .LBB44_5
	.section	.rodata,"a",@progbits
	.p2align	6, 0x0
	.amdhsa_kernel _ZN12_GLOBAL__N_127rocblas_gemm_batched_kernelIfLi16ELi16ELi32ELi32ELi8ELi32ELi8ELi8ELi32ELc67ELc67EKfS1_fEEvlllT_PT11_llS4_llS2_PT12_llPT13_lli
		.amdhsa_group_segment_fixed_size 2048
		.amdhsa_private_segment_fixed_size 0
		.amdhsa_kernarg_size 140
		.amdhsa_user_sgpr_count 6
		.amdhsa_user_sgpr_private_segment_buffer 1
		.amdhsa_user_sgpr_dispatch_ptr 0
		.amdhsa_user_sgpr_queue_ptr 0
		.amdhsa_user_sgpr_kernarg_segment_ptr 1
		.amdhsa_user_sgpr_dispatch_id 0
		.amdhsa_user_sgpr_flat_scratch_init 0
		.amdhsa_user_sgpr_private_segment_size 0
		.amdhsa_wavefront_size32 1
		.amdhsa_uses_dynamic_stack 0
		.amdhsa_system_sgpr_private_segment_wavefront_offset 0
		.amdhsa_system_sgpr_workgroup_id_x 1
		.amdhsa_system_sgpr_workgroup_id_y 1
		.amdhsa_system_sgpr_workgroup_id_z 1
		.amdhsa_system_sgpr_workgroup_info 0
		.amdhsa_system_vgpr_workitem_id 1
		.amdhsa_next_free_vgpr 46
		.amdhsa_next_free_sgpr 22
		.amdhsa_reserve_vcc 1
		.amdhsa_reserve_flat_scratch 0
		.amdhsa_float_round_mode_32 0
		.amdhsa_float_round_mode_16_64 0
		.amdhsa_float_denorm_mode_32 3
		.amdhsa_float_denorm_mode_16_64 3
		.amdhsa_dx10_clamp 1
		.amdhsa_ieee_mode 1
		.amdhsa_fp16_overflow 0
		.amdhsa_workgroup_processor_mode 1
		.amdhsa_memory_ordered 1
		.amdhsa_forward_progress 1
		.amdhsa_shared_vgpr_count 0
		.amdhsa_exception_fp_ieee_invalid_op 0
		.amdhsa_exception_fp_denorm_src 0
		.amdhsa_exception_fp_ieee_div_zero 0
		.amdhsa_exception_fp_ieee_overflow 0
		.amdhsa_exception_fp_ieee_underflow 0
		.amdhsa_exception_fp_ieee_inexact 0
		.amdhsa_exception_int_div_zero 0
	.end_amdhsa_kernel
	.section	.text._ZN12_GLOBAL__N_127rocblas_gemm_batched_kernelIfLi16ELi16ELi32ELi32ELi8ELi32ELi8ELi8ELi32ELc67ELc67EKfS1_fEEvlllT_PT11_llS4_llS2_PT12_llPT13_lli,"axG",@progbits,_ZN12_GLOBAL__N_127rocblas_gemm_batched_kernelIfLi16ELi16ELi32ELi32ELi8ELi32ELi8ELi8ELi32ELc67ELc67EKfS1_fEEvlllT_PT11_llS4_llS2_PT12_llPT13_lli,comdat
.Lfunc_end44:
	.size	_ZN12_GLOBAL__N_127rocblas_gemm_batched_kernelIfLi16ELi16ELi32ELi32ELi8ELi32ELi8ELi8ELi32ELc67ELc67EKfS1_fEEvlllT_PT11_llS4_llS2_PT12_llPT13_lli, .Lfunc_end44-_ZN12_GLOBAL__N_127rocblas_gemm_batched_kernelIfLi16ELi16ELi32ELi32ELi8ELi32ELi8ELi8ELi32ELc67ELc67EKfS1_fEEvlllT_PT11_llS4_llS2_PT12_llPT13_lli
                                        ; -- End function
	.set _ZN12_GLOBAL__N_127rocblas_gemm_batched_kernelIfLi16ELi16ELi32ELi32ELi8ELi32ELi8ELi8ELi32ELc67ELc67EKfS1_fEEvlllT_PT11_llS4_llS2_PT12_llPT13_lli.num_vgpr, 46
	.set _ZN12_GLOBAL__N_127rocblas_gemm_batched_kernelIfLi16ELi16ELi32ELi32ELi8ELi32ELi8ELi8ELi32ELc67ELc67EKfS1_fEEvlllT_PT11_llS4_llS2_PT12_llPT13_lli.num_agpr, 0
	.set _ZN12_GLOBAL__N_127rocblas_gemm_batched_kernelIfLi16ELi16ELi32ELi32ELi8ELi32ELi8ELi8ELi32ELc67ELc67EKfS1_fEEvlllT_PT11_llS4_llS2_PT12_llPT13_lli.numbered_sgpr, 22
	.set _ZN12_GLOBAL__N_127rocblas_gemm_batched_kernelIfLi16ELi16ELi32ELi32ELi8ELi32ELi8ELi8ELi32ELc67ELc67EKfS1_fEEvlllT_PT11_llS4_llS2_PT12_llPT13_lli.num_named_barrier, 0
	.set _ZN12_GLOBAL__N_127rocblas_gemm_batched_kernelIfLi16ELi16ELi32ELi32ELi8ELi32ELi8ELi8ELi32ELc67ELc67EKfS1_fEEvlllT_PT11_llS4_llS2_PT12_llPT13_lli.private_seg_size, 0
	.set _ZN12_GLOBAL__N_127rocblas_gemm_batched_kernelIfLi16ELi16ELi32ELi32ELi8ELi32ELi8ELi8ELi32ELc67ELc67EKfS1_fEEvlllT_PT11_llS4_llS2_PT12_llPT13_lli.uses_vcc, 1
	.set _ZN12_GLOBAL__N_127rocblas_gemm_batched_kernelIfLi16ELi16ELi32ELi32ELi8ELi32ELi8ELi8ELi32ELc67ELc67EKfS1_fEEvlllT_PT11_llS4_llS2_PT12_llPT13_lli.uses_flat_scratch, 0
	.set _ZN12_GLOBAL__N_127rocblas_gemm_batched_kernelIfLi16ELi16ELi32ELi32ELi8ELi32ELi8ELi8ELi32ELc67ELc67EKfS1_fEEvlllT_PT11_llS4_llS2_PT12_llPT13_lli.has_dyn_sized_stack, 0
	.set _ZN12_GLOBAL__N_127rocblas_gemm_batched_kernelIfLi16ELi16ELi32ELi32ELi8ELi32ELi8ELi8ELi32ELc67ELc67EKfS1_fEEvlllT_PT11_llS4_llS2_PT12_llPT13_lli.has_recursion, 0
	.set _ZN12_GLOBAL__N_127rocblas_gemm_batched_kernelIfLi16ELi16ELi32ELi32ELi8ELi32ELi8ELi8ELi32ELc67ELc67EKfS1_fEEvlllT_PT11_llS4_llS2_PT12_llPT13_lli.has_indirect_call, 0
	.section	.AMDGPU.csdata,"",@progbits
; Kernel info:
; codeLenInByte = 1392
; TotalNumSgprs: 24
; NumVgprs: 46
; ScratchSize: 0
; MemoryBound: 0
; FloatMode: 240
; IeeeMode: 1
; LDSByteSize: 2048 bytes/workgroup (compile time only)
; SGPRBlocks: 0
; VGPRBlocks: 5
; NumSGPRsForWavesPerEU: 24
; NumVGPRsForWavesPerEU: 46
; Occupancy: 16
; WaveLimiterHint : 0
; COMPUTE_PGM_RSRC2:SCRATCH_EN: 0
; COMPUTE_PGM_RSRC2:USER_SGPR: 6
; COMPUTE_PGM_RSRC2:TRAP_HANDLER: 0
; COMPUTE_PGM_RSRC2:TGID_X_EN: 1
; COMPUTE_PGM_RSRC2:TGID_Y_EN: 1
; COMPUTE_PGM_RSRC2:TGID_Z_EN: 1
; COMPUTE_PGM_RSRC2:TIDIG_COMP_CNT: 1
	.section	.text._ZN12_GLOBAL__N_127rocblas_gemm_batched_kernelIfLi16ELi16ELi32ELi32ELi8ELi32ELi8ELi8ELi32ELc67ELc78EKfS1_fEEvlllT_PT11_llS4_llS2_PT12_llPT13_lli,"axG",@progbits,_ZN12_GLOBAL__N_127rocblas_gemm_batched_kernelIfLi16ELi16ELi32ELi32ELi8ELi32ELi8ELi8ELi32ELc67ELc78EKfS1_fEEvlllT_PT11_llS4_llS2_PT12_llPT13_lli,comdat
	.globl	_ZN12_GLOBAL__N_127rocblas_gemm_batched_kernelIfLi16ELi16ELi32ELi32ELi8ELi32ELi8ELi8ELi32ELc67ELc78EKfS1_fEEvlllT_PT11_llS4_llS2_PT12_llPT13_lli ; -- Begin function _ZN12_GLOBAL__N_127rocblas_gemm_batched_kernelIfLi16ELi16ELi32ELi32ELi8ELi32ELi8ELi8ELi32ELc67ELc78EKfS1_fEEvlllT_PT11_llS4_llS2_PT12_llPT13_lli
	.p2align	8
	.type	_ZN12_GLOBAL__N_127rocblas_gemm_batched_kernelIfLi16ELi16ELi32ELi32ELi8ELi32ELi8ELi8ELi32ELc67ELc78EKfS1_fEEvlllT_PT11_llS4_llS2_PT12_llPT13_lli,@function
_ZN12_GLOBAL__N_127rocblas_gemm_batched_kernelIfLi16ELi16ELi32ELi32ELi8ELi32ELi8ELi8ELi32ELc67ELc78EKfS1_fEEvlllT_PT11_llS4_llS2_PT12_llPT13_lli: ; @_ZN12_GLOBAL__N_127rocblas_gemm_batched_kernelIfLi16ELi16ELi32ELi32ELi8ELi32ELi8ELi8ELi32ELc67ELc78EKfS1_fEEvlllT_PT11_llS4_llS2_PT12_llPT13_lli
; %bb.0:
	s_load_dwordx2 s[20:21], s[4:5], 0x10
	s_mov_b32 s0, s7
	v_mov_b32_e32 v9, 0
	v_mov_b32_e32 v8, 0
	;; [unrolled: 1-line block ×4, first 2 shown]
	s_ashr_i32 s7, s6, 31
	s_ashr_i32 s1, s0, 31
	s_lshl_b64 s[6:7], s[6:7], 5
	s_lshl_b64 s[10:11], s[0:1], 5
	s_waitcnt lgkmcnt(0)
	v_cmp_lt_i64_e64 s2, s[20:21], 1
	s_and_b32 vcc_lo, exec_lo, s2
	s_cbranch_vccnz .LBB45_3
; %bb.1:
	s_load_dwordx4 s[0:3], s[4:5], 0x40
	v_lshl_add_u32 v2, v1, 4, v0
	s_load_dwordx8 s[12:19], s[4:5], 0x20
	v_and_b32_e32 v3, 7, v0
	v_mov_b32_e32 v6, 0
	v_lshrrev_b32_e32 v4, 3, v2
	v_and_b32_e32 v5, 31, v2
	v_lshrrev_b32_e32 v7, 5, v2
	v_lshlrev_b32_e32 v8, 2, v3
	v_add_co_u32 v2, s9, v4, s10
	v_add_co_ci_u32_e64 v3, null, 0, s11, s9
	v_lshlrev_b32_e32 v9, 2, v5
	v_add_co_u32 v5, s9, s6, v5
	v_lshl_or_b32 v4, v4, 5, v8
	v_add_co_ci_u32_e64 v12, null, s7, 0, s9
	s_waitcnt lgkmcnt(0)
	v_mul_lo_u32 v13, s1, v2
	v_mul_lo_u32 v14, s0, v3
	v_mad_u64_u32 v[2:3], null, s0, v2, 0
	v_lshl_or_b32 v10, v7, 7, v9
	v_add_nc_u32_e32 v11, 0x400, v4
	v_mul_lo_u32 v9, s15, v5
	v_mul_lo_u32 v15, s14, v12
	v_mad_u64_u32 v[4:5], null, s14, v5, 0
	v_add3_u32 v3, v3, v14, v13
	s_mul_i32 s0, s3, s8
	s_mul_hi_u32 s1, s2, s8
	s_mul_hi_u32 s3, s16, s8
	s_add_i32 s1, s1, s0
	v_lshlrev_b64 v[2:3], 2, v[2:3]
	v_add3_u32 v5, v5, v15, v9
	s_mul_i32 s0, s2, s8
	s_mul_i32 s2, s17, s8
	s_lshl_b64 s[0:1], s[0:1], 2
	s_add_i32 s3, s3, s2
	v_lshlrev_b64 v[4:5], 2, v[4:5]
	s_mul_i32 s2, s16, s8
	v_add_co_u32 v2, vcc_lo, v2, s0
	v_add_co_ci_u32_e64 v3, null, s1, v3, vcc_lo
	s_lshl_b64 s[0:1], s[2:3], 2
	v_lshlrev_b32_e32 v7, 2, v7
	v_add_co_u32 v4, vcc_lo, v4, s0
	v_add_co_ci_u32_e64 v5, null, s1, v5, vcc_lo
	v_add_co_u32 v2, vcc_lo, v2, v8
	v_add_co_ci_u32_e64 v3, null, 0, v3, vcc_lo
	;; [unrolled: 2-line block ×4, first 2 shown]
	v_add_co_u32 v4, vcc_lo, s12, v4
	v_lshlrev_b32_e32 v12, 2, v0
	v_lshl_add_u32 v13, v1, 5, 0x400
	v_add_co_ci_u32_e64 v5, null, s13, v5, vcc_lo
	v_mov_b32_e32 v7, 0
	v_mov_b32_e32 v8, 0
	;; [unrolled: 1-line block ×3, first 2 shown]
	s_mov_b64 s[0:1], 0
.LBB45_2:                               ; =>This Inner Loop Header: Depth=1
	global_load_dword v14, v[4:5], off
	global_load_dword v15, v[2:3], off
	s_add_u32 s0, s0, 8
	s_addc_u32 s1, s1, 0
	v_add_co_u32 v2, vcc_lo, v2, 32
	v_cmp_lt_i64_e64 s2, s[0:1], s[20:21]
	v_add_co_ci_u32_e64 v3, null, 0, v3, vcc_lo
	v_add_co_u32 v4, vcc_lo, v4, 32
	v_add_co_ci_u32_e64 v5, null, 0, v5, vcc_lo
	s_and_b32 vcc_lo, exec_lo, s2
	s_waitcnt vmcnt(1)
	ds_write_b32 v10, v14
	s_waitcnt vmcnt(0)
	ds_write_b32 v11, v15
	s_waitcnt lgkmcnt(0)
	s_barrier
	buffer_gl0_inv
	ds_read_b128 v[14:17], v13
	ds_read2_b32 v[30:31], v12 offset1:16
	ds_read_b128 v[18:21], v13 offset:512
	ds_read2_b32 v[32:33], v12 offset0:32 offset1:48
	ds_read2_b32 v[34:35], v12 offset0:64 offset1:80
	ds_read_b128 v[22:25], v13 offset:16
	ds_read2_b32 v[36:37], v12 offset0:96 offset1:112
	ds_read2_b32 v[38:39], v12 offset0:128 offset1:144
	;; [unrolled: 3-line block ×3, first 2 shown]
	ds_read2_b32 v[44:45], v12 offset0:224 offset1:240
	s_waitcnt lgkmcnt(0)
	s_barrier
	buffer_gl0_inv
	v_fmac_f32_e32 v9, v30, v14
	v_fmac_f32_e32 v8, v31, v14
	;; [unrolled: 1-line block ×32, first 2 shown]
	s_cbranch_vccnz .LBB45_2
.LBB45_3:
	s_clause 0x3
	s_load_dwordx4 s[0:3], s[4:5], 0x78
	s_load_dword s9, s[4:5], 0x50
	s_load_dwordx8 s[12:19], s[4:5], 0x58
	s_load_dword s4, s[4:5], 0x18
	v_add_co_u32 v3, s5, s6, v0
	v_add_co_ci_u32_e64 v4, null, s7, 0, s5
	v_add_co_u32 v2, s5, s10, v1
	v_add_co_ci_u32_e64 v5, null, s11, 0, s5
	v_lshlrev_b64 v[0:1], 2, v[3:4]
	s_waitcnt lgkmcnt(0)
	s_mul_i32 s3, s3, s8
	s_mul_hi_u32 s5, s2, s8
	v_mul_lo_u32 v3, v5, s0
	v_mul_lo_u32 v4, v2, s1
	s_mul_i32 s2, s2, s8
	v_cmp_neq_f32_e64 s6, s9, 0
	s_add_i32 s3, s5, s3
	s_mov_b32 s5, 0
	s_lshl_b64 s[2:3], s[2:3], 2
	s_add_u32 s2, s18, s2
	s_addc_u32 s3, s19, s3
	s_and_b32 vcc_lo, exec_lo, s6
	s_cbranch_vccnz .LBB45_7
; %bb.4:
	v_mad_u64_u32 v[10:11], null, v2, s0, 0
	s_lshl_b64 s[6:7], s[0:1], 6
	v_mul_f32_e32 v14, s4, v9
	v_mul_f32_e32 v15, s4, v8
	;; [unrolled: 1-line block ×4, first 2 shown]
	v_add3_u32 v11, v11, v4, v3
	v_lshlrev_b64 v[10:11], 2, v[10:11]
	v_add_co_u32 v10, vcc_lo, s2, v10
	v_add_co_ci_u32_e64 v11, null, s3, v11, vcc_lo
	v_add_co_u32 v12, vcc_lo, v10, s6
	v_add_co_ci_u32_e64 v13, null, s7, v11, vcc_lo
	v_add_co_u32 v10, vcc_lo, v10, v0
	v_add_co_ci_u32_e64 v11, null, v11, v1, vcc_lo
	v_add_co_u32 v12, vcc_lo, v12, v0
	v_add_co_ci_u32_e64 v13, null, v13, v1, vcc_lo
	global_store_dword v[10:11], v14, off
	global_store_dword v[10:11], v15, off offset:64
	global_store_dword v[12:13], v16, off
	global_store_dword v[12:13], v17, off offset:64
	s_andn2_b32 vcc_lo, exec_lo, s5
	s_cbranch_vccnz .LBB45_6
.LBB45_5:
	v_mul_lo_u32 v5, v5, s14
	v_mul_lo_u32 v12, v2, s15
	v_mad_u64_u32 v[10:11], null, v2, s14, 0
	s_mul_i32 s5, s17, s8
	s_mul_hi_u32 s7, s16, s8
	s_mul_i32 s6, s16, s8
	s_add_i32 s7, s7, s5
	s_lshl_b64 s[6:7], s[6:7], 2
	v_add3_u32 v11, v11, v12, v5
	s_add_u32 s5, s12, s6
	s_addc_u32 s6, s13, s7
	v_mad_u64_u32 v[12:13], null, v2, s0, 0
	v_lshlrev_b64 v[10:11], 2, v[10:11]
	s_lshl_b64 s[0:1], s[0:1], 6
	v_add3_u32 v13, v13, v4, v3
	v_add_co_u32 v5, vcc_lo, s5, v10
	v_add_co_ci_u32_e64 v14, null, s6, v11, vcc_lo
	v_lshlrev_b64 v[2:3], 2, v[12:13]
	v_add_co_u32 v10, vcc_lo, v5, v0
	v_add_co_ci_u32_e64 v11, null, v14, v1, vcc_lo
	v_add_co_u32 v12, vcc_lo, s2, v2
	global_load_dword v15, v[10:11], off
	v_add_co_ci_u32_e64 v13, null, s3, v3, vcc_lo
	v_add_co_u32 v2, vcc_lo, v12, v0
	s_lshl_b64 s[2:3], s[14:15], 6
	v_add_co_ci_u32_e64 v3, null, v13, v1, vcc_lo
	s_waitcnt vmcnt(0)
	v_mul_f32_e32 v4, s9, v15
	v_fmac_f32_e32 v4, s4, v9
	global_store_dword v[2:3], v4, off
	global_load_dword v4, v[10:11], off offset:64
	s_waitcnt vmcnt(0)
	v_mul_f32_e32 v9, s9, v4
	v_add_co_u32 v4, vcc_lo, v5, s2
	v_add_co_ci_u32_e64 v5, null, s3, v14, vcc_lo
	v_fmac_f32_e32 v9, s4, v8
	v_add_co_u32 v4, vcc_lo, v4, v0
	v_add_co_ci_u32_e64 v5, null, v5, v1, vcc_lo
	global_store_dword v[2:3], v9, off offset:64
	v_add_co_u32 v3, vcc_lo, v12, s0
	global_load_dword v2, v[4:5], off
	v_add_co_ci_u32_e64 v8, null, s1, v13, vcc_lo
	v_add_co_u32 v0, vcc_lo, v3, v0
	v_add_co_ci_u32_e64 v1, null, v8, v1, vcc_lo
	s_waitcnt vmcnt(0)
	v_mul_f32_e32 v2, s9, v2
	v_fmac_f32_e32 v2, s4, v7
	global_store_dword v[0:1], v2, off
	global_load_dword v2, v[4:5], off offset:64
	s_waitcnt vmcnt(0)
	v_mul_f32_e32 v2, s9, v2
	v_fmac_f32_e32 v2, s4, v6
	global_store_dword v[0:1], v2, off offset:64
.LBB45_6:
	s_endpgm
.LBB45_7:
	s_branch .LBB45_5
	.section	.rodata,"a",@progbits
	.p2align	6, 0x0
	.amdhsa_kernel _ZN12_GLOBAL__N_127rocblas_gemm_batched_kernelIfLi16ELi16ELi32ELi32ELi8ELi32ELi8ELi8ELi32ELc67ELc78EKfS1_fEEvlllT_PT11_llS4_llS2_PT12_llPT13_lli
		.amdhsa_group_segment_fixed_size 2048
		.amdhsa_private_segment_fixed_size 0
		.amdhsa_kernarg_size 140
		.amdhsa_user_sgpr_count 6
		.amdhsa_user_sgpr_private_segment_buffer 1
		.amdhsa_user_sgpr_dispatch_ptr 0
		.amdhsa_user_sgpr_queue_ptr 0
		.amdhsa_user_sgpr_kernarg_segment_ptr 1
		.amdhsa_user_sgpr_dispatch_id 0
		.amdhsa_user_sgpr_flat_scratch_init 0
		.amdhsa_user_sgpr_private_segment_size 0
		.amdhsa_wavefront_size32 1
		.amdhsa_uses_dynamic_stack 0
		.amdhsa_system_sgpr_private_segment_wavefront_offset 0
		.amdhsa_system_sgpr_workgroup_id_x 1
		.amdhsa_system_sgpr_workgroup_id_y 1
		.amdhsa_system_sgpr_workgroup_id_z 1
		.amdhsa_system_sgpr_workgroup_info 0
		.amdhsa_system_vgpr_workitem_id 1
		.amdhsa_next_free_vgpr 46
		.amdhsa_next_free_sgpr 22
		.amdhsa_reserve_vcc 1
		.amdhsa_reserve_flat_scratch 0
		.amdhsa_float_round_mode_32 0
		.amdhsa_float_round_mode_16_64 0
		.amdhsa_float_denorm_mode_32 3
		.amdhsa_float_denorm_mode_16_64 3
		.amdhsa_dx10_clamp 1
		.amdhsa_ieee_mode 1
		.amdhsa_fp16_overflow 0
		.amdhsa_workgroup_processor_mode 1
		.amdhsa_memory_ordered 1
		.amdhsa_forward_progress 1
		.amdhsa_shared_vgpr_count 0
		.amdhsa_exception_fp_ieee_invalid_op 0
		.amdhsa_exception_fp_denorm_src 0
		.amdhsa_exception_fp_ieee_div_zero 0
		.amdhsa_exception_fp_ieee_overflow 0
		.amdhsa_exception_fp_ieee_underflow 0
		.amdhsa_exception_fp_ieee_inexact 0
		.amdhsa_exception_int_div_zero 0
	.end_amdhsa_kernel
	.section	.text._ZN12_GLOBAL__N_127rocblas_gemm_batched_kernelIfLi16ELi16ELi32ELi32ELi8ELi32ELi8ELi8ELi32ELc67ELc78EKfS1_fEEvlllT_PT11_llS4_llS2_PT12_llPT13_lli,"axG",@progbits,_ZN12_GLOBAL__N_127rocblas_gemm_batched_kernelIfLi16ELi16ELi32ELi32ELi8ELi32ELi8ELi8ELi32ELc67ELc78EKfS1_fEEvlllT_PT11_llS4_llS2_PT12_llPT13_lli,comdat
.Lfunc_end45:
	.size	_ZN12_GLOBAL__N_127rocblas_gemm_batched_kernelIfLi16ELi16ELi32ELi32ELi8ELi32ELi8ELi8ELi32ELc67ELc78EKfS1_fEEvlllT_PT11_llS4_llS2_PT12_llPT13_lli, .Lfunc_end45-_ZN12_GLOBAL__N_127rocblas_gemm_batched_kernelIfLi16ELi16ELi32ELi32ELi8ELi32ELi8ELi8ELi32ELc67ELc78EKfS1_fEEvlllT_PT11_llS4_llS2_PT12_llPT13_lli
                                        ; -- End function
	.set _ZN12_GLOBAL__N_127rocblas_gemm_batched_kernelIfLi16ELi16ELi32ELi32ELi8ELi32ELi8ELi8ELi32ELc67ELc78EKfS1_fEEvlllT_PT11_llS4_llS2_PT12_llPT13_lli.num_vgpr, 46
	.set _ZN12_GLOBAL__N_127rocblas_gemm_batched_kernelIfLi16ELi16ELi32ELi32ELi8ELi32ELi8ELi8ELi32ELc67ELc78EKfS1_fEEvlllT_PT11_llS4_llS2_PT12_llPT13_lli.num_agpr, 0
	.set _ZN12_GLOBAL__N_127rocblas_gemm_batched_kernelIfLi16ELi16ELi32ELi32ELi8ELi32ELi8ELi8ELi32ELc67ELc78EKfS1_fEEvlllT_PT11_llS4_llS2_PT12_llPT13_lli.numbered_sgpr, 22
	.set _ZN12_GLOBAL__N_127rocblas_gemm_batched_kernelIfLi16ELi16ELi32ELi32ELi8ELi32ELi8ELi8ELi32ELc67ELc78EKfS1_fEEvlllT_PT11_llS4_llS2_PT12_llPT13_lli.num_named_barrier, 0
	.set _ZN12_GLOBAL__N_127rocblas_gemm_batched_kernelIfLi16ELi16ELi32ELi32ELi8ELi32ELi8ELi8ELi32ELc67ELc78EKfS1_fEEvlllT_PT11_llS4_llS2_PT12_llPT13_lli.private_seg_size, 0
	.set _ZN12_GLOBAL__N_127rocblas_gemm_batched_kernelIfLi16ELi16ELi32ELi32ELi8ELi32ELi8ELi8ELi32ELc67ELc78EKfS1_fEEvlllT_PT11_llS4_llS2_PT12_llPT13_lli.uses_vcc, 1
	.set _ZN12_GLOBAL__N_127rocblas_gemm_batched_kernelIfLi16ELi16ELi32ELi32ELi8ELi32ELi8ELi8ELi32ELc67ELc78EKfS1_fEEvlllT_PT11_llS4_llS2_PT12_llPT13_lli.uses_flat_scratch, 0
	.set _ZN12_GLOBAL__N_127rocblas_gemm_batched_kernelIfLi16ELi16ELi32ELi32ELi8ELi32ELi8ELi8ELi32ELc67ELc78EKfS1_fEEvlllT_PT11_llS4_llS2_PT12_llPT13_lli.has_dyn_sized_stack, 0
	.set _ZN12_GLOBAL__N_127rocblas_gemm_batched_kernelIfLi16ELi16ELi32ELi32ELi8ELi32ELi8ELi8ELi32ELc67ELc78EKfS1_fEEvlllT_PT11_llS4_llS2_PT12_llPT13_lli.has_recursion, 0
	.set _ZN12_GLOBAL__N_127rocblas_gemm_batched_kernelIfLi16ELi16ELi32ELi32ELi8ELi32ELi8ELi8ELi32ELc67ELc78EKfS1_fEEvlllT_PT11_llS4_llS2_PT12_llPT13_lli.has_indirect_call, 0
	.section	.AMDGPU.csdata,"",@progbits
; Kernel info:
; codeLenInByte = 1420
; TotalNumSgprs: 24
; NumVgprs: 46
; ScratchSize: 0
; MemoryBound: 0
; FloatMode: 240
; IeeeMode: 1
; LDSByteSize: 2048 bytes/workgroup (compile time only)
; SGPRBlocks: 0
; VGPRBlocks: 5
; NumSGPRsForWavesPerEU: 24
; NumVGPRsForWavesPerEU: 46
; Occupancy: 16
; WaveLimiterHint : 0
; COMPUTE_PGM_RSRC2:SCRATCH_EN: 0
; COMPUTE_PGM_RSRC2:USER_SGPR: 6
; COMPUTE_PGM_RSRC2:TRAP_HANDLER: 0
; COMPUTE_PGM_RSRC2:TGID_X_EN: 1
; COMPUTE_PGM_RSRC2:TGID_Y_EN: 1
; COMPUTE_PGM_RSRC2:TGID_Z_EN: 1
; COMPUTE_PGM_RSRC2:TIDIG_COMP_CNT: 1
	.section	.text._ZN12_GLOBAL__N_127rocblas_gemm_batched_kernelIfLi16ELi16ELi32ELi32ELi8ELi32ELi8ELi8ELi32ELc67ELc84EKfS1_fEEvlllT_PT11_llS4_llS2_PT12_llPT13_lli,"axG",@progbits,_ZN12_GLOBAL__N_127rocblas_gemm_batched_kernelIfLi16ELi16ELi32ELi32ELi8ELi32ELi8ELi8ELi32ELc67ELc84EKfS1_fEEvlllT_PT11_llS4_llS2_PT12_llPT13_lli,comdat
	.globl	_ZN12_GLOBAL__N_127rocblas_gemm_batched_kernelIfLi16ELi16ELi32ELi32ELi8ELi32ELi8ELi8ELi32ELc67ELc84EKfS1_fEEvlllT_PT11_llS4_llS2_PT12_llPT13_lli ; -- Begin function _ZN12_GLOBAL__N_127rocblas_gemm_batched_kernelIfLi16ELi16ELi32ELi32ELi8ELi32ELi8ELi8ELi32ELc67ELc84EKfS1_fEEvlllT_PT11_llS4_llS2_PT12_llPT13_lli
	.p2align	8
	.type	_ZN12_GLOBAL__N_127rocblas_gemm_batched_kernelIfLi16ELi16ELi32ELi32ELi8ELi32ELi8ELi8ELi32ELc67ELc84EKfS1_fEEvlllT_PT11_llS4_llS2_PT12_llPT13_lli,@function
_ZN12_GLOBAL__N_127rocblas_gemm_batched_kernelIfLi16ELi16ELi32ELi32ELi8ELi32ELi8ELi8ELi32ELc67ELc84EKfS1_fEEvlllT_PT11_llS4_llS2_PT12_llPT13_lli: ; @_ZN12_GLOBAL__N_127rocblas_gemm_batched_kernelIfLi16ELi16ELi32ELi32ELi8ELi32ELi8ELi8ELi32ELc67ELc84EKfS1_fEEvlllT_PT11_llS4_llS2_PT12_llPT13_lli
; %bb.0:
	s_load_dwordx2 s[20:21], s[4:5], 0x10
	s_mov_b32 s0, s7
	v_mov_b32_e32 v9, 0
	v_mov_b32_e32 v8, 0
	v_mov_b32_e32 v2, 0
	v_mov_b32_e32 v3, 0
	s_ashr_i32 s7, s6, 31
	s_ashr_i32 s1, s0, 31
	s_lshl_b64 s[6:7], s[6:7], 5
	s_lshl_b64 s[10:11], s[0:1], 5
	s_waitcnt lgkmcnt(0)
	v_cmp_lt_i64_e64 s2, s[20:21], 1
	s_and_b32 vcc_lo, exec_lo, s2
	s_cbranch_vccnz .LBB46_3
; %bb.1:
	s_clause 0x1
	s_load_dwordx8 s[12:19], s[4:5], 0x20
	s_load_dwordx4 s[0:3], s[4:5], 0x40
	v_lshl_add_u32 v4, v1, 4, v0
	v_and_b32_e32 v8, 7, v0
	v_mov_b32_e32 v3, 0
	v_lshlrev_b32_e32 v10, 2, v0
	v_lshl_add_u32 v11, v1, 5, 0x400
	v_and_b32_e32 v5, 31, v4
	v_lshrrev_b32_e32 v2, 3, v4
	v_lshlrev_b32_e32 v6, 2, v8
	v_lshrrev_b32_e32 v14, 5, v4
	v_lshlrev_b32_e32 v4, 2, v5
	v_lshl_or_b32 v9, v2, 5, v6
	v_add_co_u32 v6, s9, s6, v5
	v_add_co_ci_u32_e64 v7, null, s7, 0, s9
	v_lshl_or_b32 v12, v14, 7, v4
	s_waitcnt lgkmcnt(0)
	v_mul_lo_u32 v15, s15, v6
	v_mad_u64_u32 v[4:5], null, s0, v8, v[2:3]
	v_mul_lo_u32 v16, s14, v7
	v_mad_u64_u32 v[6:7], null, s14, v6, 0
	s_mul_i32 s3, s3, s8
	s_mul_hi_u32 s9, s2, s8
	s_mul_i32 s2, s2, s8
	v_mov_b32_e32 v2, v5
	s_add_i32 s3, s9, s3
	v_add_nc_u32_e32 v13, 0x400, v9
	v_add3_u32 v7, v7, v16, v15
	s_lshl_b64 s[2:3], s[2:3], 2
	v_mad_u64_u32 v[8:9], null, s1, v8, v[2:3]
	s_add_u32 s9, s18, s2
	s_addc_u32 s14, s19, s3
	s_mul_i32 s2, s17, s8
	s_mul_hi_u32 s3, s16, s8
	v_lshlrev_b64 v[5:6], 2, v[6:7]
	v_add_co_u32 v7, vcc_lo, v4, s10
	s_add_i32 s3, s3, s2
	s_mul_i32 s2, s16, s8
	v_add_co_ci_u32_e64 v8, null, s11, v8, vcc_lo
	s_lshl_b64 s[2:3], s[2:3], 2
	v_lshlrev_b32_e32 v2, 2, v14
	v_add_co_u32 v9, vcc_lo, v5, s2
	v_add_co_ci_u32_e64 v6, null, s3, v6, vcc_lo
	v_lshlrev_b64 v[4:5], 2, v[7:8]
	v_add_co_u32 v2, vcc_lo, v9, v2
	v_add_co_ci_u32_e64 v7, null, 0, v6, vcc_lo
	v_mov_b32_e32 v8, v3
	v_add_co_u32 v4, vcc_lo, s9, v4
	v_add_co_ci_u32_e64 v5, null, s14, v5, vcc_lo
	v_add_co_u32 v6, vcc_lo, s12, v2
	v_add_co_ci_u32_e64 v7, null, s13, v7, vcc_lo
	v_mov_b32_e32 v2, v3
	v_mov_b32_e32 v9, v3
	s_lshl_b64 s[0:1], s[0:1], 5
	s_mov_b64 s[2:3], 0
.LBB46_2:                               ; =>This Inner Loop Header: Depth=1
	global_load_dword v14, v[6:7], off
	global_load_dword v15, v[4:5], off
	s_add_u32 s2, s2, 8
	s_addc_u32 s3, s3, 0
	v_add_co_u32 v4, vcc_lo, v4, s0
	v_cmp_lt_i64_e64 s9, s[2:3], s[20:21]
	v_add_co_ci_u32_e64 v5, null, s1, v5, vcc_lo
	v_add_co_u32 v6, vcc_lo, v6, 32
	v_add_co_ci_u32_e64 v7, null, 0, v7, vcc_lo
	s_and_b32 vcc_lo, exec_lo, s9
	s_waitcnt vmcnt(1)
	ds_write_b32 v12, v14
	s_waitcnt vmcnt(0)
	ds_write_b32 v13, v15
	s_waitcnt lgkmcnt(0)
	s_barrier
	buffer_gl0_inv
	ds_read_b128 v[14:17], v11
	ds_read2_b32 v[30:31], v10 offset1:16
	ds_read_b128 v[18:21], v11 offset:512
	ds_read2_b32 v[32:33], v10 offset0:32 offset1:48
	ds_read2_b32 v[34:35], v10 offset0:64 offset1:80
	ds_read_b128 v[22:25], v11 offset:16
	ds_read2_b32 v[36:37], v10 offset0:96 offset1:112
	ds_read2_b32 v[38:39], v10 offset0:128 offset1:144
	;; [unrolled: 3-line block ×3, first 2 shown]
	ds_read2_b32 v[44:45], v10 offset0:224 offset1:240
	s_waitcnt lgkmcnt(0)
	s_barrier
	buffer_gl0_inv
	v_fmac_f32_e32 v9, v30, v14
	v_fmac_f32_e32 v8, v31, v14
	;; [unrolled: 1-line block ×32, first 2 shown]
	s_cbranch_vccnz .LBB46_2
.LBB46_3:
	s_clause 0x3
	s_load_dwordx4 s[0:3], s[4:5], 0x78
	s_load_dword s9, s[4:5], 0x50
	s_load_dwordx8 s[12:19], s[4:5], 0x58
	s_load_dword s4, s[4:5], 0x18
	v_add_co_u32 v5, s5, s6, v0
	v_add_co_ci_u32_e64 v6, null, s7, 0, s5
	v_add_co_u32 v4, s5, s10, v1
	v_add_co_ci_u32_e64 v7, null, s11, 0, s5
	v_lshlrev_b64 v[0:1], 2, v[5:6]
	s_waitcnt lgkmcnt(0)
	s_mul_i32 s3, s3, s8
	s_mul_hi_u32 s5, s2, s8
	v_mul_lo_u32 v5, v7, s0
	v_mul_lo_u32 v6, v4, s1
	s_mul_i32 s2, s2, s8
	v_cmp_neq_f32_e64 s6, s9, 0
	s_add_i32 s3, s5, s3
	s_mov_b32 s5, 0
	s_lshl_b64 s[2:3], s[2:3], 2
	s_add_u32 s2, s18, s2
	s_addc_u32 s3, s19, s3
	s_and_b32 vcc_lo, exec_lo, s6
	s_cbranch_vccnz .LBB46_7
; %bb.4:
	v_mad_u64_u32 v[10:11], null, v4, s0, 0
	s_lshl_b64 s[6:7], s[0:1], 6
	v_mul_f32_e32 v14, s4, v9
	v_mul_f32_e32 v15, s4, v8
	;; [unrolled: 1-line block ×4, first 2 shown]
	v_add3_u32 v11, v11, v6, v5
	v_lshlrev_b64 v[10:11], 2, v[10:11]
	v_add_co_u32 v10, vcc_lo, s2, v10
	v_add_co_ci_u32_e64 v11, null, s3, v11, vcc_lo
	v_add_co_u32 v12, vcc_lo, v10, s6
	v_add_co_ci_u32_e64 v13, null, s7, v11, vcc_lo
	;; [unrolled: 2-line block ×4, first 2 shown]
	global_store_dword v[10:11], v14, off
	global_store_dword v[10:11], v15, off offset:64
	global_store_dword v[12:13], v16, off
	global_store_dword v[12:13], v17, off offset:64
	s_andn2_b32 vcc_lo, exec_lo, s5
	s_cbranch_vccnz .LBB46_6
.LBB46_5:
	v_mul_lo_u32 v7, v7, s14
	v_mul_lo_u32 v12, v4, s15
	v_mad_u64_u32 v[10:11], null, v4, s14, 0
	s_mul_i32 s5, s17, s8
	s_mul_hi_u32 s7, s16, s8
	s_mul_i32 s6, s16, s8
	s_add_i32 s7, s7, s5
	s_lshl_b64 s[6:7], s[6:7], 2
	v_add3_u32 v11, v11, v12, v7
	s_add_u32 s5, s12, s6
	s_addc_u32 s6, s13, s7
	v_mad_u64_u32 v[12:13], null, v4, s0, 0
	v_lshlrev_b64 v[10:11], 2, v[10:11]
	s_lshl_b64 s[0:1], s[0:1], 6
	v_add3_u32 v13, v13, v6, v5
	v_add_co_u32 v7, vcc_lo, s5, v10
	v_add_co_ci_u32_e64 v14, null, s6, v11, vcc_lo
	v_lshlrev_b64 v[4:5], 2, v[12:13]
	v_add_co_u32 v10, vcc_lo, v7, v0
	v_add_co_ci_u32_e64 v11, null, v14, v1, vcc_lo
	v_add_co_u32 v12, vcc_lo, s2, v4
	global_load_dword v15, v[10:11], off
	v_add_co_ci_u32_e64 v13, null, s3, v5, vcc_lo
	v_add_co_u32 v4, vcc_lo, v12, v0
	s_lshl_b64 s[2:3], s[14:15], 6
	v_add_co_ci_u32_e64 v5, null, v13, v1, vcc_lo
	s_waitcnt vmcnt(0)
	v_mul_f32_e32 v6, s9, v15
	v_fmac_f32_e32 v6, s4, v9
	global_store_dword v[4:5], v6, off
	global_load_dword v6, v[10:11], off offset:64
	s_waitcnt vmcnt(0)
	v_mul_f32_e32 v9, s9, v6
	v_add_co_u32 v6, vcc_lo, v7, s2
	v_add_co_ci_u32_e64 v7, null, s3, v14, vcc_lo
	v_fmac_f32_e32 v9, s4, v8
	v_add_co_u32 v6, vcc_lo, v6, v0
	v_add_co_ci_u32_e64 v7, null, v7, v1, vcc_lo
	global_store_dword v[4:5], v9, off offset:64
	v_add_co_u32 v5, vcc_lo, v12, s0
	global_load_dword v4, v[6:7], off
	v_add_co_ci_u32_e64 v8, null, s1, v13, vcc_lo
	v_add_co_u32 v0, vcc_lo, v5, v0
	v_add_co_ci_u32_e64 v1, null, v8, v1, vcc_lo
	s_waitcnt vmcnt(0)
	v_mul_f32_e32 v4, s9, v4
	v_fmac_f32_e32 v4, s4, v2
	global_store_dword v[0:1], v4, off
	global_load_dword v2, v[6:7], off offset:64
	s_waitcnt vmcnt(0)
	v_mul_f32_e32 v2, s9, v2
	v_fmac_f32_e32 v2, s4, v3
	global_store_dword v[0:1], v2, off offset:64
.LBB46_6:
	s_endpgm
.LBB46_7:
	s_branch .LBB46_5
	.section	.rodata,"a",@progbits
	.p2align	6, 0x0
	.amdhsa_kernel _ZN12_GLOBAL__N_127rocblas_gemm_batched_kernelIfLi16ELi16ELi32ELi32ELi8ELi32ELi8ELi8ELi32ELc67ELc84EKfS1_fEEvlllT_PT11_llS4_llS2_PT12_llPT13_lli
		.amdhsa_group_segment_fixed_size 2048
		.amdhsa_private_segment_fixed_size 0
		.amdhsa_kernarg_size 140
		.amdhsa_user_sgpr_count 6
		.amdhsa_user_sgpr_private_segment_buffer 1
		.amdhsa_user_sgpr_dispatch_ptr 0
		.amdhsa_user_sgpr_queue_ptr 0
		.amdhsa_user_sgpr_kernarg_segment_ptr 1
		.amdhsa_user_sgpr_dispatch_id 0
		.amdhsa_user_sgpr_flat_scratch_init 0
		.amdhsa_user_sgpr_private_segment_size 0
		.amdhsa_wavefront_size32 1
		.amdhsa_uses_dynamic_stack 0
		.amdhsa_system_sgpr_private_segment_wavefront_offset 0
		.amdhsa_system_sgpr_workgroup_id_x 1
		.amdhsa_system_sgpr_workgroup_id_y 1
		.amdhsa_system_sgpr_workgroup_id_z 1
		.amdhsa_system_sgpr_workgroup_info 0
		.amdhsa_system_vgpr_workitem_id 1
		.amdhsa_next_free_vgpr 46
		.amdhsa_next_free_sgpr 22
		.amdhsa_reserve_vcc 1
		.amdhsa_reserve_flat_scratch 0
		.amdhsa_float_round_mode_32 0
		.amdhsa_float_round_mode_16_64 0
		.amdhsa_float_denorm_mode_32 3
		.amdhsa_float_denorm_mode_16_64 3
		.amdhsa_dx10_clamp 1
		.amdhsa_ieee_mode 1
		.amdhsa_fp16_overflow 0
		.amdhsa_workgroup_processor_mode 1
		.amdhsa_memory_ordered 1
		.amdhsa_forward_progress 1
		.amdhsa_shared_vgpr_count 0
		.amdhsa_exception_fp_ieee_invalid_op 0
		.amdhsa_exception_fp_denorm_src 0
		.amdhsa_exception_fp_ieee_div_zero 0
		.amdhsa_exception_fp_ieee_overflow 0
		.amdhsa_exception_fp_ieee_underflow 0
		.amdhsa_exception_fp_ieee_inexact 0
		.amdhsa_exception_int_div_zero 0
	.end_amdhsa_kernel
	.section	.text._ZN12_GLOBAL__N_127rocblas_gemm_batched_kernelIfLi16ELi16ELi32ELi32ELi8ELi32ELi8ELi8ELi32ELc67ELc84EKfS1_fEEvlllT_PT11_llS4_llS2_PT12_llPT13_lli,"axG",@progbits,_ZN12_GLOBAL__N_127rocblas_gemm_batched_kernelIfLi16ELi16ELi32ELi32ELi8ELi32ELi8ELi8ELi32ELc67ELc84EKfS1_fEEvlllT_PT11_llS4_llS2_PT12_llPT13_lli,comdat
.Lfunc_end46:
	.size	_ZN12_GLOBAL__N_127rocblas_gemm_batched_kernelIfLi16ELi16ELi32ELi32ELi8ELi32ELi8ELi8ELi32ELc67ELc84EKfS1_fEEvlllT_PT11_llS4_llS2_PT12_llPT13_lli, .Lfunc_end46-_ZN12_GLOBAL__N_127rocblas_gemm_batched_kernelIfLi16ELi16ELi32ELi32ELi8ELi32ELi8ELi8ELi32ELc67ELc84EKfS1_fEEvlllT_PT11_llS4_llS2_PT12_llPT13_lli
                                        ; -- End function
	.set _ZN12_GLOBAL__N_127rocblas_gemm_batched_kernelIfLi16ELi16ELi32ELi32ELi8ELi32ELi8ELi8ELi32ELc67ELc84EKfS1_fEEvlllT_PT11_llS4_llS2_PT12_llPT13_lli.num_vgpr, 46
	.set _ZN12_GLOBAL__N_127rocblas_gemm_batched_kernelIfLi16ELi16ELi32ELi32ELi8ELi32ELi8ELi8ELi32ELc67ELc84EKfS1_fEEvlllT_PT11_llS4_llS2_PT12_llPT13_lli.num_agpr, 0
	.set _ZN12_GLOBAL__N_127rocblas_gemm_batched_kernelIfLi16ELi16ELi32ELi32ELi8ELi32ELi8ELi8ELi32ELc67ELc84EKfS1_fEEvlllT_PT11_llS4_llS2_PT12_llPT13_lli.numbered_sgpr, 22
	.set _ZN12_GLOBAL__N_127rocblas_gemm_batched_kernelIfLi16ELi16ELi32ELi32ELi8ELi32ELi8ELi8ELi32ELc67ELc84EKfS1_fEEvlllT_PT11_llS4_llS2_PT12_llPT13_lli.num_named_barrier, 0
	.set _ZN12_GLOBAL__N_127rocblas_gemm_batched_kernelIfLi16ELi16ELi32ELi32ELi8ELi32ELi8ELi8ELi32ELc67ELc84EKfS1_fEEvlllT_PT11_llS4_llS2_PT12_llPT13_lli.private_seg_size, 0
	.set _ZN12_GLOBAL__N_127rocblas_gemm_batched_kernelIfLi16ELi16ELi32ELi32ELi8ELi32ELi8ELi8ELi32ELc67ELc84EKfS1_fEEvlllT_PT11_llS4_llS2_PT12_llPT13_lli.uses_vcc, 1
	.set _ZN12_GLOBAL__N_127rocblas_gemm_batched_kernelIfLi16ELi16ELi32ELi32ELi8ELi32ELi8ELi8ELi32ELc67ELc84EKfS1_fEEvlllT_PT11_llS4_llS2_PT12_llPT13_lli.uses_flat_scratch, 0
	.set _ZN12_GLOBAL__N_127rocblas_gemm_batched_kernelIfLi16ELi16ELi32ELi32ELi8ELi32ELi8ELi8ELi32ELc67ELc84EKfS1_fEEvlllT_PT11_llS4_llS2_PT12_llPT13_lli.has_dyn_sized_stack, 0
	.set _ZN12_GLOBAL__N_127rocblas_gemm_batched_kernelIfLi16ELi16ELi32ELi32ELi8ELi32ELi8ELi8ELi32ELc67ELc84EKfS1_fEEvlllT_PT11_llS4_llS2_PT12_llPT13_lli.has_recursion, 0
	.set _ZN12_GLOBAL__N_127rocblas_gemm_batched_kernelIfLi16ELi16ELi32ELi32ELi8ELi32ELi8ELi8ELi32ELc67ELc84EKfS1_fEEvlllT_PT11_llS4_llS2_PT12_llPT13_lli.has_indirect_call, 0
	.section	.AMDGPU.csdata,"",@progbits
; Kernel info:
; codeLenInByte = 1392
; TotalNumSgprs: 24
; NumVgprs: 46
; ScratchSize: 0
; MemoryBound: 0
; FloatMode: 240
; IeeeMode: 1
; LDSByteSize: 2048 bytes/workgroup (compile time only)
; SGPRBlocks: 0
; VGPRBlocks: 5
; NumSGPRsForWavesPerEU: 24
; NumVGPRsForWavesPerEU: 46
; Occupancy: 16
; WaveLimiterHint : 0
; COMPUTE_PGM_RSRC2:SCRATCH_EN: 0
; COMPUTE_PGM_RSRC2:USER_SGPR: 6
; COMPUTE_PGM_RSRC2:TRAP_HANDLER: 0
; COMPUTE_PGM_RSRC2:TGID_X_EN: 1
; COMPUTE_PGM_RSRC2:TGID_Y_EN: 1
; COMPUTE_PGM_RSRC2:TGID_Z_EN: 1
; COMPUTE_PGM_RSRC2:TIDIG_COMP_CNT: 1
	.section	.text._ZN12_GLOBAL__N_127rocblas_gemm_batched_kernelIfLi16ELi16ELi32ELi32ELi8ELi32ELi8ELi8ELi32ELc78ELc67EKfS1_fEEvlllT_PT11_llS4_llS2_PT12_llPT13_lli,"axG",@progbits,_ZN12_GLOBAL__N_127rocblas_gemm_batched_kernelIfLi16ELi16ELi32ELi32ELi8ELi32ELi8ELi8ELi32ELc78ELc67EKfS1_fEEvlllT_PT11_llS4_llS2_PT12_llPT13_lli,comdat
	.globl	_ZN12_GLOBAL__N_127rocblas_gemm_batched_kernelIfLi16ELi16ELi32ELi32ELi8ELi32ELi8ELi8ELi32ELc78ELc67EKfS1_fEEvlllT_PT11_llS4_llS2_PT12_llPT13_lli ; -- Begin function _ZN12_GLOBAL__N_127rocblas_gemm_batched_kernelIfLi16ELi16ELi32ELi32ELi8ELi32ELi8ELi8ELi32ELc78ELc67EKfS1_fEEvlllT_PT11_llS4_llS2_PT12_llPT13_lli
	.p2align	8
	.type	_ZN12_GLOBAL__N_127rocblas_gemm_batched_kernelIfLi16ELi16ELi32ELi32ELi8ELi32ELi8ELi8ELi32ELc78ELc67EKfS1_fEEvlllT_PT11_llS4_llS2_PT12_llPT13_lli,@function
_ZN12_GLOBAL__N_127rocblas_gemm_batched_kernelIfLi16ELi16ELi32ELi32ELi8ELi32ELi8ELi8ELi32ELc78ELc67EKfS1_fEEvlllT_PT11_llS4_llS2_PT12_llPT13_lli: ; @_ZN12_GLOBAL__N_127rocblas_gemm_batched_kernelIfLi16ELi16ELi32ELi32ELi8ELi32ELi8ELi8ELi32ELc78ELc67EKfS1_fEEvlllT_PT11_llS4_llS2_PT12_llPT13_lli
; %bb.0:
	s_load_dwordx2 s[20:21], s[4:5], 0x10
	s_mov_b32 s0, s7
	v_mov_b32_e32 v9, 0
	v_mov_b32_e32 v8, 0
	;; [unrolled: 1-line block ×4, first 2 shown]
	s_ashr_i32 s7, s6, 31
	s_ashr_i32 s1, s0, 31
	s_lshl_b64 s[6:7], s[6:7], 5
	s_lshl_b64 s[10:11], s[0:1], 5
	s_waitcnt lgkmcnt(0)
	v_cmp_lt_i64_e64 s2, s[20:21], 1
	s_and_b32 vcc_lo, exec_lo, s2
	s_cbranch_vccnz .LBB47_3
; %bb.1:
	s_clause 0x1
	s_load_dwordx4 s[0:3], s[4:5], 0x40
	s_load_dwordx8 s[12:19], s[4:5], 0x20
	v_lshl_add_u32 v3, v1, 4, v0
	v_and_b32_e32 v8, 7, v0
	v_lshlrev_b32_e32 v10, 2, v0
	v_lshl_add_u32 v11, v1, 5, 0x400
	v_lshrrev_b32_e32 v2, 3, v3
	v_and_b32_e32 v14, 31, v3
	v_lshlrev_b32_e32 v4, 2, v8
	v_lshrrev_b32_e32 v9, 5, v3
	v_mov_b32_e32 v3, 0
	v_lshlrev_b32_e32 v5, 2, v14
	v_lshl_or_b32 v4, v2, 5, v4
	v_lshl_or_b32 v12, v9, 7, v5
	v_add_nc_u32_e32 v13, 0x400, v4
	s_waitcnt lgkmcnt(0)
	v_mad_u64_u32 v[4:5], null, s0, v8, v[2:3]
	v_mad_u64_u32 v[6:7], null, s14, v9, s[6:7]
	s_mul_i32 s3, s3, s8
	s_mul_hi_u32 s9, s2, s8
	s_mul_i32 s2, s2, s8
	s_add_i32 s3, s9, s3
	v_mov_b32_e32 v2, v5
	v_add_co_u32 v4, vcc_lo, v4, s10
	v_mov_b32_e32 v5, v7
	s_lshl_b64 s[2:3], s[2:3], 2
	v_mad_u64_u32 v[7:8], null, s1, v8, v[2:3]
	s_mul_i32 s17, s17, s8
	v_mad_u64_u32 v[8:9], null, s15, v9, v[5:6]
	s_mul_hi_u32 s9, s16, s8
	s_add_u32 s18, s18, s2
	s_mul_i32 s16, s16, s8
	v_add_co_ci_u32_e64 v5, null, s11, v7, vcc_lo
	v_add_co_u32 v6, vcc_lo, v6, v14
	v_add_co_ci_u32_e64 v7, null, 0, v8, vcc_lo
	v_lshlrev_b64 v[4:5], 2, v[4:5]
	s_addc_u32 s19, s19, s3
	s_add_i32 s17, s9, s17
	v_lshlrev_b64 v[6:7], 2, v[6:7]
	s_lshl_b64 s[2:3], s[16:17], 2
	s_lshl_b64 s[0:1], s[0:1], 5
	s_add_u32 s2, s12, s2
	v_add_co_u32 v4, vcc_lo, s18, v4
	v_add_co_ci_u32_e64 v5, null, s19, v5, vcc_lo
	s_addc_u32 s3, s13, s3
	v_add_co_u32 v6, vcc_lo, s2, v6
	v_add_co_ci_u32_e64 v7, null, s3, v7, vcc_lo
	v_mov_b32_e32 v2, v3
	v_mov_b32_e32 v8, v3
	;; [unrolled: 1-line block ×3, first 2 shown]
	s_lshl_b64 s[2:3], s[14:15], 5
	s_mov_b64 s[12:13], 0
.LBB47_2:                               ; =>This Inner Loop Header: Depth=1
	global_load_dword v14, v[6:7], off
	global_load_dword v15, v[4:5], off
	s_add_u32 s12, s12, 8
	s_addc_u32 s13, s13, 0
	v_add_co_u32 v4, vcc_lo, v4, s0
	v_cmp_lt_i64_e64 s9, s[12:13], s[20:21]
	v_add_co_ci_u32_e64 v5, null, s1, v5, vcc_lo
	v_add_co_u32 v6, vcc_lo, v6, s2
	v_add_co_ci_u32_e64 v7, null, s3, v7, vcc_lo
	s_and_b32 vcc_lo, exec_lo, s9
	s_waitcnt vmcnt(1)
	ds_write_b32 v12, v14
	s_waitcnt vmcnt(0)
	ds_write_b32 v13, v15
	s_waitcnt lgkmcnt(0)
	s_barrier
	buffer_gl0_inv
	ds_read_b128 v[14:17], v11
	ds_read2_b32 v[30:31], v10 offset1:16
	ds_read_b128 v[18:21], v11 offset:512
	ds_read2_b32 v[32:33], v10 offset0:32 offset1:48
	ds_read2_b32 v[34:35], v10 offset0:64 offset1:80
	ds_read_b128 v[22:25], v11 offset:16
	ds_read2_b32 v[36:37], v10 offset0:96 offset1:112
	ds_read2_b32 v[38:39], v10 offset0:128 offset1:144
	ds_read_b128 v[26:29], v11 offset:528
	ds_read2_b32 v[40:41], v10 offset0:160 offset1:176
	ds_read2_b32 v[42:43], v10 offset0:192 offset1:208
	ds_read2_b32 v[44:45], v10 offset0:224 offset1:240
	s_waitcnt lgkmcnt(0)
	s_barrier
	buffer_gl0_inv
	v_fmac_f32_e32 v9, v30, v14
	v_fmac_f32_e32 v8, v31, v14
	;; [unrolled: 1-line block ×32, first 2 shown]
	s_cbranch_vccnz .LBB47_2
.LBB47_3:
	s_clause 0x3
	s_load_dwordx4 s[0:3], s[4:5], 0x78
	s_load_dword s9, s[4:5], 0x50
	s_load_dwordx8 s[12:19], s[4:5], 0x58
	s_load_dword s4, s[4:5], 0x18
	v_add_co_u32 v5, s5, s6, v0
	v_add_co_ci_u32_e64 v6, null, s7, 0, s5
	v_add_co_u32 v4, s5, s10, v1
	v_add_co_ci_u32_e64 v7, null, s11, 0, s5
	v_lshlrev_b64 v[0:1], 2, v[5:6]
	s_waitcnt lgkmcnt(0)
	s_mul_i32 s3, s3, s8
	s_mul_hi_u32 s5, s2, s8
	v_mul_lo_u32 v5, v7, s0
	v_mul_lo_u32 v6, v4, s1
	s_mul_i32 s2, s2, s8
	v_cmp_neq_f32_e64 s6, s9, 0
	s_add_i32 s3, s5, s3
	s_mov_b32 s5, 0
	s_lshl_b64 s[2:3], s[2:3], 2
	s_add_u32 s2, s18, s2
	s_addc_u32 s3, s19, s3
	s_and_b32 vcc_lo, exec_lo, s6
	s_cbranch_vccnz .LBB47_7
; %bb.4:
	v_mad_u64_u32 v[10:11], null, v4, s0, 0
	s_lshl_b64 s[6:7], s[0:1], 6
	v_mul_f32_e32 v14, s4, v9
	v_mul_f32_e32 v15, s4, v8
	;; [unrolled: 1-line block ×4, first 2 shown]
	v_add3_u32 v11, v11, v6, v5
	v_lshlrev_b64 v[10:11], 2, v[10:11]
	v_add_co_u32 v10, vcc_lo, s2, v10
	v_add_co_ci_u32_e64 v11, null, s3, v11, vcc_lo
	v_add_co_u32 v12, vcc_lo, v10, s6
	v_add_co_ci_u32_e64 v13, null, s7, v11, vcc_lo
	v_add_co_u32 v10, vcc_lo, v10, v0
	v_add_co_ci_u32_e64 v11, null, v11, v1, vcc_lo
	v_add_co_u32 v12, vcc_lo, v12, v0
	v_add_co_ci_u32_e64 v13, null, v13, v1, vcc_lo
	global_store_dword v[10:11], v14, off
	global_store_dword v[10:11], v15, off offset:64
	global_store_dword v[12:13], v16, off
	global_store_dword v[12:13], v17, off offset:64
	s_andn2_b32 vcc_lo, exec_lo, s5
	s_cbranch_vccnz .LBB47_6
.LBB47_5:
	v_mul_lo_u32 v7, v7, s14
	v_mul_lo_u32 v12, v4, s15
	v_mad_u64_u32 v[10:11], null, v4, s14, 0
	s_mul_i32 s5, s17, s8
	s_mul_hi_u32 s7, s16, s8
	s_mul_i32 s6, s16, s8
	s_add_i32 s7, s7, s5
	s_lshl_b64 s[6:7], s[6:7], 2
	v_add3_u32 v11, v11, v12, v7
	s_add_u32 s5, s12, s6
	s_addc_u32 s6, s13, s7
	v_mad_u64_u32 v[12:13], null, v4, s0, 0
	v_lshlrev_b64 v[10:11], 2, v[10:11]
	s_lshl_b64 s[0:1], s[0:1], 6
	v_add3_u32 v13, v13, v6, v5
	v_add_co_u32 v7, vcc_lo, s5, v10
	v_add_co_ci_u32_e64 v14, null, s6, v11, vcc_lo
	v_lshlrev_b64 v[4:5], 2, v[12:13]
	v_add_co_u32 v10, vcc_lo, v7, v0
	v_add_co_ci_u32_e64 v11, null, v14, v1, vcc_lo
	v_add_co_u32 v12, vcc_lo, s2, v4
	global_load_dword v15, v[10:11], off
	v_add_co_ci_u32_e64 v13, null, s3, v5, vcc_lo
	v_add_co_u32 v4, vcc_lo, v12, v0
	s_lshl_b64 s[2:3], s[14:15], 6
	v_add_co_ci_u32_e64 v5, null, v13, v1, vcc_lo
	s_waitcnt vmcnt(0)
	v_mul_f32_e32 v6, s9, v15
	v_fmac_f32_e32 v6, s4, v9
	global_store_dword v[4:5], v6, off
	global_load_dword v6, v[10:11], off offset:64
	s_waitcnt vmcnt(0)
	v_mul_f32_e32 v9, s9, v6
	v_add_co_u32 v6, vcc_lo, v7, s2
	v_add_co_ci_u32_e64 v7, null, s3, v14, vcc_lo
	v_fmac_f32_e32 v9, s4, v8
	v_add_co_u32 v6, vcc_lo, v6, v0
	v_add_co_ci_u32_e64 v7, null, v7, v1, vcc_lo
	global_store_dword v[4:5], v9, off offset:64
	v_add_co_u32 v5, vcc_lo, v12, s0
	global_load_dword v4, v[6:7], off
	v_add_co_ci_u32_e64 v8, null, s1, v13, vcc_lo
	v_add_co_u32 v0, vcc_lo, v5, v0
	v_add_co_ci_u32_e64 v1, null, v8, v1, vcc_lo
	s_waitcnt vmcnt(0)
	v_mul_f32_e32 v4, s9, v4
	v_fmac_f32_e32 v4, s4, v2
	global_store_dword v[0:1], v4, off
	global_load_dword v2, v[6:7], off offset:64
	s_waitcnt vmcnt(0)
	v_mul_f32_e32 v2, s9, v2
	v_fmac_f32_e32 v2, s4, v3
	global_store_dword v[0:1], v2, off offset:64
.LBB47_6:
	s_endpgm
.LBB47_7:
	s_branch .LBB47_5
	.section	.rodata,"a",@progbits
	.p2align	6, 0x0
	.amdhsa_kernel _ZN12_GLOBAL__N_127rocblas_gemm_batched_kernelIfLi16ELi16ELi32ELi32ELi8ELi32ELi8ELi8ELi32ELc78ELc67EKfS1_fEEvlllT_PT11_llS4_llS2_PT12_llPT13_lli
		.amdhsa_group_segment_fixed_size 2048
		.amdhsa_private_segment_fixed_size 0
		.amdhsa_kernarg_size 140
		.amdhsa_user_sgpr_count 6
		.amdhsa_user_sgpr_private_segment_buffer 1
		.amdhsa_user_sgpr_dispatch_ptr 0
		.amdhsa_user_sgpr_queue_ptr 0
		.amdhsa_user_sgpr_kernarg_segment_ptr 1
		.amdhsa_user_sgpr_dispatch_id 0
		.amdhsa_user_sgpr_flat_scratch_init 0
		.amdhsa_user_sgpr_private_segment_size 0
		.amdhsa_wavefront_size32 1
		.amdhsa_uses_dynamic_stack 0
		.amdhsa_system_sgpr_private_segment_wavefront_offset 0
		.amdhsa_system_sgpr_workgroup_id_x 1
		.amdhsa_system_sgpr_workgroup_id_y 1
		.amdhsa_system_sgpr_workgroup_id_z 1
		.amdhsa_system_sgpr_workgroup_info 0
		.amdhsa_system_vgpr_workitem_id 1
		.amdhsa_next_free_vgpr 46
		.amdhsa_next_free_sgpr 22
		.amdhsa_reserve_vcc 1
		.amdhsa_reserve_flat_scratch 0
		.amdhsa_float_round_mode_32 0
		.amdhsa_float_round_mode_16_64 0
		.amdhsa_float_denorm_mode_32 3
		.amdhsa_float_denorm_mode_16_64 3
		.amdhsa_dx10_clamp 1
		.amdhsa_ieee_mode 1
		.amdhsa_fp16_overflow 0
		.amdhsa_workgroup_processor_mode 1
		.amdhsa_memory_ordered 1
		.amdhsa_forward_progress 1
		.amdhsa_shared_vgpr_count 0
		.amdhsa_exception_fp_ieee_invalid_op 0
		.amdhsa_exception_fp_denorm_src 0
		.amdhsa_exception_fp_ieee_div_zero 0
		.amdhsa_exception_fp_ieee_overflow 0
		.amdhsa_exception_fp_ieee_underflow 0
		.amdhsa_exception_fp_ieee_inexact 0
		.amdhsa_exception_int_div_zero 0
	.end_amdhsa_kernel
	.section	.text._ZN12_GLOBAL__N_127rocblas_gemm_batched_kernelIfLi16ELi16ELi32ELi32ELi8ELi32ELi8ELi8ELi32ELc78ELc67EKfS1_fEEvlllT_PT11_llS4_llS2_PT12_llPT13_lli,"axG",@progbits,_ZN12_GLOBAL__N_127rocblas_gemm_batched_kernelIfLi16ELi16ELi32ELi32ELi8ELi32ELi8ELi8ELi32ELc78ELc67EKfS1_fEEvlllT_PT11_llS4_llS2_PT12_llPT13_lli,comdat
.Lfunc_end47:
	.size	_ZN12_GLOBAL__N_127rocblas_gemm_batched_kernelIfLi16ELi16ELi32ELi32ELi8ELi32ELi8ELi8ELi32ELc78ELc67EKfS1_fEEvlllT_PT11_llS4_llS2_PT12_llPT13_lli, .Lfunc_end47-_ZN12_GLOBAL__N_127rocblas_gemm_batched_kernelIfLi16ELi16ELi32ELi32ELi8ELi32ELi8ELi8ELi32ELc78ELc67EKfS1_fEEvlllT_PT11_llS4_llS2_PT12_llPT13_lli
                                        ; -- End function
	.set _ZN12_GLOBAL__N_127rocblas_gemm_batched_kernelIfLi16ELi16ELi32ELi32ELi8ELi32ELi8ELi8ELi32ELc78ELc67EKfS1_fEEvlllT_PT11_llS4_llS2_PT12_llPT13_lli.num_vgpr, 46
	.set _ZN12_GLOBAL__N_127rocblas_gemm_batched_kernelIfLi16ELi16ELi32ELi32ELi8ELi32ELi8ELi8ELi32ELc78ELc67EKfS1_fEEvlllT_PT11_llS4_llS2_PT12_llPT13_lli.num_agpr, 0
	.set _ZN12_GLOBAL__N_127rocblas_gemm_batched_kernelIfLi16ELi16ELi32ELi32ELi8ELi32ELi8ELi8ELi32ELc78ELc67EKfS1_fEEvlllT_PT11_llS4_llS2_PT12_llPT13_lli.numbered_sgpr, 22
	.set _ZN12_GLOBAL__N_127rocblas_gemm_batched_kernelIfLi16ELi16ELi32ELi32ELi8ELi32ELi8ELi8ELi32ELc78ELc67EKfS1_fEEvlllT_PT11_llS4_llS2_PT12_llPT13_lli.num_named_barrier, 0
	.set _ZN12_GLOBAL__N_127rocblas_gemm_batched_kernelIfLi16ELi16ELi32ELi32ELi8ELi32ELi8ELi8ELi32ELc78ELc67EKfS1_fEEvlllT_PT11_llS4_llS2_PT12_llPT13_lli.private_seg_size, 0
	.set _ZN12_GLOBAL__N_127rocblas_gemm_batched_kernelIfLi16ELi16ELi32ELi32ELi8ELi32ELi8ELi8ELi32ELc78ELc67EKfS1_fEEvlllT_PT11_llS4_llS2_PT12_llPT13_lli.uses_vcc, 1
	.set _ZN12_GLOBAL__N_127rocblas_gemm_batched_kernelIfLi16ELi16ELi32ELi32ELi8ELi32ELi8ELi8ELi32ELc78ELc67EKfS1_fEEvlllT_PT11_llS4_llS2_PT12_llPT13_lli.uses_flat_scratch, 0
	.set _ZN12_GLOBAL__N_127rocblas_gemm_batched_kernelIfLi16ELi16ELi32ELi32ELi8ELi32ELi8ELi8ELi32ELc78ELc67EKfS1_fEEvlllT_PT11_llS4_llS2_PT12_llPT13_lli.has_dyn_sized_stack, 0
	.set _ZN12_GLOBAL__N_127rocblas_gemm_batched_kernelIfLi16ELi16ELi32ELi32ELi8ELi32ELi8ELi8ELi32ELc78ELc67EKfS1_fEEvlllT_PT11_llS4_llS2_PT12_llPT13_lli.has_recursion, 0
	.set _ZN12_GLOBAL__N_127rocblas_gemm_batched_kernelIfLi16ELi16ELi32ELi32ELi8ELi32ELi8ELi8ELi32ELc78ELc67EKfS1_fEEvlllT_PT11_llS4_llS2_PT12_llPT13_lli.has_indirect_call, 0
	.section	.AMDGPU.csdata,"",@progbits
; Kernel info:
; codeLenInByte = 1356
; TotalNumSgprs: 24
; NumVgprs: 46
; ScratchSize: 0
; MemoryBound: 0
; FloatMode: 240
; IeeeMode: 1
; LDSByteSize: 2048 bytes/workgroup (compile time only)
; SGPRBlocks: 0
; VGPRBlocks: 5
; NumSGPRsForWavesPerEU: 24
; NumVGPRsForWavesPerEU: 46
; Occupancy: 16
; WaveLimiterHint : 0
; COMPUTE_PGM_RSRC2:SCRATCH_EN: 0
; COMPUTE_PGM_RSRC2:USER_SGPR: 6
; COMPUTE_PGM_RSRC2:TRAP_HANDLER: 0
; COMPUTE_PGM_RSRC2:TGID_X_EN: 1
; COMPUTE_PGM_RSRC2:TGID_Y_EN: 1
; COMPUTE_PGM_RSRC2:TGID_Z_EN: 1
; COMPUTE_PGM_RSRC2:TIDIG_COMP_CNT: 1
	.section	.text._ZN12_GLOBAL__N_127rocblas_gemm_batched_kernelIfLi16ELi16ELi32ELi32ELi8ELi32ELi8ELi8ELi32ELc84ELc67EKfS1_fEEvlllT_PT11_llS4_llS2_PT12_llPT13_lli,"axG",@progbits,_ZN12_GLOBAL__N_127rocblas_gemm_batched_kernelIfLi16ELi16ELi32ELi32ELi8ELi32ELi8ELi8ELi32ELc84ELc67EKfS1_fEEvlllT_PT11_llS4_llS2_PT12_llPT13_lli,comdat
	.globl	_ZN12_GLOBAL__N_127rocblas_gemm_batched_kernelIfLi16ELi16ELi32ELi32ELi8ELi32ELi8ELi8ELi32ELc84ELc67EKfS1_fEEvlllT_PT11_llS4_llS2_PT12_llPT13_lli ; -- Begin function _ZN12_GLOBAL__N_127rocblas_gemm_batched_kernelIfLi16ELi16ELi32ELi32ELi8ELi32ELi8ELi8ELi32ELc84ELc67EKfS1_fEEvlllT_PT11_llS4_llS2_PT12_llPT13_lli
	.p2align	8
	.type	_ZN12_GLOBAL__N_127rocblas_gemm_batched_kernelIfLi16ELi16ELi32ELi32ELi8ELi32ELi8ELi8ELi32ELc84ELc67EKfS1_fEEvlllT_PT11_llS4_llS2_PT12_llPT13_lli,@function
_ZN12_GLOBAL__N_127rocblas_gemm_batched_kernelIfLi16ELi16ELi32ELi32ELi8ELi32ELi8ELi8ELi32ELc84ELc67EKfS1_fEEvlllT_PT11_llS4_llS2_PT12_llPT13_lli: ; @_ZN12_GLOBAL__N_127rocblas_gemm_batched_kernelIfLi16ELi16ELi32ELi32ELi8ELi32ELi8ELi8ELi32ELc84ELc67EKfS1_fEEvlllT_PT11_llS4_llS2_PT12_llPT13_lli
; %bb.0:
	s_load_dwordx2 s[20:21], s[4:5], 0x10
	s_mov_b32 s0, s7
	v_mov_b32_e32 v9, 0
	v_mov_b32_e32 v8, 0
	;; [unrolled: 1-line block ×4, first 2 shown]
	s_ashr_i32 s7, s6, 31
	s_ashr_i32 s1, s0, 31
	s_lshl_b64 s[6:7], s[6:7], 5
	s_lshl_b64 s[10:11], s[0:1], 5
	s_waitcnt lgkmcnt(0)
	v_cmp_lt_i64_e64 s2, s[20:21], 1
	s_and_b32 vcc_lo, exec_lo, s2
	s_cbranch_vccnz .LBB48_3
; %bb.1:
	s_clause 0x1
	s_load_dwordx8 s[12:19], s[4:5], 0x20
	s_load_dwordx4 s[0:3], s[4:5], 0x40
	v_lshl_add_u32 v4, v1, 4, v0
	v_and_b32_e32 v8, 7, v0
	v_mov_b32_e32 v3, 0
	v_lshlrev_b32_e32 v10, 2, v0
	v_lshl_add_u32 v11, v1, 5, 0x400
	v_and_b32_e32 v5, 31, v4
	v_lshrrev_b32_e32 v2, 3, v4
	v_lshlrev_b32_e32 v6, 2, v8
	v_lshrrev_b32_e32 v14, 5, v4
	v_lshlrev_b32_e32 v4, 2, v5
	v_lshl_or_b32 v9, v2, 5, v6
	v_add_co_u32 v6, s9, s6, v5
	v_add_co_ci_u32_e64 v7, null, s7, 0, s9
	v_lshl_or_b32 v12, v14, 7, v4
	s_waitcnt lgkmcnt(0)
	v_mul_lo_u32 v15, s15, v6
	v_mad_u64_u32 v[4:5], null, s0, v8, v[2:3]
	v_mul_lo_u32 v16, s14, v7
	v_mad_u64_u32 v[6:7], null, s14, v6, 0
	s_mul_i32 s3, s3, s8
	s_mul_hi_u32 s9, s2, s8
	s_mul_i32 s2, s2, s8
	v_mov_b32_e32 v2, v5
	s_add_i32 s3, s9, s3
	v_add_nc_u32_e32 v13, 0x400, v9
	v_add3_u32 v7, v7, v16, v15
	s_lshl_b64 s[2:3], s[2:3], 2
	v_mad_u64_u32 v[8:9], null, s1, v8, v[2:3]
	s_add_u32 s9, s18, s2
	s_addc_u32 s14, s19, s3
	s_mul_i32 s2, s17, s8
	s_mul_hi_u32 s3, s16, s8
	v_lshlrev_b64 v[5:6], 2, v[6:7]
	v_add_co_u32 v7, vcc_lo, v4, s10
	s_add_i32 s3, s3, s2
	s_mul_i32 s2, s16, s8
	v_add_co_ci_u32_e64 v8, null, s11, v8, vcc_lo
	s_lshl_b64 s[2:3], s[2:3], 2
	v_lshlrev_b32_e32 v2, 2, v14
	v_add_co_u32 v9, vcc_lo, v5, s2
	v_add_co_ci_u32_e64 v6, null, s3, v6, vcc_lo
	v_lshlrev_b64 v[4:5], 2, v[7:8]
	v_add_co_u32 v2, vcc_lo, v9, v2
	v_add_co_ci_u32_e64 v7, null, 0, v6, vcc_lo
	v_mov_b32_e32 v8, v3
	v_add_co_u32 v4, vcc_lo, s9, v4
	v_add_co_ci_u32_e64 v5, null, s14, v5, vcc_lo
	v_add_co_u32 v6, vcc_lo, s12, v2
	v_add_co_ci_u32_e64 v7, null, s13, v7, vcc_lo
	v_mov_b32_e32 v2, v3
	v_mov_b32_e32 v9, v3
	s_lshl_b64 s[0:1], s[0:1], 5
	s_mov_b64 s[2:3], 0
.LBB48_2:                               ; =>This Inner Loop Header: Depth=1
	global_load_dword v14, v[6:7], off
	global_load_dword v15, v[4:5], off
	s_add_u32 s2, s2, 8
	s_addc_u32 s3, s3, 0
	v_add_co_u32 v4, vcc_lo, v4, s0
	v_cmp_lt_i64_e64 s9, s[2:3], s[20:21]
	v_add_co_ci_u32_e64 v5, null, s1, v5, vcc_lo
	v_add_co_u32 v6, vcc_lo, v6, 32
	v_add_co_ci_u32_e64 v7, null, 0, v7, vcc_lo
	s_and_b32 vcc_lo, exec_lo, s9
	s_waitcnt vmcnt(1)
	ds_write_b32 v12, v14
	s_waitcnt vmcnt(0)
	ds_write_b32 v13, v15
	s_waitcnt lgkmcnt(0)
	s_barrier
	buffer_gl0_inv
	ds_read_b128 v[14:17], v11
	ds_read2_b32 v[30:31], v10 offset1:16
	ds_read_b128 v[18:21], v11 offset:512
	ds_read2_b32 v[32:33], v10 offset0:32 offset1:48
	ds_read2_b32 v[34:35], v10 offset0:64 offset1:80
	ds_read_b128 v[22:25], v11 offset:16
	ds_read2_b32 v[36:37], v10 offset0:96 offset1:112
	ds_read2_b32 v[38:39], v10 offset0:128 offset1:144
	;; [unrolled: 3-line block ×3, first 2 shown]
	ds_read2_b32 v[44:45], v10 offset0:224 offset1:240
	s_waitcnt lgkmcnt(0)
	s_barrier
	buffer_gl0_inv
	v_fmac_f32_e32 v9, v30, v14
	v_fmac_f32_e32 v8, v31, v14
	;; [unrolled: 1-line block ×32, first 2 shown]
	s_cbranch_vccnz .LBB48_2
.LBB48_3:
	s_clause 0x3
	s_load_dwordx4 s[0:3], s[4:5], 0x78
	s_load_dword s9, s[4:5], 0x50
	s_load_dwordx8 s[12:19], s[4:5], 0x58
	s_load_dword s4, s[4:5], 0x18
	v_add_co_u32 v5, s5, s6, v0
	v_add_co_ci_u32_e64 v6, null, s7, 0, s5
	v_add_co_u32 v4, s5, s10, v1
	v_add_co_ci_u32_e64 v7, null, s11, 0, s5
	v_lshlrev_b64 v[0:1], 2, v[5:6]
	s_waitcnt lgkmcnt(0)
	s_mul_i32 s3, s3, s8
	s_mul_hi_u32 s5, s2, s8
	v_mul_lo_u32 v5, v7, s0
	v_mul_lo_u32 v6, v4, s1
	s_mul_i32 s2, s2, s8
	v_cmp_neq_f32_e64 s6, s9, 0
	s_add_i32 s3, s5, s3
	s_mov_b32 s5, 0
	s_lshl_b64 s[2:3], s[2:3], 2
	s_add_u32 s2, s18, s2
	s_addc_u32 s3, s19, s3
	s_and_b32 vcc_lo, exec_lo, s6
	s_cbranch_vccnz .LBB48_7
; %bb.4:
	v_mad_u64_u32 v[10:11], null, v4, s0, 0
	s_lshl_b64 s[6:7], s[0:1], 6
	v_mul_f32_e32 v14, s4, v9
	v_mul_f32_e32 v15, s4, v8
	;; [unrolled: 1-line block ×4, first 2 shown]
	v_add3_u32 v11, v11, v6, v5
	v_lshlrev_b64 v[10:11], 2, v[10:11]
	v_add_co_u32 v10, vcc_lo, s2, v10
	v_add_co_ci_u32_e64 v11, null, s3, v11, vcc_lo
	v_add_co_u32 v12, vcc_lo, v10, s6
	v_add_co_ci_u32_e64 v13, null, s7, v11, vcc_lo
	;; [unrolled: 2-line block ×4, first 2 shown]
	global_store_dword v[10:11], v14, off
	global_store_dword v[10:11], v15, off offset:64
	global_store_dword v[12:13], v16, off
	global_store_dword v[12:13], v17, off offset:64
	s_andn2_b32 vcc_lo, exec_lo, s5
	s_cbranch_vccnz .LBB48_6
.LBB48_5:
	v_mul_lo_u32 v7, v7, s14
	v_mul_lo_u32 v12, v4, s15
	v_mad_u64_u32 v[10:11], null, v4, s14, 0
	s_mul_i32 s5, s17, s8
	s_mul_hi_u32 s7, s16, s8
	s_mul_i32 s6, s16, s8
	s_add_i32 s7, s7, s5
	s_lshl_b64 s[6:7], s[6:7], 2
	v_add3_u32 v11, v11, v12, v7
	s_add_u32 s5, s12, s6
	s_addc_u32 s6, s13, s7
	v_mad_u64_u32 v[12:13], null, v4, s0, 0
	v_lshlrev_b64 v[10:11], 2, v[10:11]
	s_lshl_b64 s[0:1], s[0:1], 6
	v_add3_u32 v13, v13, v6, v5
	v_add_co_u32 v7, vcc_lo, s5, v10
	v_add_co_ci_u32_e64 v14, null, s6, v11, vcc_lo
	v_lshlrev_b64 v[4:5], 2, v[12:13]
	v_add_co_u32 v10, vcc_lo, v7, v0
	v_add_co_ci_u32_e64 v11, null, v14, v1, vcc_lo
	v_add_co_u32 v12, vcc_lo, s2, v4
	global_load_dword v15, v[10:11], off
	v_add_co_ci_u32_e64 v13, null, s3, v5, vcc_lo
	v_add_co_u32 v4, vcc_lo, v12, v0
	s_lshl_b64 s[2:3], s[14:15], 6
	v_add_co_ci_u32_e64 v5, null, v13, v1, vcc_lo
	s_waitcnt vmcnt(0)
	v_mul_f32_e32 v6, s9, v15
	v_fmac_f32_e32 v6, s4, v9
	global_store_dword v[4:5], v6, off
	global_load_dword v6, v[10:11], off offset:64
	s_waitcnt vmcnt(0)
	v_mul_f32_e32 v9, s9, v6
	v_add_co_u32 v6, vcc_lo, v7, s2
	v_add_co_ci_u32_e64 v7, null, s3, v14, vcc_lo
	v_fmac_f32_e32 v9, s4, v8
	v_add_co_u32 v6, vcc_lo, v6, v0
	v_add_co_ci_u32_e64 v7, null, v7, v1, vcc_lo
	global_store_dword v[4:5], v9, off offset:64
	v_add_co_u32 v5, vcc_lo, v12, s0
	global_load_dword v4, v[6:7], off
	v_add_co_ci_u32_e64 v8, null, s1, v13, vcc_lo
	v_add_co_u32 v0, vcc_lo, v5, v0
	v_add_co_ci_u32_e64 v1, null, v8, v1, vcc_lo
	s_waitcnt vmcnt(0)
	v_mul_f32_e32 v4, s9, v4
	v_fmac_f32_e32 v4, s4, v2
	global_store_dword v[0:1], v4, off
	global_load_dword v2, v[6:7], off offset:64
	s_waitcnt vmcnt(0)
	v_mul_f32_e32 v2, s9, v2
	v_fmac_f32_e32 v2, s4, v3
	global_store_dword v[0:1], v2, off offset:64
.LBB48_6:
	s_endpgm
.LBB48_7:
	s_branch .LBB48_5
	.section	.rodata,"a",@progbits
	.p2align	6, 0x0
	.amdhsa_kernel _ZN12_GLOBAL__N_127rocblas_gemm_batched_kernelIfLi16ELi16ELi32ELi32ELi8ELi32ELi8ELi8ELi32ELc84ELc67EKfS1_fEEvlllT_PT11_llS4_llS2_PT12_llPT13_lli
		.amdhsa_group_segment_fixed_size 2048
		.amdhsa_private_segment_fixed_size 0
		.amdhsa_kernarg_size 140
		.amdhsa_user_sgpr_count 6
		.amdhsa_user_sgpr_private_segment_buffer 1
		.amdhsa_user_sgpr_dispatch_ptr 0
		.amdhsa_user_sgpr_queue_ptr 0
		.amdhsa_user_sgpr_kernarg_segment_ptr 1
		.amdhsa_user_sgpr_dispatch_id 0
		.amdhsa_user_sgpr_flat_scratch_init 0
		.amdhsa_user_sgpr_private_segment_size 0
		.amdhsa_wavefront_size32 1
		.amdhsa_uses_dynamic_stack 0
		.amdhsa_system_sgpr_private_segment_wavefront_offset 0
		.amdhsa_system_sgpr_workgroup_id_x 1
		.amdhsa_system_sgpr_workgroup_id_y 1
		.amdhsa_system_sgpr_workgroup_id_z 1
		.amdhsa_system_sgpr_workgroup_info 0
		.amdhsa_system_vgpr_workitem_id 1
		.amdhsa_next_free_vgpr 46
		.amdhsa_next_free_sgpr 22
		.amdhsa_reserve_vcc 1
		.amdhsa_reserve_flat_scratch 0
		.amdhsa_float_round_mode_32 0
		.amdhsa_float_round_mode_16_64 0
		.amdhsa_float_denorm_mode_32 3
		.amdhsa_float_denorm_mode_16_64 3
		.amdhsa_dx10_clamp 1
		.amdhsa_ieee_mode 1
		.amdhsa_fp16_overflow 0
		.amdhsa_workgroup_processor_mode 1
		.amdhsa_memory_ordered 1
		.amdhsa_forward_progress 1
		.amdhsa_shared_vgpr_count 0
		.amdhsa_exception_fp_ieee_invalid_op 0
		.amdhsa_exception_fp_denorm_src 0
		.amdhsa_exception_fp_ieee_div_zero 0
		.amdhsa_exception_fp_ieee_overflow 0
		.amdhsa_exception_fp_ieee_underflow 0
		.amdhsa_exception_fp_ieee_inexact 0
		.amdhsa_exception_int_div_zero 0
	.end_amdhsa_kernel
	.section	.text._ZN12_GLOBAL__N_127rocblas_gemm_batched_kernelIfLi16ELi16ELi32ELi32ELi8ELi32ELi8ELi8ELi32ELc84ELc67EKfS1_fEEvlllT_PT11_llS4_llS2_PT12_llPT13_lli,"axG",@progbits,_ZN12_GLOBAL__N_127rocblas_gemm_batched_kernelIfLi16ELi16ELi32ELi32ELi8ELi32ELi8ELi8ELi32ELc84ELc67EKfS1_fEEvlllT_PT11_llS4_llS2_PT12_llPT13_lli,comdat
.Lfunc_end48:
	.size	_ZN12_GLOBAL__N_127rocblas_gemm_batched_kernelIfLi16ELi16ELi32ELi32ELi8ELi32ELi8ELi8ELi32ELc84ELc67EKfS1_fEEvlllT_PT11_llS4_llS2_PT12_llPT13_lli, .Lfunc_end48-_ZN12_GLOBAL__N_127rocblas_gemm_batched_kernelIfLi16ELi16ELi32ELi32ELi8ELi32ELi8ELi8ELi32ELc84ELc67EKfS1_fEEvlllT_PT11_llS4_llS2_PT12_llPT13_lli
                                        ; -- End function
	.set _ZN12_GLOBAL__N_127rocblas_gemm_batched_kernelIfLi16ELi16ELi32ELi32ELi8ELi32ELi8ELi8ELi32ELc84ELc67EKfS1_fEEvlllT_PT11_llS4_llS2_PT12_llPT13_lli.num_vgpr, 46
	.set _ZN12_GLOBAL__N_127rocblas_gemm_batched_kernelIfLi16ELi16ELi32ELi32ELi8ELi32ELi8ELi8ELi32ELc84ELc67EKfS1_fEEvlllT_PT11_llS4_llS2_PT12_llPT13_lli.num_agpr, 0
	.set _ZN12_GLOBAL__N_127rocblas_gemm_batched_kernelIfLi16ELi16ELi32ELi32ELi8ELi32ELi8ELi8ELi32ELc84ELc67EKfS1_fEEvlllT_PT11_llS4_llS2_PT12_llPT13_lli.numbered_sgpr, 22
	.set _ZN12_GLOBAL__N_127rocblas_gemm_batched_kernelIfLi16ELi16ELi32ELi32ELi8ELi32ELi8ELi8ELi32ELc84ELc67EKfS1_fEEvlllT_PT11_llS4_llS2_PT12_llPT13_lli.num_named_barrier, 0
	.set _ZN12_GLOBAL__N_127rocblas_gemm_batched_kernelIfLi16ELi16ELi32ELi32ELi8ELi32ELi8ELi8ELi32ELc84ELc67EKfS1_fEEvlllT_PT11_llS4_llS2_PT12_llPT13_lli.private_seg_size, 0
	.set _ZN12_GLOBAL__N_127rocblas_gemm_batched_kernelIfLi16ELi16ELi32ELi32ELi8ELi32ELi8ELi8ELi32ELc84ELc67EKfS1_fEEvlllT_PT11_llS4_llS2_PT12_llPT13_lli.uses_vcc, 1
	.set _ZN12_GLOBAL__N_127rocblas_gemm_batched_kernelIfLi16ELi16ELi32ELi32ELi8ELi32ELi8ELi8ELi32ELc84ELc67EKfS1_fEEvlllT_PT11_llS4_llS2_PT12_llPT13_lli.uses_flat_scratch, 0
	.set _ZN12_GLOBAL__N_127rocblas_gemm_batched_kernelIfLi16ELi16ELi32ELi32ELi8ELi32ELi8ELi8ELi32ELc84ELc67EKfS1_fEEvlllT_PT11_llS4_llS2_PT12_llPT13_lli.has_dyn_sized_stack, 0
	.set _ZN12_GLOBAL__N_127rocblas_gemm_batched_kernelIfLi16ELi16ELi32ELi32ELi8ELi32ELi8ELi8ELi32ELc84ELc67EKfS1_fEEvlllT_PT11_llS4_llS2_PT12_llPT13_lli.has_recursion, 0
	.set _ZN12_GLOBAL__N_127rocblas_gemm_batched_kernelIfLi16ELi16ELi32ELi32ELi8ELi32ELi8ELi8ELi32ELc84ELc67EKfS1_fEEvlllT_PT11_llS4_llS2_PT12_llPT13_lli.has_indirect_call, 0
	.section	.AMDGPU.csdata,"",@progbits
; Kernel info:
; codeLenInByte = 1392
; TotalNumSgprs: 24
; NumVgprs: 46
; ScratchSize: 0
; MemoryBound: 0
; FloatMode: 240
; IeeeMode: 1
; LDSByteSize: 2048 bytes/workgroup (compile time only)
; SGPRBlocks: 0
; VGPRBlocks: 5
; NumSGPRsForWavesPerEU: 24
; NumVGPRsForWavesPerEU: 46
; Occupancy: 16
; WaveLimiterHint : 0
; COMPUTE_PGM_RSRC2:SCRATCH_EN: 0
; COMPUTE_PGM_RSRC2:USER_SGPR: 6
; COMPUTE_PGM_RSRC2:TRAP_HANDLER: 0
; COMPUTE_PGM_RSRC2:TGID_X_EN: 1
; COMPUTE_PGM_RSRC2:TGID_Y_EN: 1
; COMPUTE_PGM_RSRC2:TGID_Z_EN: 1
; COMPUTE_PGM_RSRC2:TIDIG_COMP_CNT: 1
	.section	.text._ZN12_GLOBAL__N_135rocblas_gemm_batched_general_kernelIfLi16ELi16ELi32ELi32ELi8ELi32ELi8ELi8ELi32ELc78ELc78EKfS1_fEEvlllT_PT11_llS4_llS2_PT12_llPT13_lli,"axG",@progbits,_ZN12_GLOBAL__N_135rocblas_gemm_batched_general_kernelIfLi16ELi16ELi32ELi32ELi8ELi32ELi8ELi8ELi32ELc78ELc78EKfS1_fEEvlllT_PT11_llS4_llS2_PT12_llPT13_lli,comdat
	.globl	_ZN12_GLOBAL__N_135rocblas_gemm_batched_general_kernelIfLi16ELi16ELi32ELi32ELi8ELi32ELi8ELi8ELi32ELc78ELc78EKfS1_fEEvlllT_PT11_llS4_llS2_PT12_llPT13_lli ; -- Begin function _ZN12_GLOBAL__N_135rocblas_gemm_batched_general_kernelIfLi16ELi16ELi32ELi32ELi8ELi32ELi8ELi8ELi32ELc78ELc78EKfS1_fEEvlllT_PT11_llS4_llS2_PT12_llPT13_lli
	.p2align	8
	.type	_ZN12_GLOBAL__N_135rocblas_gemm_batched_general_kernelIfLi16ELi16ELi32ELi32ELi8ELi32ELi8ELi8ELi32ELc78ELc78EKfS1_fEEvlllT_PT11_llS4_llS2_PT12_llPT13_lli,@function
_ZN12_GLOBAL__N_135rocblas_gemm_batched_general_kernelIfLi16ELi16ELi32ELi32ELi8ELi32ELi8ELi8ELi32ELc78ELc78EKfS1_fEEvlllT_PT11_llS4_llS2_PT12_llPT13_lli: ; @_ZN12_GLOBAL__N_135rocblas_gemm_batched_general_kernelIfLi16ELi16ELi32ELi32ELi8ELi32ELi8ELi8ELi32ELc78ELc78EKfS1_fEEvlllT_PT11_llS4_llS2_PT12_llPT13_lli
; %bb.0:
	s_clause 0x1
	s_load_dwordx2 s[28:29], s[4:5], 0x10
	s_load_dwordx4 s[20:23], s[4:5], 0x0
	s_mov_b32 s0, s7
	v_mov_b32_e32 v10, 0
	v_mov_b32_e32 v9, 0
	;; [unrolled: 1-line block ×4, first 2 shown]
	s_ashr_i32 s7, s6, 31
	s_ashr_i32 s1, s0, 31
	s_lshl_b64 s[10:11], s[6:7], 5
	s_waitcnt lgkmcnt(0)
	v_cmp_lt_i64_e64 s2, s[28:29], 1
	s_and_b32 vcc_lo, exec_lo, s2
	s_lshl_b64 s[2:3], s[0:1], 5
	s_cbranch_vccnz .LBB49_7
; %bb.1:
	s_clause 0x1
	s_load_dwordx8 s[12:19], s[4:5], 0x20
	s_load_dwordx4 s[24:27], s[4:5], 0x40
	v_lshl_add_u32 v2, v1, 4, v0
	v_and_b32_e32 v6, 7, v0
	v_mov_b32_e32 v3, s11
	s_lshl_b64 s[6:7], s[6:7], 7
	v_mov_b32_e32 v7, 0
	v_lshrrev_b32_e32 v10, 3, v2
	v_lshrrev_b32_e32 v13, 5, v2
	v_and_b32_e32 v8, 31, v2
	v_lshlrev_b32_e32 v16, 2, v6
	v_lshlrev_b32_e32 v11, 2, v0
	v_add_co_u32 v4, s0, v10, s2
	v_add_co_ci_u32_e64 v5, null, 0, s3, s0
	v_or_b32_e32 v2, s10, v8
	v_lshlrev_b32_e32 v17, 2, v8
	v_lshl_or_b32 v10, v10, 5, v16
	v_cmp_gt_i64_e64 s1, s[22:23], v[4:5]
	s_waitcnt lgkmcnt(0)
	v_mad_u64_u32 v[8:9], null, s14, v13, 0
	v_cmp_gt_i64_e64 s0, s[20:21], v[2:3]
	v_mul_lo_u32 v18, s25, v4
	v_mad_u64_u32 v[3:4], null, s24, v4, 0
	v_mul_lo_u32 v5, s24, v5
	v_add_nc_u32_e32 v15, 0x400, v10
	v_mov_b32_e32 v2, v9
	s_mul_i32 s9, s27, s8
	s_mul_hi_u32 s25, s26, s8
	s_mul_i32 s24, s26, s8
	s_mul_i32 s17, s17, s8
	v_mad_u64_u32 v[9:10], null, s15, v13, v[2:3]
	v_add3_u32 v4, v4, v5, v18
	s_mul_hi_u32 s26, s16, s8
	s_mul_i32 s16, s16, s8
	s_add_i32 s25, s25, s9
	s_add_i32 s17, s26, s17
	v_lshlrev_b64 v[2:3], 2, v[3:4]
	v_lshlrev_b64 v[4:5], 2, v[8:9]
	s_lshl_b64 s[24:25], s[24:25], 2
	s_lshl_b64 s[16:17], s[16:17], 2
	v_lshl_add_u32 v12, v1, 5, 0x400
	s_add_u32 s6, s6, s16
	v_add_co_u32 v2, vcc_lo, v2, s24
	v_add_co_ci_u32_e64 v3, null, s25, v3, vcc_lo
	s_addc_u32 s7, s7, s17
	v_add_co_u32 v4, vcc_lo, s6, v4
	v_add_co_ci_u32_e64 v5, null, s7, v5, vcc_lo
	v_add_co_u32 v2, vcc_lo, v2, v16
	v_add_co_ci_u32_e64 v3, null, 0, v3, vcc_lo
	v_add_co_u32 v4, vcc_lo, v4, v17
	v_add_co_ci_u32_e64 v5, null, 0, v5, vcc_lo
	v_add_co_u32 v2, vcc_lo, s18, v2
	v_add_co_ci_u32_e64 v3, null, s19, v3, vcc_lo
	v_add_co_u32 v4, vcc_lo, s12, v4
	v_lshl_or_b32 v14, v13, 7, v17
	v_add_co_ci_u32_e64 v5, null, s13, v5, vcc_lo
	v_mov_b32_e32 v8, 0
	v_mov_b32_e32 v9, 0
	;; [unrolled: 1-line block ×3, first 2 shown]
	s_lshl_b64 s[6:7], s[14:15], 5
	s_mov_b64 s[12:13], 0
	s_branch .LBB49_3
.LBB49_2:                               ;   in Loop: Header=BB49_3 Depth=1
	s_or_b32 exec_lo, exec_lo, s9
	s_waitcnt vmcnt(0)
	ds_write_b32 v15, v17
	s_waitcnt lgkmcnt(0)
	s_barrier
	buffer_gl0_inv
	ds_read_b128 v[16:19], v12
	ds_read2_b32 v[32:33], v11 offset1:16
	ds_read_b128 v[20:23], v12 offset:512
	ds_read2_b32 v[34:35], v11 offset0:32 offset1:48
	ds_read2_b32 v[36:37], v11 offset0:64 offset1:80
	;; [unrolled: 1-line block ×3, first 2 shown]
	ds_read_b128 v[24:27], v12 offset:16
	ds_read2_b32 v[40:41], v11 offset0:128 offset1:144
	ds_read_b128 v[28:31], v12 offset:528
	ds_read2_b32 v[42:43], v11 offset0:160 offset1:176
	s_add_u32 s12, s12, 8
	s_addc_u32 s13, s13, 0
	v_add_co_u32 v2, vcc_lo, v2, 32
	v_cmp_lt_i64_e64 s9, s[12:13], s[28:29]
	v_add_co_ci_u32_e64 v3, null, 0, v3, vcc_lo
	v_add_co_u32 v4, vcc_lo, v4, s6
	v_add_co_ci_u32_e64 v5, null, s7, v5, vcc_lo
	s_waitcnt lgkmcnt(8)
	v_fmac_f32_e32 v10, v32, v16
	v_fmac_f32_e32 v9, v33, v16
	s_waitcnt lgkmcnt(7)
	v_fmac_f32_e32 v8, v32, v20
	v_fmac_f32_e32 v7, v33, v20
	ds_read2_b32 v[32:33], v11 offset0:192 offset1:208
	s_waitcnt lgkmcnt(7)
	v_fmac_f32_e32 v10, v34, v17
	v_fmac_f32_e32 v9, v35, v17
	;; [unrolled: 1-line block ×4, first 2 shown]
	ds_read2_b32 v[16:17], v11 offset0:224 offset1:240
	s_waitcnt lgkmcnt(7)
	v_fmac_f32_e32 v10, v36, v18
	v_fmac_f32_e32 v9, v37, v18
	;; [unrolled: 1-line block ×4, first 2 shown]
	s_and_b32 vcc_lo, exec_lo, s9
	s_waitcnt lgkmcnt(6)
	v_fmac_f32_e32 v10, v38, v19
	v_fmac_f32_e32 v9, v39, v19
	v_fmac_f32_e32 v8, v38, v23
	v_fmac_f32_e32 v7, v39, v23
	s_waitcnt lgkmcnt(0)
	v_fmac_f32_e32 v10, v40, v24
	v_fmac_f32_e32 v9, v41, v24
	;; [unrolled: 1-line block ×4, first 2 shown]
	s_barrier
	v_fmac_f32_e32 v10, v42, v25
	v_fmac_f32_e32 v9, v43, v25
	;; [unrolled: 1-line block ×4, first 2 shown]
	buffer_gl0_inv
	v_fmac_f32_e32 v10, v32, v26
	v_fmac_f32_e32 v9, v33, v26
	;; [unrolled: 1-line block ×8, first 2 shown]
	s_cbranch_vccz .LBB49_7
.LBB49_3:                               ; =>This Inner Loop Header: Depth=1
	v_add_co_u32 v16, s9, v13, s12
	v_add_co_ci_u32_e64 v17, null, 0, s13, s9
	v_cmp_gt_i64_e32 vcc_lo, s[28:29], v[16:17]
	v_mov_b32_e32 v16, 0
	s_and_b32 s14, s0, vcc_lo
	s_and_saveexec_b32 s9, s14
	s_cbranch_execz .LBB49_5
; %bb.4:                                ;   in Loop: Header=BB49_3 Depth=1
	global_load_dword v16, v[4:5], off
.LBB49_5:                               ;   in Loop: Header=BB49_3 Depth=1
	s_or_b32 exec_lo, exec_lo, s9
	v_add_co_u32 v17, s9, v6, s12
	v_add_co_ci_u32_e64 v18, null, 0, s13, s9
	s_waitcnt vmcnt(0)
	ds_write_b32 v14, v16
	v_cmp_gt_i64_e32 vcc_lo, s[28:29], v[17:18]
	v_mov_b32_e32 v17, 0
	s_and_b32 s14, vcc_lo, s1
	s_and_saveexec_b32 s9, s14
	s_cbranch_execz .LBB49_2
; %bb.6:                                ;   in Loop: Header=BB49_3 Depth=1
	global_load_dword v17, v[2:3], off
	s_branch .LBB49_2
.LBB49_7:
	s_clause 0x3
	s_load_dwordx4 s[24:27], s[4:5], 0x78
	s_load_dword s6, s[4:5], 0x50
	s_load_dwordx8 s[12:19], s[4:5], 0x58
	s_load_dword s4, s[4:5], 0x18
	v_add_co_u32 v1, s0, s2, v1
	v_add_co_ci_u32_e64 v2, null, s3, 0, s0
	s_waitcnt lgkmcnt(0)
	s_mul_i32 s1, s27, s8
	s_mul_hi_u32 s2, s26, s8
	s_mul_i32 s0, s26, s8
	s_add_i32 s1, s2, s1
	v_cmp_neq_f32_e64 s2, s6, 0
	s_lshl_b64 s[26:27], s[0:1], 2
	v_cmp_gt_i64_e64 s0, s[22:23], v[1:2]
	s_add_u32 s3, s18, s26
	s_addc_u32 s5, s19, s27
	s_and_b32 vcc_lo, exec_lo, s2
	s_cbranch_vccnz .LBB49_20
; %bb.8:
	s_and_saveexec_b32 s7, s0
	s_cbranch_execz .LBB49_18
; %bb.9:
	v_mul_lo_u32 v5, v2, s24
	v_mul_lo_u32 v6, v1, s25
	v_mad_u64_u32 v[3:4], null, v1, s24, 0
	v_add3_u32 v4, v4, v6, v5
	v_add_co_u32 v5, s1, s10, v0
	v_add_co_ci_u32_e64 v6, null, s11, 0, s1
	v_lshlrev_b64 v[11:12], 2, v[3:4]
	v_cmp_gt_i64_e32 vcc_lo, s[20:21], v[5:6]
	v_lshlrev_b64 v[3:4], 2, v[5:6]
	v_add_co_u32 v11, s1, s3, v11
	v_add_co_ci_u32_e64 v12, null, s5, v12, s1
	s_and_saveexec_b32 s2, vcc_lo
	s_cbranch_execz .LBB49_11
; %bb.10:
	v_add_co_u32 v13, s1, v11, v3
	v_add_co_ci_u32_e64 v14, null, v12, v4, s1
	v_mul_f32_e32 v15, s4, v10
	global_store_dword v[13:14], v15, off
.LBB49_11:
	s_or_b32 exec_lo, exec_lo, s2
	v_add_co_u32 v5, s1, v5, 16
	v_add_co_ci_u32_e64 v6, null, 0, v6, s1
	v_cmp_gt_i64_e64 s1, s[20:21], v[5:6]
	s_and_saveexec_b32 s9, s1
	s_cbranch_execz .LBB49_13
; %bb.12:
	v_add_co_u32 v5, s2, v11, v3
	v_add_co_ci_u32_e64 v6, null, v12, v4, s2
	v_mul_f32_e32 v13, s4, v9
	global_store_dword v[5:6], v13, off offset:64
.LBB49_13:
	s_or_b32 exec_lo, exec_lo, s9
	v_add_co_u32 v5, s2, v1, 16
	v_add_co_ci_u32_e64 v6, null, 0, v2, s2
	v_cmp_gt_i64_e64 s2, s[22:23], v[5:6]
	s_and_b32 exec_lo, exec_lo, s2
	s_cbranch_execz .LBB49_18
; %bb.14:
	s_lshl_b64 s[18:19], s[24:25], 6
	v_add_co_u32 v5, s2, v11, s18
	v_add_co_ci_u32_e64 v6, null, s19, v12, s2
	v_add_co_u32 v3, s2, v5, v3
	v_add_co_ci_u32_e64 v4, null, v6, v4, s2
	s_and_saveexec_b32 s2, vcc_lo
	s_cbranch_execz .LBB49_16
; %bb.15:
	v_mul_f32_e32 v5, s4, v8
	global_store_dword v[3:4], v5, off
.LBB49_16:
	s_or_b32 exec_lo, exec_lo, s2
	s_and_b32 exec_lo, exec_lo, s1
	s_cbranch_execz .LBB49_18
; %bb.17:
	v_mul_f32_e32 v5, s4, v7
	global_store_dword v[3:4], v5, off offset:64
.LBB49_18:
	s_or_b32 exec_lo, exec_lo, s7
	s_cbranch_execz .LBB49_21
.LBB49_19:
	s_endpgm
.LBB49_20:
.LBB49_21:
	s_and_saveexec_b32 s1, s0
	s_cbranch_execz .LBB49_19
; %bb.22:
	v_mul_lo_u32 v5, v2, s14
	v_mul_lo_u32 v6, v1, s15
	v_mad_u64_u32 v[3:4], null, v1, s14, 0
	v_mul_lo_u32 v13, v2, s24
	v_mul_lo_u32 v14, v1, s25
	v_mad_u64_u32 v[11:12], null, v1, s24, 0
	s_mul_i32 s0, s17, s8
	s_mul_hi_u32 s1, s16, s8
	v_add3_u32 v4, v4, v6, v5
	s_add_i32 s1, s1, s0
	s_mul_i32 s0, s16, s8
	v_add_co_u32 v5, s2, s10, v0
	v_add3_u32 v12, v12, v14, v13
	v_lshlrev_b64 v[3:4], 2, v[3:4]
	s_lshl_b64 s[0:1], s[0:1], 2
	v_add_co_ci_u32_e64 v6, null, s11, 0, s2
	v_lshlrev_b64 v[12:13], 2, v[11:12]
	s_add_u32 s0, s12, s0
	s_addc_u32 s1, s13, s1
	v_add_co_u32 v0, s0, s0, v3
	v_add_co_ci_u32_e64 v11, null, s1, v4, s0
	v_add_co_u32 v12, s0, s3, v12
	v_cmp_gt_i64_e32 vcc_lo, s[20:21], v[5:6]
	v_lshlrev_b64 v[3:4], 2, v[5:6]
	v_add_co_ci_u32_e64 v13, null, s5, v13, s0
	s_and_saveexec_b32 s1, vcc_lo
	s_cbranch_execz .LBB49_24
; %bb.23:
	v_add_co_u32 v14, s0, v0, v3
	v_add_co_ci_u32_e64 v15, null, v11, v4, s0
	global_load_dword v14, v[14:15], off
	s_waitcnt vmcnt(0)
	v_mul_f32_e32 v16, s6, v14
	v_add_co_u32 v14, s0, v12, v3
	v_add_co_ci_u32_e64 v15, null, v13, v4, s0
	v_fmac_f32_e32 v16, s4, v10
	global_store_dword v[14:15], v16, off
.LBB49_24:
	s_or_b32 exec_lo, exec_lo, s1
	v_add_co_u32 v5, s0, v5, 16
	v_add_co_ci_u32_e64 v6, null, 0, v6, s0
	v_cmp_gt_i64_e64 s0, s[20:21], v[5:6]
	s_and_saveexec_b32 s2, s0
	s_cbranch_execz .LBB49_26
; %bb.25:
	v_add_co_u32 v5, s1, v0, v3
	v_add_co_ci_u32_e64 v6, null, v11, v4, s1
	global_load_dword v5, v[5:6], off offset:64
	s_waitcnt vmcnt(0)
	v_mul_f32_e32 v10, s6, v5
	v_add_co_u32 v5, s1, v12, v3
	v_add_co_ci_u32_e64 v6, null, v13, v4, s1
	v_fmac_f32_e32 v10, s4, v9
	global_store_dword v[5:6], v10, off offset:64
.LBB49_26:
	s_or_b32 exec_lo, exec_lo, s2
	v_add_co_u32 v1, s1, v1, 16
	v_add_co_ci_u32_e64 v2, null, 0, v2, s1
	v_cmp_gt_i64_e64 s1, s[22:23], v[1:2]
	s_and_b32 exec_lo, exec_lo, s1
	s_cbranch_execz .LBB49_19
; %bb.27:
	s_lshl_b64 s[2:3], s[14:15], 6
	v_add_co_u32 v0, s1, v0, s2
	v_add_co_ci_u32_e64 v1, null, s3, v11, s1
	s_lshl_b64 s[2:3], s[24:25], 6
	v_add_co_u32 v2, s1, v12, s2
	v_add_co_ci_u32_e64 v5, null, s3, v13, s1
	v_add_co_u32 v0, s1, v0, v3
	v_add_co_ci_u32_e64 v1, null, v1, v4, s1
	;; [unrolled: 2-line block ×3, first 2 shown]
	s_and_saveexec_b32 s1, vcc_lo
	s_cbranch_execz .LBB49_29
; %bb.28:
	global_load_dword v4, v[0:1], off
	s_waitcnt vmcnt(0)
	v_mul_f32_e32 v4, s6, v4
	v_fmac_f32_e32 v4, s4, v8
	global_store_dword v[2:3], v4, off
.LBB49_29:
	s_or_b32 exec_lo, exec_lo, s1
	s_and_b32 exec_lo, exec_lo, s0
	s_cbranch_execz .LBB49_19
; %bb.30:
	global_load_dword v0, v[0:1], off offset:64
	s_waitcnt vmcnt(0)
	v_mul_f32_e32 v0, s6, v0
	v_fmac_f32_e32 v0, s4, v7
	global_store_dword v[2:3], v0, off offset:64
	s_endpgm
	.section	.rodata,"a",@progbits
	.p2align	6, 0x0
	.amdhsa_kernel _ZN12_GLOBAL__N_135rocblas_gemm_batched_general_kernelIfLi16ELi16ELi32ELi32ELi8ELi32ELi8ELi8ELi32ELc78ELc78EKfS1_fEEvlllT_PT11_llS4_llS2_PT12_llPT13_lli
		.amdhsa_group_segment_fixed_size 2048
		.amdhsa_private_segment_fixed_size 0
		.amdhsa_kernarg_size 140
		.amdhsa_user_sgpr_count 6
		.amdhsa_user_sgpr_private_segment_buffer 1
		.amdhsa_user_sgpr_dispatch_ptr 0
		.amdhsa_user_sgpr_queue_ptr 0
		.amdhsa_user_sgpr_kernarg_segment_ptr 1
		.amdhsa_user_sgpr_dispatch_id 0
		.amdhsa_user_sgpr_flat_scratch_init 0
		.amdhsa_user_sgpr_private_segment_size 0
		.amdhsa_wavefront_size32 1
		.amdhsa_uses_dynamic_stack 0
		.amdhsa_system_sgpr_private_segment_wavefront_offset 0
		.amdhsa_system_sgpr_workgroup_id_x 1
		.amdhsa_system_sgpr_workgroup_id_y 1
		.amdhsa_system_sgpr_workgroup_id_z 1
		.amdhsa_system_sgpr_workgroup_info 0
		.amdhsa_system_vgpr_workitem_id 1
		.amdhsa_next_free_vgpr 44
		.amdhsa_next_free_sgpr 30
		.amdhsa_reserve_vcc 1
		.amdhsa_reserve_flat_scratch 0
		.amdhsa_float_round_mode_32 0
		.amdhsa_float_round_mode_16_64 0
		.amdhsa_float_denorm_mode_32 3
		.amdhsa_float_denorm_mode_16_64 3
		.amdhsa_dx10_clamp 1
		.amdhsa_ieee_mode 1
		.amdhsa_fp16_overflow 0
		.amdhsa_workgroup_processor_mode 1
		.amdhsa_memory_ordered 1
		.amdhsa_forward_progress 1
		.amdhsa_shared_vgpr_count 0
		.amdhsa_exception_fp_ieee_invalid_op 0
		.amdhsa_exception_fp_denorm_src 0
		.amdhsa_exception_fp_ieee_div_zero 0
		.amdhsa_exception_fp_ieee_overflow 0
		.amdhsa_exception_fp_ieee_underflow 0
		.amdhsa_exception_fp_ieee_inexact 0
		.amdhsa_exception_int_div_zero 0
	.end_amdhsa_kernel
	.section	.text._ZN12_GLOBAL__N_135rocblas_gemm_batched_general_kernelIfLi16ELi16ELi32ELi32ELi8ELi32ELi8ELi8ELi32ELc78ELc78EKfS1_fEEvlllT_PT11_llS4_llS2_PT12_llPT13_lli,"axG",@progbits,_ZN12_GLOBAL__N_135rocblas_gemm_batched_general_kernelIfLi16ELi16ELi32ELi32ELi8ELi32ELi8ELi8ELi32ELc78ELc78EKfS1_fEEvlllT_PT11_llS4_llS2_PT12_llPT13_lli,comdat
.Lfunc_end49:
	.size	_ZN12_GLOBAL__N_135rocblas_gemm_batched_general_kernelIfLi16ELi16ELi32ELi32ELi8ELi32ELi8ELi8ELi32ELc78ELc78EKfS1_fEEvlllT_PT11_llS4_llS2_PT12_llPT13_lli, .Lfunc_end49-_ZN12_GLOBAL__N_135rocblas_gemm_batched_general_kernelIfLi16ELi16ELi32ELi32ELi8ELi32ELi8ELi8ELi32ELc78ELc78EKfS1_fEEvlllT_PT11_llS4_llS2_PT12_llPT13_lli
                                        ; -- End function
	.set _ZN12_GLOBAL__N_135rocblas_gemm_batched_general_kernelIfLi16ELi16ELi32ELi32ELi8ELi32ELi8ELi8ELi32ELc78ELc78EKfS1_fEEvlllT_PT11_llS4_llS2_PT12_llPT13_lli.num_vgpr, 44
	.set _ZN12_GLOBAL__N_135rocblas_gemm_batched_general_kernelIfLi16ELi16ELi32ELi32ELi8ELi32ELi8ELi8ELi32ELc78ELc78EKfS1_fEEvlllT_PT11_llS4_llS2_PT12_llPT13_lli.num_agpr, 0
	.set _ZN12_GLOBAL__N_135rocblas_gemm_batched_general_kernelIfLi16ELi16ELi32ELi32ELi8ELi32ELi8ELi8ELi32ELc78ELc78EKfS1_fEEvlllT_PT11_llS4_llS2_PT12_llPT13_lli.numbered_sgpr, 30
	.set _ZN12_GLOBAL__N_135rocblas_gemm_batched_general_kernelIfLi16ELi16ELi32ELi32ELi8ELi32ELi8ELi8ELi32ELc78ELc78EKfS1_fEEvlllT_PT11_llS4_llS2_PT12_llPT13_lli.num_named_barrier, 0
	.set _ZN12_GLOBAL__N_135rocblas_gemm_batched_general_kernelIfLi16ELi16ELi32ELi32ELi8ELi32ELi8ELi8ELi32ELc78ELc78EKfS1_fEEvlllT_PT11_llS4_llS2_PT12_llPT13_lli.private_seg_size, 0
	.set _ZN12_GLOBAL__N_135rocblas_gemm_batched_general_kernelIfLi16ELi16ELi32ELi32ELi8ELi32ELi8ELi8ELi32ELc78ELc78EKfS1_fEEvlllT_PT11_llS4_llS2_PT12_llPT13_lli.uses_vcc, 1
	.set _ZN12_GLOBAL__N_135rocblas_gemm_batched_general_kernelIfLi16ELi16ELi32ELi32ELi8ELi32ELi8ELi8ELi32ELc78ELc78EKfS1_fEEvlllT_PT11_llS4_llS2_PT12_llPT13_lli.uses_flat_scratch, 0
	.set _ZN12_GLOBAL__N_135rocblas_gemm_batched_general_kernelIfLi16ELi16ELi32ELi32ELi8ELi32ELi8ELi8ELi32ELc78ELc78EKfS1_fEEvlllT_PT11_llS4_llS2_PT12_llPT13_lli.has_dyn_sized_stack, 0
	.set _ZN12_GLOBAL__N_135rocblas_gemm_batched_general_kernelIfLi16ELi16ELi32ELi32ELi8ELi32ELi8ELi8ELi32ELc78ELc78EKfS1_fEEvlllT_PT11_llS4_llS2_PT12_llPT13_lli.has_recursion, 0
	.set _ZN12_GLOBAL__N_135rocblas_gemm_batched_general_kernelIfLi16ELi16ELi32ELi32ELi8ELi32ELi8ELi8ELi32ELc78ELc78EKfS1_fEEvlllT_PT11_llS4_llS2_PT12_llPT13_lli.has_indirect_call, 0
	.section	.AMDGPU.csdata,"",@progbits
; Kernel info:
; codeLenInByte = 1868
; TotalNumSgprs: 32
; NumVgprs: 44
; ScratchSize: 0
; MemoryBound: 0
; FloatMode: 240
; IeeeMode: 1
; LDSByteSize: 2048 bytes/workgroup (compile time only)
; SGPRBlocks: 0
; VGPRBlocks: 5
; NumSGPRsForWavesPerEU: 32
; NumVGPRsForWavesPerEU: 44
; Occupancy: 16
; WaveLimiterHint : 0
; COMPUTE_PGM_RSRC2:SCRATCH_EN: 0
; COMPUTE_PGM_RSRC2:USER_SGPR: 6
; COMPUTE_PGM_RSRC2:TRAP_HANDLER: 0
; COMPUTE_PGM_RSRC2:TGID_X_EN: 1
; COMPUTE_PGM_RSRC2:TGID_Y_EN: 1
; COMPUTE_PGM_RSRC2:TGID_Z_EN: 1
; COMPUTE_PGM_RSRC2:TIDIG_COMP_CNT: 1
	.section	.text._ZN12_GLOBAL__N_135rocblas_gemm_batched_general_kernelIfLi16ELi16ELi32ELi32ELi8ELi32ELi8ELi8ELi32ELc84ELc78EKfS1_fEEvlllT_PT11_llS4_llS2_PT12_llPT13_lli,"axG",@progbits,_ZN12_GLOBAL__N_135rocblas_gemm_batched_general_kernelIfLi16ELi16ELi32ELi32ELi8ELi32ELi8ELi8ELi32ELc84ELc78EKfS1_fEEvlllT_PT11_llS4_llS2_PT12_llPT13_lli,comdat
	.globl	_ZN12_GLOBAL__N_135rocblas_gemm_batched_general_kernelIfLi16ELi16ELi32ELi32ELi8ELi32ELi8ELi8ELi32ELc84ELc78EKfS1_fEEvlllT_PT11_llS4_llS2_PT12_llPT13_lli ; -- Begin function _ZN12_GLOBAL__N_135rocblas_gemm_batched_general_kernelIfLi16ELi16ELi32ELi32ELi8ELi32ELi8ELi8ELi32ELc84ELc78EKfS1_fEEvlllT_PT11_llS4_llS2_PT12_llPT13_lli
	.p2align	8
	.type	_ZN12_GLOBAL__N_135rocblas_gemm_batched_general_kernelIfLi16ELi16ELi32ELi32ELi8ELi32ELi8ELi8ELi32ELc84ELc78EKfS1_fEEvlllT_PT11_llS4_llS2_PT12_llPT13_lli,@function
_ZN12_GLOBAL__N_135rocblas_gemm_batched_general_kernelIfLi16ELi16ELi32ELi32ELi8ELi32ELi8ELi8ELi32ELc84ELc78EKfS1_fEEvlllT_PT11_llS4_llS2_PT12_llPT13_lli: ; @_ZN12_GLOBAL__N_135rocblas_gemm_batched_general_kernelIfLi16ELi16ELi32ELi32ELi8ELi32ELi8ELi8ELi32ELc84ELc78EKfS1_fEEvlllT_PT11_llS4_llS2_PT12_llPT13_lli
; %bb.0:
	s_clause 0x1
	s_load_dwordx2 s[10:11], s[4:5], 0x10
	s_load_dwordx4 s[20:23], s[4:5], 0x0
	s_mov_b32 s0, s7
	v_mov_b32_e32 v10, 0
	v_mov_b32_e32 v9, 0
	;; [unrolled: 1-line block ×4, first 2 shown]
	s_ashr_i32 s7, s6, 31
	s_ashr_i32 s1, s0, 31
	s_lshl_b64 s[6:7], s[6:7], 5
	s_waitcnt lgkmcnt(0)
	v_cmp_lt_i64_e64 s2, s[10:11], 1
	s_and_b32 vcc_lo, exec_lo, s2
	s_lshl_b64 s[2:3], s[0:1], 5
	s_cbranch_vccnz .LBB50_7
; %bb.1:
	s_load_dwordx4 s[24:27], s[4:5], 0x40
	v_lshl_add_u32 v2, v1, 4, v0
	s_load_dwordx8 s[12:19], s[4:5], 0x20
	v_and_b32_e32 v6, 7, v0
	v_mov_b32_e32 v3, s7
	v_mov_b32_e32 v7, 0
	v_lshrrev_b32_e32 v9, 3, v2
	v_and_b32_e32 v8, 31, v2
	v_lshlrev_b32_e32 v10, 2, v6
	v_lshrrev_b32_e32 v11, 5, v2
	v_add_co_u32 v4, s0, v9, s2
	v_or_b32_e32 v2, s6, v8
	v_add_co_ci_u32_e64 v5, null, 0, s3, s0
	v_lshlrev_b32_e32 v12, 2, v8
	v_add_co_u32 v8, s1, s6, v8
	v_lshl_or_b32 v9, v9, 5, v10
	v_add_co_ci_u32_e64 v14, null, s7, 0, s1
	v_cmp_gt_i64_e64 s0, s[20:21], v[2:3]
	s_waitcnt lgkmcnt(0)
	v_mul_lo_u32 v15, s25, v4
	v_mul_lo_u32 v16, s24, v5
	v_mad_u64_u32 v[2:3], null, s24, v4, 0
	v_cmp_gt_i64_e64 s1, s[22:23], v[4:5]
	v_add_nc_u32_e32 v13, 0x400, v9
	v_mul_lo_u32 v9, s15, v8
	v_mul_lo_u32 v17, s14, v14
	v_mad_u64_u32 v[4:5], null, s14, v8, 0
	v_add3_u32 v3, v3, v16, v15
	s_mul_i32 s9, s27, s8
	s_mul_hi_u32 s14, s26, s8
	v_lshlrev_b32_e32 v8, 2, v11
	s_add_i32 s15, s14, s9
	v_lshlrev_b64 v[2:3], 2, v[2:3]
	v_add3_u32 v5, v5, v17, v9
	s_mul_i32 s14, s26, s8
	s_mul_i32 s9, s17, s8
	s_lshl_b64 s[14:15], s[14:15], 2
	s_mul_hi_u32 s17, s16, s8
	v_lshlrev_b64 v[4:5], 2, v[4:5]
	s_add_i32 s17, s17, s9
	s_mul_i32 s16, s16, s8
	v_add_co_u32 v2, vcc_lo, v2, s14
	v_add_co_ci_u32_e64 v3, null, s15, v3, vcc_lo
	s_lshl_b64 s[14:15], s[16:17], 2
	v_lshl_or_b32 v12, v11, 7, v12
	v_add_co_u32 v4, vcc_lo, v4, s14
	v_add_co_ci_u32_e64 v5, null, s15, v5, vcc_lo
	v_add_co_u32 v2, vcc_lo, v2, v10
	v_add_co_ci_u32_e64 v3, null, 0, v3, vcc_lo
	;; [unrolled: 2-line block ×4, first 2 shown]
	v_add_co_u32 v4, vcc_lo, s12, v4
	v_lshlrev_b32_e32 v14, 2, v0
	v_lshl_add_u32 v15, v1, 5, 0x400
	v_add_co_ci_u32_e64 v5, null, s13, v5, vcc_lo
	v_mov_b32_e32 v8, 0
	v_mov_b32_e32 v9, 0
	;; [unrolled: 1-line block ×3, first 2 shown]
	s_mov_b64 s[12:13], 0
	s_branch .LBB50_3
.LBB50_2:                               ;   in Loop: Header=BB50_3 Depth=1
	s_or_b32 exec_lo, exec_lo, s9
	s_waitcnt vmcnt(0)
	ds_write_b32 v13, v17
	s_waitcnt lgkmcnt(0)
	s_barrier
	buffer_gl0_inv
	ds_read_b128 v[16:19], v15
	ds_read2_b32 v[32:33], v14 offset1:16
	ds_read_b128 v[20:23], v15 offset:512
	ds_read2_b32 v[34:35], v14 offset0:32 offset1:48
	ds_read2_b32 v[36:37], v14 offset0:64 offset1:80
	;; [unrolled: 1-line block ×3, first 2 shown]
	ds_read_b128 v[24:27], v15 offset:16
	ds_read2_b32 v[40:41], v14 offset0:128 offset1:144
	ds_read_b128 v[28:31], v15 offset:528
	ds_read2_b32 v[42:43], v14 offset0:160 offset1:176
	s_add_u32 s12, s12, 8
	s_addc_u32 s13, s13, 0
	v_add_co_u32 v2, vcc_lo, v2, 32
	v_cmp_lt_i64_e64 s9, s[12:13], s[10:11]
	v_add_co_ci_u32_e64 v3, null, 0, v3, vcc_lo
	v_add_co_u32 v4, vcc_lo, v4, 32
	v_add_co_ci_u32_e64 v5, null, 0, v5, vcc_lo
	s_waitcnt lgkmcnt(8)
	v_fmac_f32_e32 v10, v32, v16
	v_fmac_f32_e32 v9, v33, v16
	s_waitcnt lgkmcnt(7)
	v_fmac_f32_e32 v8, v32, v20
	v_fmac_f32_e32 v7, v33, v20
	ds_read2_b32 v[32:33], v14 offset0:192 offset1:208
	s_waitcnt lgkmcnt(7)
	v_fmac_f32_e32 v10, v34, v17
	v_fmac_f32_e32 v9, v35, v17
	v_fmac_f32_e32 v8, v34, v21
	v_fmac_f32_e32 v7, v35, v21
	ds_read2_b32 v[16:17], v14 offset0:224 offset1:240
	s_waitcnt lgkmcnt(7)
	v_fmac_f32_e32 v10, v36, v18
	v_fmac_f32_e32 v9, v37, v18
	;; [unrolled: 1-line block ×4, first 2 shown]
	s_and_b32 vcc_lo, exec_lo, s9
	s_waitcnt lgkmcnt(6)
	v_fmac_f32_e32 v10, v38, v19
	v_fmac_f32_e32 v9, v39, v19
	;; [unrolled: 1-line block ×4, first 2 shown]
	s_waitcnt lgkmcnt(0)
	v_fmac_f32_e32 v10, v40, v24
	v_fmac_f32_e32 v9, v41, v24
	;; [unrolled: 1-line block ×4, first 2 shown]
	s_barrier
	v_fmac_f32_e32 v10, v42, v25
	v_fmac_f32_e32 v9, v43, v25
	;; [unrolled: 1-line block ×4, first 2 shown]
	buffer_gl0_inv
	v_fmac_f32_e32 v10, v32, v26
	v_fmac_f32_e32 v9, v33, v26
	v_fmac_f32_e32 v8, v32, v30
	v_fmac_f32_e32 v7, v33, v30
	v_fmac_f32_e32 v10, v16, v27
	v_fmac_f32_e32 v9, v17, v27
	v_fmac_f32_e32 v8, v16, v31
	v_fmac_f32_e32 v7, v17, v31
	s_cbranch_vccz .LBB50_7
.LBB50_3:                               ; =>This Inner Loop Header: Depth=1
	v_add_co_u32 v16, s9, v11, s12
	v_add_co_ci_u32_e64 v17, null, 0, s13, s9
	v_cmp_gt_i64_e32 vcc_lo, s[10:11], v[16:17]
	v_mov_b32_e32 v16, 0
	s_and_b32 s14, s0, vcc_lo
	s_and_saveexec_b32 s9, s14
	s_cbranch_execz .LBB50_5
; %bb.4:                                ;   in Loop: Header=BB50_3 Depth=1
	global_load_dword v16, v[4:5], off
.LBB50_5:                               ;   in Loop: Header=BB50_3 Depth=1
	s_or_b32 exec_lo, exec_lo, s9
	v_add_co_u32 v17, s9, v6, s12
	v_add_co_ci_u32_e64 v18, null, 0, s13, s9
	s_waitcnt vmcnt(0)
	ds_write_b32 v12, v16
	v_cmp_gt_i64_e32 vcc_lo, s[10:11], v[17:18]
	v_mov_b32_e32 v17, 0
	s_and_b32 s14, vcc_lo, s1
	s_and_saveexec_b32 s9, s14
	s_cbranch_execz .LBB50_2
; %bb.6:                                ;   in Loop: Header=BB50_3 Depth=1
	global_load_dword v17, v[2:3], off
	s_branch .LBB50_2
.LBB50_7:
	s_clause 0x3
	s_load_dwordx4 s[24:27], s[4:5], 0x78
	s_load_dword s9, s[4:5], 0x50
	s_load_dwordx8 s[12:19], s[4:5], 0x58
	s_load_dword s4, s[4:5], 0x18
	v_add_co_u32 v1, s0, s2, v1
	v_add_co_ci_u32_e64 v2, null, s3, 0, s0
	s_waitcnt lgkmcnt(0)
	s_mul_i32 s1, s27, s8
	s_mul_hi_u32 s2, s26, s8
	s_mul_i32 s0, s26, s8
	s_add_i32 s1, s2, s1
	v_cmp_neq_f32_e64 s2, s9, 0
	s_lshl_b64 s[10:11], s[0:1], 2
	v_cmp_gt_i64_e64 s0, s[22:23], v[1:2]
	s_add_u32 s3, s18, s10
	s_addc_u32 s5, s19, s11
	s_and_b32 vcc_lo, exec_lo, s2
	s_cbranch_vccnz .LBB50_20
; %bb.8:
	s_and_saveexec_b32 s10, s0
	s_cbranch_execz .LBB50_18
; %bb.9:
	v_mul_lo_u32 v5, v2, s24
	v_mul_lo_u32 v6, v1, s25
	v_mad_u64_u32 v[3:4], null, v1, s24, 0
	v_add3_u32 v4, v4, v6, v5
	v_add_co_u32 v5, s1, s6, v0
	v_add_co_ci_u32_e64 v6, null, s7, 0, s1
	v_lshlrev_b64 v[11:12], 2, v[3:4]
	v_cmp_gt_i64_e32 vcc_lo, s[20:21], v[5:6]
	v_lshlrev_b64 v[3:4], 2, v[5:6]
	v_add_co_u32 v11, s1, s3, v11
	v_add_co_ci_u32_e64 v12, null, s5, v12, s1
	s_and_saveexec_b32 s2, vcc_lo
	s_cbranch_execz .LBB50_11
; %bb.10:
	v_add_co_u32 v13, s1, v11, v3
	v_add_co_ci_u32_e64 v14, null, v12, v4, s1
	v_mul_f32_e32 v15, s4, v10
	global_store_dword v[13:14], v15, off
.LBB50_11:
	s_or_b32 exec_lo, exec_lo, s2
	v_add_co_u32 v5, s1, v5, 16
	v_add_co_ci_u32_e64 v6, null, 0, v6, s1
	v_cmp_gt_i64_e64 s1, s[20:21], v[5:6]
	s_and_saveexec_b32 s11, s1
	s_cbranch_execz .LBB50_13
; %bb.12:
	v_add_co_u32 v5, s2, v11, v3
	v_add_co_ci_u32_e64 v6, null, v12, v4, s2
	v_mul_f32_e32 v13, s4, v9
	global_store_dword v[5:6], v13, off offset:64
.LBB50_13:
	s_or_b32 exec_lo, exec_lo, s11
	v_add_co_u32 v5, s2, v1, 16
	v_add_co_ci_u32_e64 v6, null, 0, v2, s2
	v_cmp_gt_i64_e64 s2, s[22:23], v[5:6]
	s_and_b32 exec_lo, exec_lo, s2
	s_cbranch_execz .LBB50_18
; %bb.14:
	s_lshl_b64 s[18:19], s[24:25], 6
	v_add_co_u32 v5, s2, v11, s18
	v_add_co_ci_u32_e64 v6, null, s19, v12, s2
	v_add_co_u32 v3, s2, v5, v3
	v_add_co_ci_u32_e64 v4, null, v6, v4, s2
	s_and_saveexec_b32 s2, vcc_lo
	s_cbranch_execz .LBB50_16
; %bb.15:
	v_mul_f32_e32 v5, s4, v8
	global_store_dword v[3:4], v5, off
.LBB50_16:
	s_or_b32 exec_lo, exec_lo, s2
	s_and_b32 exec_lo, exec_lo, s1
	s_cbranch_execz .LBB50_18
; %bb.17:
	v_mul_f32_e32 v5, s4, v7
	global_store_dword v[3:4], v5, off offset:64
.LBB50_18:
	s_or_b32 exec_lo, exec_lo, s10
	s_cbranch_execz .LBB50_21
.LBB50_19:
	s_endpgm
.LBB50_20:
.LBB50_21:
	s_and_saveexec_b32 s1, s0
	s_cbranch_execz .LBB50_19
; %bb.22:
	v_mul_lo_u32 v5, v2, s14
	v_mul_lo_u32 v6, v1, s15
	v_mad_u64_u32 v[3:4], null, v1, s14, 0
	v_mul_lo_u32 v13, v2, s24
	v_mul_lo_u32 v14, v1, s25
	v_mad_u64_u32 v[11:12], null, v1, s24, 0
	s_mul_i32 s0, s17, s8
	s_mul_hi_u32 s1, s16, s8
	v_add3_u32 v4, v4, v6, v5
	s_add_i32 s1, s1, s0
	s_mul_i32 s0, s16, s8
	v_add_co_u32 v5, s2, s6, v0
	v_add3_u32 v12, v12, v14, v13
	v_lshlrev_b64 v[3:4], 2, v[3:4]
	s_lshl_b64 s[0:1], s[0:1], 2
	v_add_co_ci_u32_e64 v6, null, s7, 0, s2
	v_lshlrev_b64 v[12:13], 2, v[11:12]
	s_add_u32 s0, s12, s0
	s_addc_u32 s1, s13, s1
	v_add_co_u32 v0, s0, s0, v3
	v_add_co_ci_u32_e64 v11, null, s1, v4, s0
	v_add_co_u32 v12, s0, s3, v12
	v_cmp_gt_i64_e32 vcc_lo, s[20:21], v[5:6]
	v_lshlrev_b64 v[3:4], 2, v[5:6]
	v_add_co_ci_u32_e64 v13, null, s5, v13, s0
	s_and_saveexec_b32 s1, vcc_lo
	s_cbranch_execz .LBB50_24
; %bb.23:
	v_add_co_u32 v14, s0, v0, v3
	v_add_co_ci_u32_e64 v15, null, v11, v4, s0
	global_load_dword v14, v[14:15], off
	s_waitcnt vmcnt(0)
	v_mul_f32_e32 v16, s9, v14
	v_add_co_u32 v14, s0, v12, v3
	v_add_co_ci_u32_e64 v15, null, v13, v4, s0
	v_fmac_f32_e32 v16, s4, v10
	global_store_dword v[14:15], v16, off
.LBB50_24:
	s_or_b32 exec_lo, exec_lo, s1
	v_add_co_u32 v5, s0, v5, 16
	v_add_co_ci_u32_e64 v6, null, 0, v6, s0
	v_cmp_gt_i64_e64 s0, s[20:21], v[5:6]
	s_and_saveexec_b32 s2, s0
	s_cbranch_execz .LBB50_26
; %bb.25:
	v_add_co_u32 v5, s1, v0, v3
	v_add_co_ci_u32_e64 v6, null, v11, v4, s1
	global_load_dword v5, v[5:6], off offset:64
	s_waitcnt vmcnt(0)
	v_mul_f32_e32 v10, s9, v5
	v_add_co_u32 v5, s1, v12, v3
	v_add_co_ci_u32_e64 v6, null, v13, v4, s1
	v_fmac_f32_e32 v10, s4, v9
	global_store_dword v[5:6], v10, off offset:64
.LBB50_26:
	s_or_b32 exec_lo, exec_lo, s2
	v_add_co_u32 v1, s1, v1, 16
	v_add_co_ci_u32_e64 v2, null, 0, v2, s1
	v_cmp_gt_i64_e64 s1, s[22:23], v[1:2]
	s_and_b32 exec_lo, exec_lo, s1
	s_cbranch_execz .LBB50_19
; %bb.27:
	s_lshl_b64 s[2:3], s[14:15], 6
	v_add_co_u32 v0, s1, v0, s2
	v_add_co_ci_u32_e64 v1, null, s3, v11, s1
	s_lshl_b64 s[2:3], s[24:25], 6
	v_add_co_u32 v2, s1, v12, s2
	v_add_co_ci_u32_e64 v5, null, s3, v13, s1
	v_add_co_u32 v0, s1, v0, v3
	v_add_co_ci_u32_e64 v1, null, v1, v4, s1
	;; [unrolled: 2-line block ×3, first 2 shown]
	s_and_saveexec_b32 s1, vcc_lo
	s_cbranch_execz .LBB50_29
; %bb.28:
	global_load_dword v4, v[0:1], off
	s_waitcnt vmcnt(0)
	v_mul_f32_e32 v4, s9, v4
	v_fmac_f32_e32 v4, s4, v8
	global_store_dword v[2:3], v4, off
.LBB50_29:
	s_or_b32 exec_lo, exec_lo, s1
	s_and_b32 exec_lo, exec_lo, s0
	s_cbranch_execz .LBB50_19
; %bb.30:
	global_load_dword v0, v[0:1], off offset:64
	s_waitcnt vmcnt(0)
	v_mul_f32_e32 v0, s9, v0
	v_fmac_f32_e32 v0, s4, v7
	global_store_dword v[2:3], v0, off offset:64
	s_endpgm
	.section	.rodata,"a",@progbits
	.p2align	6, 0x0
	.amdhsa_kernel _ZN12_GLOBAL__N_135rocblas_gemm_batched_general_kernelIfLi16ELi16ELi32ELi32ELi8ELi32ELi8ELi8ELi32ELc84ELc78EKfS1_fEEvlllT_PT11_llS4_llS2_PT12_llPT13_lli
		.amdhsa_group_segment_fixed_size 2048
		.amdhsa_private_segment_fixed_size 0
		.amdhsa_kernarg_size 140
		.amdhsa_user_sgpr_count 6
		.amdhsa_user_sgpr_private_segment_buffer 1
		.amdhsa_user_sgpr_dispatch_ptr 0
		.amdhsa_user_sgpr_queue_ptr 0
		.amdhsa_user_sgpr_kernarg_segment_ptr 1
		.amdhsa_user_sgpr_dispatch_id 0
		.amdhsa_user_sgpr_flat_scratch_init 0
		.amdhsa_user_sgpr_private_segment_size 0
		.amdhsa_wavefront_size32 1
		.amdhsa_uses_dynamic_stack 0
		.amdhsa_system_sgpr_private_segment_wavefront_offset 0
		.amdhsa_system_sgpr_workgroup_id_x 1
		.amdhsa_system_sgpr_workgroup_id_y 1
		.amdhsa_system_sgpr_workgroup_id_z 1
		.amdhsa_system_sgpr_workgroup_info 0
		.amdhsa_system_vgpr_workitem_id 1
		.amdhsa_next_free_vgpr 44
		.amdhsa_next_free_sgpr 28
		.amdhsa_reserve_vcc 1
		.amdhsa_reserve_flat_scratch 0
		.amdhsa_float_round_mode_32 0
		.amdhsa_float_round_mode_16_64 0
		.amdhsa_float_denorm_mode_32 3
		.amdhsa_float_denorm_mode_16_64 3
		.amdhsa_dx10_clamp 1
		.amdhsa_ieee_mode 1
		.amdhsa_fp16_overflow 0
		.amdhsa_workgroup_processor_mode 1
		.amdhsa_memory_ordered 1
		.amdhsa_forward_progress 1
		.amdhsa_shared_vgpr_count 0
		.amdhsa_exception_fp_ieee_invalid_op 0
		.amdhsa_exception_fp_denorm_src 0
		.amdhsa_exception_fp_ieee_div_zero 0
		.amdhsa_exception_fp_ieee_overflow 0
		.amdhsa_exception_fp_ieee_underflow 0
		.amdhsa_exception_fp_ieee_inexact 0
		.amdhsa_exception_int_div_zero 0
	.end_amdhsa_kernel
	.section	.text._ZN12_GLOBAL__N_135rocblas_gemm_batched_general_kernelIfLi16ELi16ELi32ELi32ELi8ELi32ELi8ELi8ELi32ELc84ELc78EKfS1_fEEvlllT_PT11_llS4_llS2_PT12_llPT13_lli,"axG",@progbits,_ZN12_GLOBAL__N_135rocblas_gemm_batched_general_kernelIfLi16ELi16ELi32ELi32ELi8ELi32ELi8ELi8ELi32ELc84ELc78EKfS1_fEEvlllT_PT11_llS4_llS2_PT12_llPT13_lli,comdat
.Lfunc_end50:
	.size	_ZN12_GLOBAL__N_135rocblas_gemm_batched_general_kernelIfLi16ELi16ELi32ELi32ELi8ELi32ELi8ELi8ELi32ELc84ELc78EKfS1_fEEvlllT_PT11_llS4_llS2_PT12_llPT13_lli, .Lfunc_end50-_ZN12_GLOBAL__N_135rocblas_gemm_batched_general_kernelIfLi16ELi16ELi32ELi32ELi8ELi32ELi8ELi8ELi32ELc84ELc78EKfS1_fEEvlllT_PT11_llS4_llS2_PT12_llPT13_lli
                                        ; -- End function
	.set _ZN12_GLOBAL__N_135rocblas_gemm_batched_general_kernelIfLi16ELi16ELi32ELi32ELi8ELi32ELi8ELi8ELi32ELc84ELc78EKfS1_fEEvlllT_PT11_llS4_llS2_PT12_llPT13_lli.num_vgpr, 44
	.set _ZN12_GLOBAL__N_135rocblas_gemm_batched_general_kernelIfLi16ELi16ELi32ELi32ELi8ELi32ELi8ELi8ELi32ELc84ELc78EKfS1_fEEvlllT_PT11_llS4_llS2_PT12_llPT13_lli.num_agpr, 0
	.set _ZN12_GLOBAL__N_135rocblas_gemm_batched_general_kernelIfLi16ELi16ELi32ELi32ELi8ELi32ELi8ELi8ELi32ELc84ELc78EKfS1_fEEvlllT_PT11_llS4_llS2_PT12_llPT13_lli.numbered_sgpr, 28
	.set _ZN12_GLOBAL__N_135rocblas_gemm_batched_general_kernelIfLi16ELi16ELi32ELi32ELi8ELi32ELi8ELi8ELi32ELc84ELc78EKfS1_fEEvlllT_PT11_llS4_llS2_PT12_llPT13_lli.num_named_barrier, 0
	.set _ZN12_GLOBAL__N_135rocblas_gemm_batched_general_kernelIfLi16ELi16ELi32ELi32ELi8ELi32ELi8ELi8ELi32ELc84ELc78EKfS1_fEEvlllT_PT11_llS4_llS2_PT12_llPT13_lli.private_seg_size, 0
	.set _ZN12_GLOBAL__N_135rocblas_gemm_batched_general_kernelIfLi16ELi16ELi32ELi32ELi8ELi32ELi8ELi8ELi32ELc84ELc78EKfS1_fEEvlllT_PT11_llS4_llS2_PT12_llPT13_lli.uses_vcc, 1
	.set _ZN12_GLOBAL__N_135rocblas_gemm_batched_general_kernelIfLi16ELi16ELi32ELi32ELi8ELi32ELi8ELi8ELi32ELc84ELc78EKfS1_fEEvlllT_PT11_llS4_llS2_PT12_llPT13_lli.uses_flat_scratch, 0
	.set _ZN12_GLOBAL__N_135rocblas_gemm_batched_general_kernelIfLi16ELi16ELi32ELi32ELi8ELi32ELi8ELi8ELi32ELc84ELc78EKfS1_fEEvlllT_PT11_llS4_llS2_PT12_llPT13_lli.has_dyn_sized_stack, 0
	.set _ZN12_GLOBAL__N_135rocblas_gemm_batched_general_kernelIfLi16ELi16ELi32ELi32ELi8ELi32ELi8ELi8ELi32ELc84ELc78EKfS1_fEEvlllT_PT11_llS4_llS2_PT12_llPT13_lli.has_recursion, 0
	.set _ZN12_GLOBAL__N_135rocblas_gemm_batched_general_kernelIfLi16ELi16ELi32ELi32ELi8ELi32ELi8ELi8ELi32ELc84ELc78EKfS1_fEEvlllT_PT11_llS4_llS2_PT12_llPT13_lli.has_indirect_call, 0
	.section	.AMDGPU.csdata,"",@progbits
; Kernel info:
; codeLenInByte = 1880
; TotalNumSgprs: 30
; NumVgprs: 44
; ScratchSize: 0
; MemoryBound: 0
; FloatMode: 240
; IeeeMode: 1
; LDSByteSize: 2048 bytes/workgroup (compile time only)
; SGPRBlocks: 0
; VGPRBlocks: 5
; NumSGPRsForWavesPerEU: 30
; NumVGPRsForWavesPerEU: 44
; Occupancy: 16
; WaveLimiterHint : 0
; COMPUTE_PGM_RSRC2:SCRATCH_EN: 0
; COMPUTE_PGM_RSRC2:USER_SGPR: 6
; COMPUTE_PGM_RSRC2:TRAP_HANDLER: 0
; COMPUTE_PGM_RSRC2:TGID_X_EN: 1
; COMPUTE_PGM_RSRC2:TGID_Y_EN: 1
; COMPUTE_PGM_RSRC2:TGID_Z_EN: 1
; COMPUTE_PGM_RSRC2:TIDIG_COMP_CNT: 1
	.section	.text._ZN12_GLOBAL__N_135rocblas_gemm_batched_general_kernelIfLi16ELi16ELi32ELi32ELi8ELi32ELi8ELi8ELi32ELc78ELc84EKfS1_fEEvlllT_PT11_llS4_llS2_PT12_llPT13_lli,"axG",@progbits,_ZN12_GLOBAL__N_135rocblas_gemm_batched_general_kernelIfLi16ELi16ELi32ELi32ELi8ELi32ELi8ELi8ELi32ELc78ELc84EKfS1_fEEvlllT_PT11_llS4_llS2_PT12_llPT13_lli,comdat
	.globl	_ZN12_GLOBAL__N_135rocblas_gemm_batched_general_kernelIfLi16ELi16ELi32ELi32ELi8ELi32ELi8ELi8ELi32ELc78ELc84EKfS1_fEEvlllT_PT11_llS4_llS2_PT12_llPT13_lli ; -- Begin function _ZN12_GLOBAL__N_135rocblas_gemm_batched_general_kernelIfLi16ELi16ELi32ELi32ELi8ELi32ELi8ELi8ELi32ELc78ELc84EKfS1_fEEvlllT_PT11_llS4_llS2_PT12_llPT13_lli
	.p2align	8
	.type	_ZN12_GLOBAL__N_135rocblas_gemm_batched_general_kernelIfLi16ELi16ELi32ELi32ELi8ELi32ELi8ELi8ELi32ELc78ELc84EKfS1_fEEvlllT_PT11_llS4_llS2_PT12_llPT13_lli,@function
_ZN12_GLOBAL__N_135rocblas_gemm_batched_general_kernelIfLi16ELi16ELi32ELi32ELi8ELi32ELi8ELi8ELi32ELc78ELc84EKfS1_fEEvlllT_PT11_llS4_llS2_PT12_llPT13_lli: ; @_ZN12_GLOBAL__N_135rocblas_gemm_batched_general_kernelIfLi16ELi16ELi32ELi32ELi8ELi32ELi8ELi8ELi32ELc78ELc84EKfS1_fEEvlllT_PT11_llS4_llS2_PT12_llPT13_lli
; %bb.0:
	s_clause 0x1
	s_load_dwordx2 s[28:29], s[4:5], 0x10
	s_load_dwordx4 s[20:23], s[4:5], 0x0
	s_mov_b32 s0, s7
	v_mov_b32_e32 v10, 0
	v_mov_b32_e32 v9, 0
	;; [unrolled: 1-line block ×4, first 2 shown]
	s_ashr_i32 s7, s6, 31
	s_ashr_i32 s1, s0, 31
	s_lshl_b64 s[10:11], s[6:7], 5
	s_waitcnt lgkmcnt(0)
	v_cmp_lt_i64_e64 s2, s[28:29], 1
	s_and_b32 vcc_lo, exec_lo, s2
	s_lshl_b64 s[2:3], s[0:1], 5
	s_cbranch_vccnz .LBB51_7
; %bb.1:
	s_clause 0x1
	s_load_dwordx4 s[24:27], s[4:5], 0x40
	s_load_dwordx8 s[12:19], s[4:5], 0x20
	v_lshl_add_u32 v2, v1, 4, v0
	v_and_b32_e32 v6, 7, v0
	v_mov_b32_e32 v3, s11
	s_lshl_b64 s[30:31], s[0:1], 7
	v_mov_b32_e32 v7, 0
	v_and_b32_e32 v4, 31, v2
	v_lshrrev_b32_e32 v13, 5, v2
	v_lshrrev_b32_e32 v10, 3, v2
	v_lshlrev_b32_e32 v14, 2, v6
	v_lshlrev_b32_e32 v11, 2, v0
	v_or_b32_e32 v2, s10, v4
	v_lshlrev_b32_e32 v18, 2, v4
	v_add_co_u32 v8, s0, v10, s2
	v_add_co_ci_u32_e64 v9, null, 0, s3, s0
	v_cmp_gt_i64_e64 s0, s[20:21], v[2:3]
	v_lshl_or_b32 v15, v10, 5, v14
	s_waitcnt lgkmcnt(0)
	v_mad_u64_u32 v[4:5], null, s24, v6, 0
	v_mad_u64_u32 v[16:17], null, s14, v13, 0
	s_mul_i32 s9, s27, s8
	s_mul_hi_u32 s27, s26, s8
	s_mul_i32 s26, s26, s8
	s_add_i32 s27, s27, s9
	v_mov_b32_e32 v2, v5
	s_lshl_b64 s[26:27], s[26:27], 2
	s_mul_i32 s17, s17, s8
	s_mul_hi_u32 s33, s16, s8
	s_add_u32 s9, s30, s26
	v_mad_u64_u32 v[2:3], null, s25, v6, v[2:3]
	v_mov_b32_e32 v3, v17
	s_mul_i32 s16, s16, s8
	s_addc_u32 s26, s31, s27
	s_add_i32 s17, s33, s17
	v_lshlrev_b32_e32 v10, 2, v10
	s_lshl_b64 s[16:17], s[16:17], 2
	v_mov_b32_e32 v5, v2
	v_mad_u64_u32 v[2:3], null, s15, v13, v[3:4]
	v_cmp_gt_i64_e64 s1, s[22:23], v[8:9]
	v_lshl_add_u32 v12, v1, 5, 0x400
	v_lshlrev_b64 v[3:4], 2, v[4:5]
	v_lshl_or_b32 v14, v13, 7, v18
	v_add_nc_u32_e32 v15, 0x400, v15
	v_mov_b32_e32 v17, v2
	v_add_co_u32 v5, vcc_lo, s9, v3
	v_add_co_ci_u32_e64 v4, null, s26, v4, vcc_lo
	v_lshlrev_b64 v[2:3], 2, v[16:17]
	s_lshl_b64 s[26:27], s[6:7], 7
	s_lshl_b64 s[6:7], s[24:25], 5
	s_add_u32 s9, s26, s16
	s_addc_u32 s16, s27, s17
	v_add_co_u32 v2, vcc_lo, s9, v2
	v_add_co_ci_u32_e64 v3, null, s16, v3, vcc_lo
	v_add_co_u32 v5, vcc_lo, v5, v10
	v_add_co_ci_u32_e64 v4, null, 0, v4, vcc_lo
	;; [unrolled: 2-line block ×5, first 2 shown]
	v_mov_b32_e32 v8, 0
	v_mov_b32_e32 v9, 0
	;; [unrolled: 1-line block ×3, first 2 shown]
	s_lshl_b64 s[12:13], s[14:15], 5
	s_mov_b64 s[14:15], 0
	s_branch .LBB51_3
.LBB51_2:                               ;   in Loop: Header=BB51_3 Depth=1
	s_or_b32 exec_lo, exec_lo, s9
	s_waitcnt vmcnt(0)
	ds_write_b32 v15, v17
	s_waitcnt lgkmcnt(0)
	s_barrier
	buffer_gl0_inv
	ds_read_b128 v[16:19], v12
	ds_read2_b32 v[32:33], v11 offset1:16
	ds_read_b128 v[20:23], v12 offset:512
	ds_read2_b32 v[34:35], v11 offset0:32 offset1:48
	ds_read2_b32 v[36:37], v11 offset0:64 offset1:80
	ds_read2_b32 v[38:39], v11 offset0:96 offset1:112
	ds_read_b128 v[24:27], v12 offset:16
	ds_read2_b32 v[40:41], v11 offset0:128 offset1:144
	ds_read_b128 v[28:31], v12 offset:528
	ds_read2_b32 v[42:43], v11 offset0:160 offset1:176
	s_add_u32 s14, s14, 8
	s_addc_u32 s15, s15, 0
	v_add_co_u32 v2, vcc_lo, v2, s6
	v_cmp_lt_i64_e64 s9, s[14:15], s[28:29]
	v_add_co_ci_u32_e64 v3, null, s7, v3, vcc_lo
	v_add_co_u32 v4, vcc_lo, v4, s12
	v_add_co_ci_u32_e64 v5, null, s13, v5, vcc_lo
	s_waitcnt lgkmcnt(8)
	v_fmac_f32_e32 v10, v32, v16
	v_fmac_f32_e32 v9, v33, v16
	s_waitcnt lgkmcnt(7)
	v_fmac_f32_e32 v8, v32, v20
	v_fmac_f32_e32 v7, v33, v20
	ds_read2_b32 v[32:33], v11 offset0:192 offset1:208
	s_waitcnt lgkmcnt(7)
	v_fmac_f32_e32 v10, v34, v17
	v_fmac_f32_e32 v9, v35, v17
	;; [unrolled: 1-line block ×4, first 2 shown]
	ds_read2_b32 v[16:17], v11 offset0:224 offset1:240
	s_waitcnt lgkmcnt(7)
	v_fmac_f32_e32 v10, v36, v18
	v_fmac_f32_e32 v9, v37, v18
	v_fmac_f32_e32 v8, v36, v22
	v_fmac_f32_e32 v7, v37, v22
	s_and_b32 vcc_lo, exec_lo, s9
	s_waitcnt lgkmcnt(6)
	v_fmac_f32_e32 v10, v38, v19
	v_fmac_f32_e32 v9, v39, v19
	;; [unrolled: 1-line block ×4, first 2 shown]
	s_waitcnt lgkmcnt(0)
	v_fmac_f32_e32 v10, v40, v24
	v_fmac_f32_e32 v9, v41, v24
	;; [unrolled: 1-line block ×4, first 2 shown]
	s_barrier
	v_fmac_f32_e32 v10, v42, v25
	v_fmac_f32_e32 v9, v43, v25
	;; [unrolled: 1-line block ×4, first 2 shown]
	buffer_gl0_inv
	v_fmac_f32_e32 v10, v32, v26
	v_fmac_f32_e32 v9, v33, v26
	;; [unrolled: 1-line block ×8, first 2 shown]
	s_cbranch_vccz .LBB51_7
.LBB51_3:                               ; =>This Inner Loop Header: Depth=1
	v_add_co_u32 v16, s9, v13, s14
	v_add_co_ci_u32_e64 v17, null, 0, s15, s9
	v_cmp_gt_i64_e32 vcc_lo, s[28:29], v[16:17]
	v_mov_b32_e32 v16, 0
	s_and_b32 s16, s0, vcc_lo
	s_and_saveexec_b32 s9, s16
	s_cbranch_execz .LBB51_5
; %bb.4:                                ;   in Loop: Header=BB51_3 Depth=1
	global_load_dword v16, v[4:5], off
.LBB51_5:                               ;   in Loop: Header=BB51_3 Depth=1
	s_or_b32 exec_lo, exec_lo, s9
	v_add_co_u32 v17, s9, v6, s14
	v_add_co_ci_u32_e64 v18, null, 0, s15, s9
	s_waitcnt vmcnt(0)
	ds_write_b32 v14, v16
	v_cmp_gt_i64_e32 vcc_lo, s[28:29], v[17:18]
	v_mov_b32_e32 v17, 0
	s_and_b32 s16, vcc_lo, s1
	s_and_saveexec_b32 s9, s16
	s_cbranch_execz .LBB51_2
; %bb.6:                                ;   in Loop: Header=BB51_3 Depth=1
	global_load_dword v17, v[2:3], off
	s_branch .LBB51_2
.LBB51_7:
	s_clause 0x3
	s_load_dwordx4 s[24:27], s[4:5], 0x78
	s_load_dword s6, s[4:5], 0x50
	s_load_dwordx8 s[12:19], s[4:5], 0x58
	s_load_dword s4, s[4:5], 0x18
	v_add_co_u32 v1, s0, s2, v1
	v_add_co_ci_u32_e64 v2, null, s3, 0, s0
	s_waitcnt lgkmcnt(0)
	s_mul_i32 s1, s27, s8
	s_mul_hi_u32 s2, s26, s8
	s_mul_i32 s0, s26, s8
	s_add_i32 s1, s2, s1
	v_cmp_neq_f32_e64 s2, s6, 0
	s_lshl_b64 s[26:27], s[0:1], 2
	v_cmp_gt_i64_e64 s0, s[22:23], v[1:2]
	s_add_u32 s3, s18, s26
	s_addc_u32 s5, s19, s27
	s_and_b32 vcc_lo, exec_lo, s2
	s_cbranch_vccnz .LBB51_20
; %bb.8:
	s_and_saveexec_b32 s7, s0
	s_cbranch_execz .LBB51_18
; %bb.9:
	v_mul_lo_u32 v5, v2, s24
	v_mul_lo_u32 v6, v1, s25
	v_mad_u64_u32 v[3:4], null, v1, s24, 0
	v_add3_u32 v4, v4, v6, v5
	v_add_co_u32 v5, s1, s10, v0
	v_add_co_ci_u32_e64 v6, null, s11, 0, s1
	v_lshlrev_b64 v[11:12], 2, v[3:4]
	v_cmp_gt_i64_e32 vcc_lo, s[20:21], v[5:6]
	v_lshlrev_b64 v[3:4], 2, v[5:6]
	v_add_co_u32 v11, s1, s3, v11
	v_add_co_ci_u32_e64 v12, null, s5, v12, s1
	s_and_saveexec_b32 s2, vcc_lo
	s_cbranch_execz .LBB51_11
; %bb.10:
	v_add_co_u32 v13, s1, v11, v3
	v_add_co_ci_u32_e64 v14, null, v12, v4, s1
	v_mul_f32_e32 v15, s4, v10
	global_store_dword v[13:14], v15, off
.LBB51_11:
	s_or_b32 exec_lo, exec_lo, s2
	v_add_co_u32 v5, s1, v5, 16
	v_add_co_ci_u32_e64 v6, null, 0, v6, s1
	v_cmp_gt_i64_e64 s1, s[20:21], v[5:6]
	s_and_saveexec_b32 s9, s1
	s_cbranch_execz .LBB51_13
; %bb.12:
	v_add_co_u32 v5, s2, v11, v3
	v_add_co_ci_u32_e64 v6, null, v12, v4, s2
	v_mul_f32_e32 v13, s4, v9
	global_store_dword v[5:6], v13, off offset:64
.LBB51_13:
	s_or_b32 exec_lo, exec_lo, s9
	v_add_co_u32 v5, s2, v1, 16
	v_add_co_ci_u32_e64 v6, null, 0, v2, s2
	v_cmp_gt_i64_e64 s2, s[22:23], v[5:6]
	s_and_b32 exec_lo, exec_lo, s2
	s_cbranch_execz .LBB51_18
; %bb.14:
	s_lshl_b64 s[18:19], s[24:25], 6
	v_add_co_u32 v5, s2, v11, s18
	v_add_co_ci_u32_e64 v6, null, s19, v12, s2
	v_add_co_u32 v3, s2, v5, v3
	v_add_co_ci_u32_e64 v4, null, v6, v4, s2
	s_and_saveexec_b32 s2, vcc_lo
	s_cbranch_execz .LBB51_16
; %bb.15:
	v_mul_f32_e32 v5, s4, v8
	global_store_dword v[3:4], v5, off
.LBB51_16:
	s_or_b32 exec_lo, exec_lo, s2
	s_and_b32 exec_lo, exec_lo, s1
	s_cbranch_execz .LBB51_18
; %bb.17:
	v_mul_f32_e32 v5, s4, v7
	global_store_dword v[3:4], v5, off offset:64
.LBB51_18:
	s_or_b32 exec_lo, exec_lo, s7
	s_cbranch_execz .LBB51_21
.LBB51_19:
	s_endpgm
.LBB51_20:
.LBB51_21:
	s_and_saveexec_b32 s1, s0
	s_cbranch_execz .LBB51_19
; %bb.22:
	v_mul_lo_u32 v5, v2, s14
	v_mul_lo_u32 v6, v1, s15
	v_mad_u64_u32 v[3:4], null, v1, s14, 0
	v_mul_lo_u32 v13, v2, s24
	v_mul_lo_u32 v14, v1, s25
	v_mad_u64_u32 v[11:12], null, v1, s24, 0
	s_mul_i32 s0, s17, s8
	s_mul_hi_u32 s1, s16, s8
	v_add3_u32 v4, v4, v6, v5
	s_add_i32 s1, s1, s0
	s_mul_i32 s0, s16, s8
	v_add_co_u32 v5, s2, s10, v0
	v_add3_u32 v12, v12, v14, v13
	v_lshlrev_b64 v[3:4], 2, v[3:4]
	s_lshl_b64 s[0:1], s[0:1], 2
	v_add_co_ci_u32_e64 v6, null, s11, 0, s2
	v_lshlrev_b64 v[12:13], 2, v[11:12]
	s_add_u32 s0, s12, s0
	s_addc_u32 s1, s13, s1
	v_add_co_u32 v0, s0, s0, v3
	v_add_co_ci_u32_e64 v11, null, s1, v4, s0
	v_add_co_u32 v12, s0, s3, v12
	v_cmp_gt_i64_e32 vcc_lo, s[20:21], v[5:6]
	v_lshlrev_b64 v[3:4], 2, v[5:6]
	v_add_co_ci_u32_e64 v13, null, s5, v13, s0
	s_and_saveexec_b32 s1, vcc_lo
	s_cbranch_execz .LBB51_24
; %bb.23:
	v_add_co_u32 v14, s0, v0, v3
	v_add_co_ci_u32_e64 v15, null, v11, v4, s0
	global_load_dword v14, v[14:15], off
	s_waitcnt vmcnt(0)
	v_mul_f32_e32 v16, s6, v14
	v_add_co_u32 v14, s0, v12, v3
	v_add_co_ci_u32_e64 v15, null, v13, v4, s0
	v_fmac_f32_e32 v16, s4, v10
	global_store_dword v[14:15], v16, off
.LBB51_24:
	s_or_b32 exec_lo, exec_lo, s1
	v_add_co_u32 v5, s0, v5, 16
	v_add_co_ci_u32_e64 v6, null, 0, v6, s0
	v_cmp_gt_i64_e64 s0, s[20:21], v[5:6]
	s_and_saveexec_b32 s2, s0
	s_cbranch_execz .LBB51_26
; %bb.25:
	v_add_co_u32 v5, s1, v0, v3
	v_add_co_ci_u32_e64 v6, null, v11, v4, s1
	global_load_dword v5, v[5:6], off offset:64
	s_waitcnt vmcnt(0)
	v_mul_f32_e32 v10, s6, v5
	v_add_co_u32 v5, s1, v12, v3
	v_add_co_ci_u32_e64 v6, null, v13, v4, s1
	v_fmac_f32_e32 v10, s4, v9
	global_store_dword v[5:6], v10, off offset:64
.LBB51_26:
	s_or_b32 exec_lo, exec_lo, s2
	v_add_co_u32 v1, s1, v1, 16
	v_add_co_ci_u32_e64 v2, null, 0, v2, s1
	v_cmp_gt_i64_e64 s1, s[22:23], v[1:2]
	s_and_b32 exec_lo, exec_lo, s1
	s_cbranch_execz .LBB51_19
; %bb.27:
	s_lshl_b64 s[2:3], s[14:15], 6
	v_add_co_u32 v0, s1, v0, s2
	v_add_co_ci_u32_e64 v1, null, s3, v11, s1
	s_lshl_b64 s[2:3], s[24:25], 6
	v_add_co_u32 v2, s1, v12, s2
	v_add_co_ci_u32_e64 v5, null, s3, v13, s1
	v_add_co_u32 v0, s1, v0, v3
	v_add_co_ci_u32_e64 v1, null, v1, v4, s1
	;; [unrolled: 2-line block ×3, first 2 shown]
	s_and_saveexec_b32 s1, vcc_lo
	s_cbranch_execz .LBB51_29
; %bb.28:
	global_load_dword v4, v[0:1], off
	s_waitcnt vmcnt(0)
	v_mul_f32_e32 v4, s6, v4
	v_fmac_f32_e32 v4, s4, v8
	global_store_dword v[2:3], v4, off
.LBB51_29:
	s_or_b32 exec_lo, exec_lo, s1
	s_and_b32 exec_lo, exec_lo, s0
	s_cbranch_execz .LBB51_19
; %bb.30:
	global_load_dword v0, v[0:1], off offset:64
	s_waitcnt vmcnt(0)
	v_mul_f32_e32 v0, s6, v0
	v_fmac_f32_e32 v0, s4, v7
	global_store_dword v[2:3], v0, off offset:64
	s_endpgm
	.section	.rodata,"a",@progbits
	.p2align	6, 0x0
	.amdhsa_kernel _ZN12_GLOBAL__N_135rocblas_gemm_batched_general_kernelIfLi16ELi16ELi32ELi32ELi8ELi32ELi8ELi8ELi32ELc78ELc84EKfS1_fEEvlllT_PT11_llS4_llS2_PT12_llPT13_lli
		.amdhsa_group_segment_fixed_size 2048
		.amdhsa_private_segment_fixed_size 0
		.amdhsa_kernarg_size 140
		.amdhsa_user_sgpr_count 6
		.amdhsa_user_sgpr_private_segment_buffer 1
		.amdhsa_user_sgpr_dispatch_ptr 0
		.amdhsa_user_sgpr_queue_ptr 0
		.amdhsa_user_sgpr_kernarg_segment_ptr 1
		.amdhsa_user_sgpr_dispatch_id 0
		.amdhsa_user_sgpr_flat_scratch_init 0
		.amdhsa_user_sgpr_private_segment_size 0
		.amdhsa_wavefront_size32 1
		.amdhsa_uses_dynamic_stack 0
		.amdhsa_system_sgpr_private_segment_wavefront_offset 0
		.amdhsa_system_sgpr_workgroup_id_x 1
		.amdhsa_system_sgpr_workgroup_id_y 1
		.amdhsa_system_sgpr_workgroup_id_z 1
		.amdhsa_system_sgpr_workgroup_info 0
		.amdhsa_system_vgpr_workitem_id 1
		.amdhsa_next_free_vgpr 44
		.amdhsa_next_free_sgpr 34
		.amdhsa_reserve_vcc 1
		.amdhsa_reserve_flat_scratch 0
		.amdhsa_float_round_mode_32 0
		.amdhsa_float_round_mode_16_64 0
		.amdhsa_float_denorm_mode_32 3
		.amdhsa_float_denorm_mode_16_64 3
		.amdhsa_dx10_clamp 1
		.amdhsa_ieee_mode 1
		.amdhsa_fp16_overflow 0
		.amdhsa_workgroup_processor_mode 1
		.amdhsa_memory_ordered 1
		.amdhsa_forward_progress 1
		.amdhsa_shared_vgpr_count 0
		.amdhsa_exception_fp_ieee_invalid_op 0
		.amdhsa_exception_fp_denorm_src 0
		.amdhsa_exception_fp_ieee_div_zero 0
		.amdhsa_exception_fp_ieee_overflow 0
		.amdhsa_exception_fp_ieee_underflow 0
		.amdhsa_exception_fp_ieee_inexact 0
		.amdhsa_exception_int_div_zero 0
	.end_amdhsa_kernel
	.section	.text._ZN12_GLOBAL__N_135rocblas_gemm_batched_general_kernelIfLi16ELi16ELi32ELi32ELi8ELi32ELi8ELi8ELi32ELc78ELc84EKfS1_fEEvlllT_PT11_llS4_llS2_PT12_llPT13_lli,"axG",@progbits,_ZN12_GLOBAL__N_135rocblas_gemm_batched_general_kernelIfLi16ELi16ELi32ELi32ELi8ELi32ELi8ELi8ELi32ELc78ELc84EKfS1_fEEvlllT_PT11_llS4_llS2_PT12_llPT13_lli,comdat
.Lfunc_end51:
	.size	_ZN12_GLOBAL__N_135rocblas_gemm_batched_general_kernelIfLi16ELi16ELi32ELi32ELi8ELi32ELi8ELi8ELi32ELc78ELc84EKfS1_fEEvlllT_PT11_llS4_llS2_PT12_llPT13_lli, .Lfunc_end51-_ZN12_GLOBAL__N_135rocblas_gemm_batched_general_kernelIfLi16ELi16ELi32ELi32ELi8ELi32ELi8ELi8ELi32ELc78ELc84EKfS1_fEEvlllT_PT11_llS4_llS2_PT12_llPT13_lli
                                        ; -- End function
	.set _ZN12_GLOBAL__N_135rocblas_gemm_batched_general_kernelIfLi16ELi16ELi32ELi32ELi8ELi32ELi8ELi8ELi32ELc78ELc84EKfS1_fEEvlllT_PT11_llS4_llS2_PT12_llPT13_lli.num_vgpr, 44
	.set _ZN12_GLOBAL__N_135rocblas_gemm_batched_general_kernelIfLi16ELi16ELi32ELi32ELi8ELi32ELi8ELi8ELi32ELc78ELc84EKfS1_fEEvlllT_PT11_llS4_llS2_PT12_llPT13_lli.num_agpr, 0
	.set _ZN12_GLOBAL__N_135rocblas_gemm_batched_general_kernelIfLi16ELi16ELi32ELi32ELi8ELi32ELi8ELi8ELi32ELc78ELc84EKfS1_fEEvlllT_PT11_llS4_llS2_PT12_llPT13_lli.numbered_sgpr, 34
	.set _ZN12_GLOBAL__N_135rocblas_gemm_batched_general_kernelIfLi16ELi16ELi32ELi32ELi8ELi32ELi8ELi8ELi32ELc78ELc84EKfS1_fEEvlllT_PT11_llS4_llS2_PT12_llPT13_lli.num_named_barrier, 0
	.set _ZN12_GLOBAL__N_135rocblas_gemm_batched_general_kernelIfLi16ELi16ELi32ELi32ELi8ELi32ELi8ELi8ELi32ELc78ELc84EKfS1_fEEvlllT_PT11_llS4_llS2_PT12_llPT13_lli.private_seg_size, 0
	.set _ZN12_GLOBAL__N_135rocblas_gemm_batched_general_kernelIfLi16ELi16ELi32ELi32ELi8ELi32ELi8ELi8ELi32ELc78ELc84EKfS1_fEEvlllT_PT11_llS4_llS2_PT12_llPT13_lli.uses_vcc, 1
	.set _ZN12_GLOBAL__N_135rocblas_gemm_batched_general_kernelIfLi16ELi16ELi32ELi32ELi8ELi32ELi8ELi8ELi32ELc78ELc84EKfS1_fEEvlllT_PT11_llS4_llS2_PT12_llPT13_lli.uses_flat_scratch, 0
	.set _ZN12_GLOBAL__N_135rocblas_gemm_batched_general_kernelIfLi16ELi16ELi32ELi32ELi8ELi32ELi8ELi8ELi32ELc78ELc84EKfS1_fEEvlllT_PT11_llS4_llS2_PT12_llPT13_lli.has_dyn_sized_stack, 0
	.set _ZN12_GLOBAL__N_135rocblas_gemm_batched_general_kernelIfLi16ELi16ELi32ELi32ELi8ELi32ELi8ELi8ELi32ELc78ELc84EKfS1_fEEvlllT_PT11_llS4_llS2_PT12_llPT13_lli.has_recursion, 0
	.set _ZN12_GLOBAL__N_135rocblas_gemm_batched_general_kernelIfLi16ELi16ELi32ELi32ELi8ELi32ELi8ELi8ELi32ELc78ELc84EKfS1_fEEvlllT_PT11_llS4_llS2_PT12_llPT13_lli.has_indirect_call, 0
	.section	.AMDGPU.csdata,"",@progbits
; Kernel info:
; codeLenInByte = 1884
; TotalNumSgprs: 36
; NumVgprs: 44
; ScratchSize: 0
; MemoryBound: 0
; FloatMode: 240
; IeeeMode: 1
; LDSByteSize: 2048 bytes/workgroup (compile time only)
; SGPRBlocks: 0
; VGPRBlocks: 5
; NumSGPRsForWavesPerEU: 36
; NumVGPRsForWavesPerEU: 44
; Occupancy: 16
; WaveLimiterHint : 0
; COMPUTE_PGM_RSRC2:SCRATCH_EN: 0
; COMPUTE_PGM_RSRC2:USER_SGPR: 6
; COMPUTE_PGM_RSRC2:TRAP_HANDLER: 0
; COMPUTE_PGM_RSRC2:TGID_X_EN: 1
; COMPUTE_PGM_RSRC2:TGID_Y_EN: 1
; COMPUTE_PGM_RSRC2:TGID_Z_EN: 1
; COMPUTE_PGM_RSRC2:TIDIG_COMP_CNT: 1
	.section	.text._ZN12_GLOBAL__N_135rocblas_gemm_batched_general_kernelIfLi16ELi16ELi32ELi32ELi8ELi32ELi8ELi8ELi32ELc84ELc84EKfS1_fEEvlllT_PT11_llS4_llS2_PT12_llPT13_lli,"axG",@progbits,_ZN12_GLOBAL__N_135rocblas_gemm_batched_general_kernelIfLi16ELi16ELi32ELi32ELi8ELi32ELi8ELi8ELi32ELc84ELc84EKfS1_fEEvlllT_PT11_llS4_llS2_PT12_llPT13_lli,comdat
	.globl	_ZN12_GLOBAL__N_135rocblas_gemm_batched_general_kernelIfLi16ELi16ELi32ELi32ELi8ELi32ELi8ELi8ELi32ELc84ELc84EKfS1_fEEvlllT_PT11_llS4_llS2_PT12_llPT13_lli ; -- Begin function _ZN12_GLOBAL__N_135rocblas_gemm_batched_general_kernelIfLi16ELi16ELi32ELi32ELi8ELi32ELi8ELi8ELi32ELc84ELc84EKfS1_fEEvlllT_PT11_llS4_llS2_PT12_llPT13_lli
	.p2align	8
	.type	_ZN12_GLOBAL__N_135rocblas_gemm_batched_general_kernelIfLi16ELi16ELi32ELi32ELi8ELi32ELi8ELi8ELi32ELc84ELc84EKfS1_fEEvlllT_PT11_llS4_llS2_PT12_llPT13_lli,@function
_ZN12_GLOBAL__N_135rocblas_gemm_batched_general_kernelIfLi16ELi16ELi32ELi32ELi8ELi32ELi8ELi8ELi32ELc84ELc84EKfS1_fEEvlllT_PT11_llS4_llS2_PT12_llPT13_lli: ; @_ZN12_GLOBAL__N_135rocblas_gemm_batched_general_kernelIfLi16ELi16ELi32ELi32ELi8ELi32ELi8ELi8ELi32ELc84ELc84EKfS1_fEEvlllT_PT11_llS4_llS2_PT12_llPT13_lli
; %bb.0:
	s_clause 0x1
	s_load_dwordx2 s[10:11], s[4:5], 0x10
	s_load_dwordx4 s[20:23], s[4:5], 0x0
	s_mov_b32 s0, s7
	v_mov_b32_e32 v10, 0
	v_mov_b32_e32 v9, 0
	;; [unrolled: 1-line block ×4, first 2 shown]
	s_ashr_i32 s7, s6, 31
	s_ashr_i32 s1, s0, 31
	s_lshl_b64 s[6:7], s[6:7], 5
	s_waitcnt lgkmcnt(0)
	v_cmp_lt_i64_e64 s2, s[10:11], 1
	s_and_b32 vcc_lo, exec_lo, s2
	s_lshl_b64 s[2:3], s[0:1], 5
	s_cbranch_vccnz .LBB52_7
; %bb.1:
	s_clause 0x1
	s_load_dwordx4 s[24:27], s[4:5], 0x40
	s_load_dwordx8 s[12:19], s[4:5], 0x20
	v_lshl_add_u32 v2, v1, 4, v0
	v_and_b32_e32 v6, 7, v0
	v_mov_b32_e32 v3, s7
	s_lshl_b64 s[28:29], s[0:1], 7
	v_mov_b32_e32 v7, 0
	v_and_b32_e32 v14, 31, v2
	v_lshrrev_b32_e32 v10, 3, v2
	v_lshrrev_b32_e32 v13, 5, v2
	v_lshlrev_b32_e32 v15, 2, v6
	v_lshlrev_b32_e32 v11, 2, v0
	v_or_b32_e32 v2, s6, v14
	v_add_co_u32 v8, s0, v10, s2
	v_add_co_ci_u32_e64 v9, null, 0, s3, s0
	v_add_co_u32 v17, s0, s6, v14
	v_add_co_ci_u32_e64 v18, null, s7, 0, s0
	s_waitcnt lgkmcnt(0)
	v_mad_u64_u32 v[4:5], null, s24, v6, 0
	v_cmp_gt_i64_e64 s0, s[20:21], v[2:3]
	v_cmp_gt_i64_e64 s1, s[22:23], v[8:9]
	v_mul_lo_u32 v8, s15, v17
	v_mul_lo_u32 v9, s14, v18
	s_mul_i32 s9, s27, s8
	s_mul_hi_u32 s27, s26, s8
	v_mad_u64_u32 v[2:3], null, s25, v6, v[5:6]
	s_mul_i32 s26, s26, s8
	s_add_i32 s27, s27, s9
	s_mul_i32 s9, s17, s8
	s_mul_hi_u32 s17, s16, s8
	v_lshlrev_b32_e32 v16, 2, v14
	v_lshl_or_b32 v15, v10, 5, v15
	v_mov_b32_e32 v5, v2
	v_mad_u64_u32 v[2:3], null, s14, v17, 0
	s_lshl_b64 s[14:15], s[26:27], 2
	v_lshl_add_u32 v12, v1, 5, 0x400
	v_lshlrev_b64 v[4:5], 2, v[4:5]
	s_add_u32 s14, s28, s14
	s_addc_u32 s15, s29, s15
	v_lshl_or_b32 v14, v13, 7, v16
	v_add3_u32 v3, v3, v9, v8
	v_lshlrev_b32_e32 v8, 2, v10
	v_add_co_u32 v4, vcc_lo, s14, v4
	v_add_co_ci_u32_e64 v5, null, s15, v5, vcc_lo
	v_lshlrev_b64 v[2:3], 2, v[2:3]
	s_add_i32 s15, s17, s9
	s_mul_i32 s14, s16, s8
	v_lshlrev_b32_e32 v9, 2, v13
	s_lshl_b64 s[14:15], s[14:15], 2
	v_add_nc_u32_e32 v15, 0x400, v15
	v_add_co_u32 v2, vcc_lo, v2, s14
	v_add_co_ci_u32_e64 v3, null, s15, v3, vcc_lo
	v_add_co_u32 v4, vcc_lo, v4, v8
	v_add_co_ci_u32_e64 v5, null, 0, v5, vcc_lo
	;; [unrolled: 2-line block ×5, first 2 shown]
	v_mov_b32_e32 v8, 0
	v_mov_b32_e32 v9, 0
	;; [unrolled: 1-line block ×3, first 2 shown]
	s_lshl_b64 s[12:13], s[24:25], 5
	s_mov_b64 s[14:15], 0
	s_branch .LBB52_3
.LBB52_2:                               ;   in Loop: Header=BB52_3 Depth=1
	s_or_b32 exec_lo, exec_lo, s9
	s_waitcnt vmcnt(0)
	ds_write_b32 v15, v17
	s_waitcnt lgkmcnt(0)
	s_barrier
	buffer_gl0_inv
	ds_read_b128 v[16:19], v12
	ds_read2_b32 v[32:33], v11 offset1:16
	ds_read_b128 v[20:23], v12 offset:512
	ds_read2_b32 v[34:35], v11 offset0:32 offset1:48
	ds_read2_b32 v[36:37], v11 offset0:64 offset1:80
	;; [unrolled: 1-line block ×3, first 2 shown]
	ds_read_b128 v[24:27], v12 offset:16
	ds_read2_b32 v[40:41], v11 offset0:128 offset1:144
	ds_read_b128 v[28:31], v12 offset:528
	ds_read2_b32 v[42:43], v11 offset0:160 offset1:176
	s_add_u32 s14, s14, 8
	s_addc_u32 s15, s15, 0
	v_add_co_u32 v2, vcc_lo, v2, s12
	v_cmp_lt_i64_e64 s9, s[14:15], s[10:11]
	v_add_co_ci_u32_e64 v3, null, s13, v3, vcc_lo
	v_add_co_u32 v4, vcc_lo, v4, 32
	v_add_co_ci_u32_e64 v5, null, 0, v5, vcc_lo
	s_waitcnt lgkmcnt(8)
	v_fmac_f32_e32 v10, v32, v16
	v_fmac_f32_e32 v9, v33, v16
	s_waitcnt lgkmcnt(7)
	v_fmac_f32_e32 v8, v32, v20
	v_fmac_f32_e32 v7, v33, v20
	ds_read2_b32 v[32:33], v11 offset0:192 offset1:208
	s_waitcnt lgkmcnt(7)
	v_fmac_f32_e32 v10, v34, v17
	v_fmac_f32_e32 v9, v35, v17
	v_fmac_f32_e32 v8, v34, v21
	v_fmac_f32_e32 v7, v35, v21
	ds_read2_b32 v[16:17], v11 offset0:224 offset1:240
	s_waitcnt lgkmcnt(7)
	v_fmac_f32_e32 v10, v36, v18
	v_fmac_f32_e32 v9, v37, v18
	;; [unrolled: 1-line block ×4, first 2 shown]
	s_and_b32 vcc_lo, exec_lo, s9
	s_waitcnt lgkmcnt(6)
	v_fmac_f32_e32 v10, v38, v19
	v_fmac_f32_e32 v9, v39, v19
	;; [unrolled: 1-line block ×4, first 2 shown]
	s_waitcnt lgkmcnt(0)
	v_fmac_f32_e32 v10, v40, v24
	v_fmac_f32_e32 v9, v41, v24
	;; [unrolled: 1-line block ×4, first 2 shown]
	s_barrier
	v_fmac_f32_e32 v10, v42, v25
	v_fmac_f32_e32 v9, v43, v25
	;; [unrolled: 1-line block ×4, first 2 shown]
	buffer_gl0_inv
	v_fmac_f32_e32 v10, v32, v26
	v_fmac_f32_e32 v9, v33, v26
	;; [unrolled: 1-line block ×8, first 2 shown]
	s_cbranch_vccz .LBB52_7
.LBB52_3:                               ; =>This Inner Loop Header: Depth=1
	v_add_co_u32 v16, s9, v13, s14
	v_add_co_ci_u32_e64 v17, null, 0, s15, s9
	v_cmp_gt_i64_e32 vcc_lo, s[10:11], v[16:17]
	v_mov_b32_e32 v16, 0
	s_and_b32 s16, s0, vcc_lo
	s_and_saveexec_b32 s9, s16
	s_cbranch_execz .LBB52_5
; %bb.4:                                ;   in Loop: Header=BB52_3 Depth=1
	global_load_dword v16, v[4:5], off
.LBB52_5:                               ;   in Loop: Header=BB52_3 Depth=1
	s_or_b32 exec_lo, exec_lo, s9
	v_add_co_u32 v17, s9, v6, s14
	v_add_co_ci_u32_e64 v18, null, 0, s15, s9
	s_waitcnt vmcnt(0)
	ds_write_b32 v14, v16
	v_cmp_gt_i64_e32 vcc_lo, s[10:11], v[17:18]
	v_mov_b32_e32 v17, 0
	s_and_b32 s16, vcc_lo, s1
	s_and_saveexec_b32 s9, s16
	s_cbranch_execz .LBB52_2
; %bb.6:                                ;   in Loop: Header=BB52_3 Depth=1
	global_load_dword v17, v[2:3], off
	s_branch .LBB52_2
.LBB52_7:
	s_clause 0x3
	s_load_dwordx4 s[24:27], s[4:5], 0x78
	s_load_dword s9, s[4:5], 0x50
	s_load_dwordx8 s[12:19], s[4:5], 0x58
	s_load_dword s4, s[4:5], 0x18
	v_add_co_u32 v1, s0, s2, v1
	v_add_co_ci_u32_e64 v2, null, s3, 0, s0
	s_waitcnt lgkmcnt(0)
	s_mul_i32 s1, s27, s8
	s_mul_hi_u32 s2, s26, s8
	s_mul_i32 s0, s26, s8
	s_add_i32 s1, s2, s1
	v_cmp_neq_f32_e64 s2, s9, 0
	s_lshl_b64 s[10:11], s[0:1], 2
	v_cmp_gt_i64_e64 s0, s[22:23], v[1:2]
	s_add_u32 s3, s18, s10
	s_addc_u32 s5, s19, s11
	s_and_b32 vcc_lo, exec_lo, s2
	s_cbranch_vccnz .LBB52_20
; %bb.8:
	s_and_saveexec_b32 s10, s0
	s_cbranch_execz .LBB52_18
; %bb.9:
	v_mul_lo_u32 v5, v2, s24
	v_mul_lo_u32 v6, v1, s25
	v_mad_u64_u32 v[3:4], null, v1, s24, 0
	v_add3_u32 v4, v4, v6, v5
	v_add_co_u32 v5, s1, s6, v0
	v_add_co_ci_u32_e64 v6, null, s7, 0, s1
	v_lshlrev_b64 v[11:12], 2, v[3:4]
	v_cmp_gt_i64_e32 vcc_lo, s[20:21], v[5:6]
	v_lshlrev_b64 v[3:4], 2, v[5:6]
	v_add_co_u32 v11, s1, s3, v11
	v_add_co_ci_u32_e64 v12, null, s5, v12, s1
	s_and_saveexec_b32 s2, vcc_lo
	s_cbranch_execz .LBB52_11
; %bb.10:
	v_add_co_u32 v13, s1, v11, v3
	v_add_co_ci_u32_e64 v14, null, v12, v4, s1
	v_mul_f32_e32 v15, s4, v10
	global_store_dword v[13:14], v15, off
.LBB52_11:
	s_or_b32 exec_lo, exec_lo, s2
	v_add_co_u32 v5, s1, v5, 16
	v_add_co_ci_u32_e64 v6, null, 0, v6, s1
	v_cmp_gt_i64_e64 s1, s[20:21], v[5:6]
	s_and_saveexec_b32 s11, s1
	s_cbranch_execz .LBB52_13
; %bb.12:
	v_add_co_u32 v5, s2, v11, v3
	v_add_co_ci_u32_e64 v6, null, v12, v4, s2
	v_mul_f32_e32 v13, s4, v9
	global_store_dword v[5:6], v13, off offset:64
.LBB52_13:
	s_or_b32 exec_lo, exec_lo, s11
	v_add_co_u32 v5, s2, v1, 16
	v_add_co_ci_u32_e64 v6, null, 0, v2, s2
	v_cmp_gt_i64_e64 s2, s[22:23], v[5:6]
	s_and_b32 exec_lo, exec_lo, s2
	s_cbranch_execz .LBB52_18
; %bb.14:
	s_lshl_b64 s[18:19], s[24:25], 6
	v_add_co_u32 v5, s2, v11, s18
	v_add_co_ci_u32_e64 v6, null, s19, v12, s2
	v_add_co_u32 v3, s2, v5, v3
	v_add_co_ci_u32_e64 v4, null, v6, v4, s2
	s_and_saveexec_b32 s2, vcc_lo
	s_cbranch_execz .LBB52_16
; %bb.15:
	v_mul_f32_e32 v5, s4, v8
	global_store_dword v[3:4], v5, off
.LBB52_16:
	s_or_b32 exec_lo, exec_lo, s2
	s_and_b32 exec_lo, exec_lo, s1
	s_cbranch_execz .LBB52_18
; %bb.17:
	v_mul_f32_e32 v5, s4, v7
	global_store_dword v[3:4], v5, off offset:64
.LBB52_18:
	s_or_b32 exec_lo, exec_lo, s10
	s_cbranch_execz .LBB52_21
.LBB52_19:
	s_endpgm
.LBB52_20:
.LBB52_21:
	s_and_saveexec_b32 s1, s0
	s_cbranch_execz .LBB52_19
; %bb.22:
	v_mul_lo_u32 v5, v2, s14
	v_mul_lo_u32 v6, v1, s15
	v_mad_u64_u32 v[3:4], null, v1, s14, 0
	v_mul_lo_u32 v13, v2, s24
	v_mul_lo_u32 v14, v1, s25
	v_mad_u64_u32 v[11:12], null, v1, s24, 0
	s_mul_i32 s0, s17, s8
	s_mul_hi_u32 s1, s16, s8
	v_add3_u32 v4, v4, v6, v5
	s_add_i32 s1, s1, s0
	s_mul_i32 s0, s16, s8
	v_add_co_u32 v5, s2, s6, v0
	v_add3_u32 v12, v12, v14, v13
	v_lshlrev_b64 v[3:4], 2, v[3:4]
	s_lshl_b64 s[0:1], s[0:1], 2
	v_add_co_ci_u32_e64 v6, null, s7, 0, s2
	v_lshlrev_b64 v[12:13], 2, v[11:12]
	s_add_u32 s0, s12, s0
	s_addc_u32 s1, s13, s1
	v_add_co_u32 v0, s0, s0, v3
	v_add_co_ci_u32_e64 v11, null, s1, v4, s0
	v_add_co_u32 v12, s0, s3, v12
	v_cmp_gt_i64_e32 vcc_lo, s[20:21], v[5:6]
	v_lshlrev_b64 v[3:4], 2, v[5:6]
	v_add_co_ci_u32_e64 v13, null, s5, v13, s0
	s_and_saveexec_b32 s1, vcc_lo
	s_cbranch_execz .LBB52_24
; %bb.23:
	v_add_co_u32 v14, s0, v0, v3
	v_add_co_ci_u32_e64 v15, null, v11, v4, s0
	global_load_dword v14, v[14:15], off
	s_waitcnt vmcnt(0)
	v_mul_f32_e32 v16, s9, v14
	v_add_co_u32 v14, s0, v12, v3
	v_add_co_ci_u32_e64 v15, null, v13, v4, s0
	v_fmac_f32_e32 v16, s4, v10
	global_store_dword v[14:15], v16, off
.LBB52_24:
	s_or_b32 exec_lo, exec_lo, s1
	v_add_co_u32 v5, s0, v5, 16
	v_add_co_ci_u32_e64 v6, null, 0, v6, s0
	v_cmp_gt_i64_e64 s0, s[20:21], v[5:6]
	s_and_saveexec_b32 s2, s0
	s_cbranch_execz .LBB52_26
; %bb.25:
	v_add_co_u32 v5, s1, v0, v3
	v_add_co_ci_u32_e64 v6, null, v11, v4, s1
	global_load_dword v5, v[5:6], off offset:64
	s_waitcnt vmcnt(0)
	v_mul_f32_e32 v10, s9, v5
	v_add_co_u32 v5, s1, v12, v3
	v_add_co_ci_u32_e64 v6, null, v13, v4, s1
	v_fmac_f32_e32 v10, s4, v9
	global_store_dword v[5:6], v10, off offset:64
.LBB52_26:
	s_or_b32 exec_lo, exec_lo, s2
	v_add_co_u32 v1, s1, v1, 16
	v_add_co_ci_u32_e64 v2, null, 0, v2, s1
	v_cmp_gt_i64_e64 s1, s[22:23], v[1:2]
	s_and_b32 exec_lo, exec_lo, s1
	s_cbranch_execz .LBB52_19
; %bb.27:
	s_lshl_b64 s[2:3], s[14:15], 6
	v_add_co_u32 v0, s1, v0, s2
	v_add_co_ci_u32_e64 v1, null, s3, v11, s1
	s_lshl_b64 s[2:3], s[24:25], 6
	v_add_co_u32 v2, s1, v12, s2
	v_add_co_ci_u32_e64 v5, null, s3, v13, s1
	v_add_co_u32 v0, s1, v0, v3
	v_add_co_ci_u32_e64 v1, null, v1, v4, s1
	;; [unrolled: 2-line block ×3, first 2 shown]
	s_and_saveexec_b32 s1, vcc_lo
	s_cbranch_execz .LBB52_29
; %bb.28:
	global_load_dword v4, v[0:1], off
	s_waitcnt vmcnt(0)
	v_mul_f32_e32 v4, s9, v4
	v_fmac_f32_e32 v4, s4, v8
	global_store_dword v[2:3], v4, off
.LBB52_29:
	s_or_b32 exec_lo, exec_lo, s1
	s_and_b32 exec_lo, exec_lo, s0
	s_cbranch_execz .LBB52_19
; %bb.30:
	global_load_dword v0, v[0:1], off offset:64
	s_waitcnt vmcnt(0)
	v_mul_f32_e32 v0, s9, v0
	v_fmac_f32_e32 v0, s4, v7
	global_store_dword v[2:3], v0, off offset:64
	s_endpgm
	.section	.rodata,"a",@progbits
	.p2align	6, 0x0
	.amdhsa_kernel _ZN12_GLOBAL__N_135rocblas_gemm_batched_general_kernelIfLi16ELi16ELi32ELi32ELi8ELi32ELi8ELi8ELi32ELc84ELc84EKfS1_fEEvlllT_PT11_llS4_llS2_PT12_llPT13_lli
		.amdhsa_group_segment_fixed_size 2048
		.amdhsa_private_segment_fixed_size 0
		.amdhsa_kernarg_size 140
		.amdhsa_user_sgpr_count 6
		.amdhsa_user_sgpr_private_segment_buffer 1
		.amdhsa_user_sgpr_dispatch_ptr 0
		.amdhsa_user_sgpr_queue_ptr 0
		.amdhsa_user_sgpr_kernarg_segment_ptr 1
		.amdhsa_user_sgpr_dispatch_id 0
		.amdhsa_user_sgpr_flat_scratch_init 0
		.amdhsa_user_sgpr_private_segment_size 0
		.amdhsa_wavefront_size32 1
		.amdhsa_uses_dynamic_stack 0
		.amdhsa_system_sgpr_private_segment_wavefront_offset 0
		.amdhsa_system_sgpr_workgroup_id_x 1
		.amdhsa_system_sgpr_workgroup_id_y 1
		.amdhsa_system_sgpr_workgroup_id_z 1
		.amdhsa_system_sgpr_workgroup_info 0
		.amdhsa_system_vgpr_workitem_id 1
		.amdhsa_next_free_vgpr 44
		.amdhsa_next_free_sgpr 30
		.amdhsa_reserve_vcc 1
		.amdhsa_reserve_flat_scratch 0
		.amdhsa_float_round_mode_32 0
		.amdhsa_float_round_mode_16_64 0
		.amdhsa_float_denorm_mode_32 3
		.amdhsa_float_denorm_mode_16_64 3
		.amdhsa_dx10_clamp 1
		.amdhsa_ieee_mode 1
		.amdhsa_fp16_overflow 0
		.amdhsa_workgroup_processor_mode 1
		.amdhsa_memory_ordered 1
		.amdhsa_forward_progress 1
		.amdhsa_shared_vgpr_count 0
		.amdhsa_exception_fp_ieee_invalid_op 0
		.amdhsa_exception_fp_denorm_src 0
		.amdhsa_exception_fp_ieee_div_zero 0
		.amdhsa_exception_fp_ieee_overflow 0
		.amdhsa_exception_fp_ieee_underflow 0
		.amdhsa_exception_fp_ieee_inexact 0
		.amdhsa_exception_int_div_zero 0
	.end_amdhsa_kernel
	.section	.text._ZN12_GLOBAL__N_135rocblas_gemm_batched_general_kernelIfLi16ELi16ELi32ELi32ELi8ELi32ELi8ELi8ELi32ELc84ELc84EKfS1_fEEvlllT_PT11_llS4_llS2_PT12_llPT13_lli,"axG",@progbits,_ZN12_GLOBAL__N_135rocblas_gemm_batched_general_kernelIfLi16ELi16ELi32ELi32ELi8ELi32ELi8ELi8ELi32ELc84ELc84EKfS1_fEEvlllT_PT11_llS4_llS2_PT12_llPT13_lli,comdat
.Lfunc_end52:
	.size	_ZN12_GLOBAL__N_135rocblas_gemm_batched_general_kernelIfLi16ELi16ELi32ELi32ELi8ELi32ELi8ELi8ELi32ELc84ELc84EKfS1_fEEvlllT_PT11_llS4_llS2_PT12_llPT13_lli, .Lfunc_end52-_ZN12_GLOBAL__N_135rocblas_gemm_batched_general_kernelIfLi16ELi16ELi32ELi32ELi8ELi32ELi8ELi8ELi32ELc84ELc84EKfS1_fEEvlllT_PT11_llS4_llS2_PT12_llPT13_lli
                                        ; -- End function
	.set _ZN12_GLOBAL__N_135rocblas_gemm_batched_general_kernelIfLi16ELi16ELi32ELi32ELi8ELi32ELi8ELi8ELi32ELc84ELc84EKfS1_fEEvlllT_PT11_llS4_llS2_PT12_llPT13_lli.num_vgpr, 44
	.set _ZN12_GLOBAL__N_135rocblas_gemm_batched_general_kernelIfLi16ELi16ELi32ELi32ELi8ELi32ELi8ELi8ELi32ELc84ELc84EKfS1_fEEvlllT_PT11_llS4_llS2_PT12_llPT13_lli.num_agpr, 0
	.set _ZN12_GLOBAL__N_135rocblas_gemm_batched_general_kernelIfLi16ELi16ELi32ELi32ELi8ELi32ELi8ELi8ELi32ELc84ELc84EKfS1_fEEvlllT_PT11_llS4_llS2_PT12_llPT13_lli.numbered_sgpr, 30
	.set _ZN12_GLOBAL__N_135rocblas_gemm_batched_general_kernelIfLi16ELi16ELi32ELi32ELi8ELi32ELi8ELi8ELi32ELc84ELc84EKfS1_fEEvlllT_PT11_llS4_llS2_PT12_llPT13_lli.num_named_barrier, 0
	.set _ZN12_GLOBAL__N_135rocblas_gemm_batched_general_kernelIfLi16ELi16ELi32ELi32ELi8ELi32ELi8ELi8ELi32ELc84ELc84EKfS1_fEEvlllT_PT11_llS4_llS2_PT12_llPT13_lli.private_seg_size, 0
	.set _ZN12_GLOBAL__N_135rocblas_gemm_batched_general_kernelIfLi16ELi16ELi32ELi32ELi8ELi32ELi8ELi8ELi32ELc84ELc84EKfS1_fEEvlllT_PT11_llS4_llS2_PT12_llPT13_lli.uses_vcc, 1
	.set _ZN12_GLOBAL__N_135rocblas_gemm_batched_general_kernelIfLi16ELi16ELi32ELi32ELi8ELi32ELi8ELi8ELi32ELc84ELc84EKfS1_fEEvlllT_PT11_llS4_llS2_PT12_llPT13_lli.uses_flat_scratch, 0
	.set _ZN12_GLOBAL__N_135rocblas_gemm_batched_general_kernelIfLi16ELi16ELi32ELi32ELi8ELi32ELi8ELi8ELi32ELc84ELc84EKfS1_fEEvlllT_PT11_llS4_llS2_PT12_llPT13_lli.has_dyn_sized_stack, 0
	.set _ZN12_GLOBAL__N_135rocblas_gemm_batched_general_kernelIfLi16ELi16ELi32ELi32ELi8ELi32ELi8ELi8ELi32ELc84ELc84EKfS1_fEEvlllT_PT11_llS4_llS2_PT12_llPT13_lli.has_recursion, 0
	.set _ZN12_GLOBAL__N_135rocblas_gemm_batched_general_kernelIfLi16ELi16ELi32ELi32ELi8ELi32ELi8ELi8ELi32ELc84ELc84EKfS1_fEEvlllT_PT11_llS4_llS2_PT12_llPT13_lli.has_indirect_call, 0
	.section	.AMDGPU.csdata,"",@progbits
; Kernel info:
; codeLenInByte = 1892
; TotalNumSgprs: 32
; NumVgprs: 44
; ScratchSize: 0
; MemoryBound: 0
; FloatMode: 240
; IeeeMode: 1
; LDSByteSize: 2048 bytes/workgroup (compile time only)
; SGPRBlocks: 0
; VGPRBlocks: 5
; NumSGPRsForWavesPerEU: 32
; NumVGPRsForWavesPerEU: 44
; Occupancy: 16
; WaveLimiterHint : 0
; COMPUTE_PGM_RSRC2:SCRATCH_EN: 0
; COMPUTE_PGM_RSRC2:USER_SGPR: 6
; COMPUTE_PGM_RSRC2:TRAP_HANDLER: 0
; COMPUTE_PGM_RSRC2:TGID_X_EN: 1
; COMPUTE_PGM_RSRC2:TGID_Y_EN: 1
; COMPUTE_PGM_RSRC2:TGID_Z_EN: 1
; COMPUTE_PGM_RSRC2:TIDIG_COMP_CNT: 1
	.section	.text._ZN12_GLOBAL__N_135rocblas_gemm_batched_general_kernelIfLi16ELi16ELi32ELi32ELi8ELi32ELi8ELi8ELi32ELc67ELc67EKfS1_fEEvlllT_PT11_llS4_llS2_PT12_llPT13_lli,"axG",@progbits,_ZN12_GLOBAL__N_135rocblas_gemm_batched_general_kernelIfLi16ELi16ELi32ELi32ELi8ELi32ELi8ELi8ELi32ELc67ELc67EKfS1_fEEvlllT_PT11_llS4_llS2_PT12_llPT13_lli,comdat
	.globl	_ZN12_GLOBAL__N_135rocblas_gemm_batched_general_kernelIfLi16ELi16ELi32ELi32ELi8ELi32ELi8ELi8ELi32ELc67ELc67EKfS1_fEEvlllT_PT11_llS4_llS2_PT12_llPT13_lli ; -- Begin function _ZN12_GLOBAL__N_135rocblas_gemm_batched_general_kernelIfLi16ELi16ELi32ELi32ELi8ELi32ELi8ELi8ELi32ELc67ELc67EKfS1_fEEvlllT_PT11_llS4_llS2_PT12_llPT13_lli
	.p2align	8
	.type	_ZN12_GLOBAL__N_135rocblas_gemm_batched_general_kernelIfLi16ELi16ELi32ELi32ELi8ELi32ELi8ELi8ELi32ELc67ELc67EKfS1_fEEvlllT_PT11_llS4_llS2_PT12_llPT13_lli,@function
_ZN12_GLOBAL__N_135rocblas_gemm_batched_general_kernelIfLi16ELi16ELi32ELi32ELi8ELi32ELi8ELi8ELi32ELc67ELc67EKfS1_fEEvlllT_PT11_llS4_llS2_PT12_llPT13_lli: ; @_ZN12_GLOBAL__N_135rocblas_gemm_batched_general_kernelIfLi16ELi16ELi32ELi32ELi8ELi32ELi8ELi8ELi32ELc67ELc67EKfS1_fEEvlllT_PT11_llS4_llS2_PT12_llPT13_lli
; %bb.0:
	s_clause 0x1
	s_load_dwordx2 s[10:11], s[4:5], 0x10
	s_load_dwordx4 s[20:23], s[4:5], 0x0
	s_mov_b32 s0, s7
	v_mov_b32_e32 v10, 0
	v_mov_b32_e32 v9, 0
	;; [unrolled: 1-line block ×4, first 2 shown]
	s_ashr_i32 s7, s6, 31
	s_ashr_i32 s1, s0, 31
	s_lshl_b64 s[6:7], s[6:7], 5
	s_waitcnt lgkmcnt(0)
	v_cmp_lt_i64_e64 s2, s[10:11], 1
	s_and_b32 vcc_lo, exec_lo, s2
	s_lshl_b64 s[2:3], s[0:1], 5
	s_cbranch_vccnz .LBB53_7
; %bb.1:
	s_clause 0x1
	s_load_dwordx4 s[24:27], s[4:5], 0x40
	s_load_dwordx8 s[12:19], s[4:5], 0x20
	v_lshl_add_u32 v2, v1, 4, v0
	v_and_b32_e32 v6, 7, v0
	v_mov_b32_e32 v3, s7
	s_lshl_b64 s[28:29], s[0:1], 7
	v_mov_b32_e32 v7, 0
	v_and_b32_e32 v14, 31, v2
	v_lshrrev_b32_e32 v10, 3, v2
	v_lshrrev_b32_e32 v13, 5, v2
	v_lshlrev_b32_e32 v15, 2, v6
	v_lshlrev_b32_e32 v11, 2, v0
	v_or_b32_e32 v2, s6, v14
	v_add_co_u32 v8, s0, v10, s2
	v_add_co_ci_u32_e64 v9, null, 0, s3, s0
	v_add_co_u32 v17, s0, s6, v14
	v_add_co_ci_u32_e64 v18, null, s7, 0, s0
	s_waitcnt lgkmcnt(0)
	v_mad_u64_u32 v[4:5], null, s24, v6, 0
	v_cmp_gt_i64_e64 s0, s[20:21], v[2:3]
	v_cmp_gt_i64_e64 s1, s[22:23], v[8:9]
	v_mul_lo_u32 v8, s15, v17
	v_mul_lo_u32 v9, s14, v18
	s_mul_i32 s9, s27, s8
	s_mul_hi_u32 s27, s26, s8
	v_mad_u64_u32 v[2:3], null, s25, v6, v[5:6]
	s_mul_i32 s26, s26, s8
	s_add_i32 s27, s27, s9
	s_mul_i32 s9, s17, s8
	s_mul_hi_u32 s17, s16, s8
	v_lshlrev_b32_e32 v16, 2, v14
	v_lshl_or_b32 v15, v10, 5, v15
	v_mov_b32_e32 v5, v2
	v_mad_u64_u32 v[2:3], null, s14, v17, 0
	s_lshl_b64 s[14:15], s[26:27], 2
	v_lshl_add_u32 v12, v1, 5, 0x400
	v_lshlrev_b64 v[4:5], 2, v[4:5]
	s_add_u32 s14, s28, s14
	s_addc_u32 s15, s29, s15
	v_lshl_or_b32 v14, v13, 7, v16
	v_add3_u32 v3, v3, v9, v8
	v_lshlrev_b32_e32 v8, 2, v10
	v_add_co_u32 v4, vcc_lo, s14, v4
	v_add_co_ci_u32_e64 v5, null, s15, v5, vcc_lo
	v_lshlrev_b64 v[2:3], 2, v[2:3]
	s_add_i32 s15, s17, s9
	s_mul_i32 s14, s16, s8
	v_lshlrev_b32_e32 v9, 2, v13
	s_lshl_b64 s[14:15], s[14:15], 2
	v_add_nc_u32_e32 v15, 0x400, v15
	v_add_co_u32 v2, vcc_lo, v2, s14
	v_add_co_ci_u32_e64 v3, null, s15, v3, vcc_lo
	v_add_co_u32 v4, vcc_lo, v4, v8
	v_add_co_ci_u32_e64 v5, null, 0, v5, vcc_lo
	;; [unrolled: 2-line block ×5, first 2 shown]
	v_mov_b32_e32 v8, 0
	v_mov_b32_e32 v9, 0
	;; [unrolled: 1-line block ×3, first 2 shown]
	s_lshl_b64 s[12:13], s[24:25], 5
	s_mov_b64 s[14:15], 0
	s_branch .LBB53_3
.LBB53_2:                               ;   in Loop: Header=BB53_3 Depth=1
	s_or_b32 exec_lo, exec_lo, s9
	s_waitcnt vmcnt(0)
	ds_write_b32 v15, v17
	s_waitcnt lgkmcnt(0)
	s_barrier
	buffer_gl0_inv
	ds_read_b128 v[16:19], v12
	ds_read2_b32 v[32:33], v11 offset1:16
	ds_read_b128 v[20:23], v12 offset:512
	ds_read2_b32 v[34:35], v11 offset0:32 offset1:48
	ds_read2_b32 v[36:37], v11 offset0:64 offset1:80
	;; [unrolled: 1-line block ×3, first 2 shown]
	ds_read_b128 v[24:27], v12 offset:16
	ds_read2_b32 v[40:41], v11 offset0:128 offset1:144
	ds_read_b128 v[28:31], v12 offset:528
	ds_read2_b32 v[42:43], v11 offset0:160 offset1:176
	s_add_u32 s14, s14, 8
	s_addc_u32 s15, s15, 0
	v_add_co_u32 v2, vcc_lo, v2, s12
	v_cmp_lt_i64_e64 s9, s[14:15], s[10:11]
	v_add_co_ci_u32_e64 v3, null, s13, v3, vcc_lo
	v_add_co_u32 v4, vcc_lo, v4, 32
	v_add_co_ci_u32_e64 v5, null, 0, v5, vcc_lo
	s_waitcnt lgkmcnt(8)
	v_fmac_f32_e32 v10, v32, v16
	v_fmac_f32_e32 v9, v33, v16
	s_waitcnt lgkmcnt(7)
	v_fmac_f32_e32 v8, v32, v20
	v_fmac_f32_e32 v7, v33, v20
	ds_read2_b32 v[32:33], v11 offset0:192 offset1:208
	s_waitcnt lgkmcnt(7)
	v_fmac_f32_e32 v10, v34, v17
	v_fmac_f32_e32 v9, v35, v17
	;; [unrolled: 1-line block ×4, first 2 shown]
	ds_read2_b32 v[16:17], v11 offset0:224 offset1:240
	s_waitcnt lgkmcnt(7)
	v_fmac_f32_e32 v10, v36, v18
	v_fmac_f32_e32 v9, v37, v18
	;; [unrolled: 1-line block ×4, first 2 shown]
	s_and_b32 vcc_lo, exec_lo, s9
	s_waitcnt lgkmcnt(6)
	v_fmac_f32_e32 v10, v38, v19
	v_fmac_f32_e32 v9, v39, v19
	;; [unrolled: 1-line block ×4, first 2 shown]
	s_waitcnt lgkmcnt(0)
	v_fmac_f32_e32 v10, v40, v24
	v_fmac_f32_e32 v9, v41, v24
	;; [unrolled: 1-line block ×4, first 2 shown]
	s_barrier
	v_fmac_f32_e32 v10, v42, v25
	v_fmac_f32_e32 v9, v43, v25
	;; [unrolled: 1-line block ×4, first 2 shown]
	buffer_gl0_inv
	v_fmac_f32_e32 v10, v32, v26
	v_fmac_f32_e32 v9, v33, v26
	;; [unrolled: 1-line block ×8, first 2 shown]
	s_cbranch_vccz .LBB53_7
.LBB53_3:                               ; =>This Inner Loop Header: Depth=1
	v_add_co_u32 v16, s9, v13, s14
	v_add_co_ci_u32_e64 v17, null, 0, s15, s9
	v_cmp_gt_i64_e32 vcc_lo, s[10:11], v[16:17]
	v_mov_b32_e32 v16, 0
	s_and_b32 s16, s0, vcc_lo
	s_and_saveexec_b32 s9, s16
	s_cbranch_execz .LBB53_5
; %bb.4:                                ;   in Loop: Header=BB53_3 Depth=1
	global_load_dword v16, v[4:5], off
.LBB53_5:                               ;   in Loop: Header=BB53_3 Depth=1
	s_or_b32 exec_lo, exec_lo, s9
	v_add_co_u32 v17, s9, v6, s14
	v_add_co_ci_u32_e64 v18, null, 0, s15, s9
	s_waitcnt vmcnt(0)
	ds_write_b32 v14, v16
	v_cmp_gt_i64_e32 vcc_lo, s[10:11], v[17:18]
	v_mov_b32_e32 v17, 0
	s_and_b32 s16, vcc_lo, s1
	s_and_saveexec_b32 s9, s16
	s_cbranch_execz .LBB53_2
; %bb.6:                                ;   in Loop: Header=BB53_3 Depth=1
	global_load_dword v17, v[2:3], off
	s_branch .LBB53_2
.LBB53_7:
	s_clause 0x3
	s_load_dwordx4 s[24:27], s[4:5], 0x78
	s_load_dword s9, s[4:5], 0x50
	s_load_dwordx8 s[12:19], s[4:5], 0x58
	s_load_dword s4, s[4:5], 0x18
	v_add_co_u32 v1, s0, s2, v1
	v_add_co_ci_u32_e64 v2, null, s3, 0, s0
	s_waitcnt lgkmcnt(0)
	s_mul_i32 s1, s27, s8
	s_mul_hi_u32 s2, s26, s8
	s_mul_i32 s0, s26, s8
	s_add_i32 s1, s2, s1
	v_cmp_neq_f32_e64 s2, s9, 0
	s_lshl_b64 s[10:11], s[0:1], 2
	v_cmp_gt_i64_e64 s0, s[22:23], v[1:2]
	s_add_u32 s3, s18, s10
	s_addc_u32 s5, s19, s11
	s_and_b32 vcc_lo, exec_lo, s2
	s_cbranch_vccnz .LBB53_20
; %bb.8:
	s_and_saveexec_b32 s10, s0
	s_cbranch_execz .LBB53_18
; %bb.9:
	v_mul_lo_u32 v5, v2, s24
	v_mul_lo_u32 v6, v1, s25
	v_mad_u64_u32 v[3:4], null, v1, s24, 0
	v_add3_u32 v4, v4, v6, v5
	v_add_co_u32 v5, s1, s6, v0
	v_add_co_ci_u32_e64 v6, null, s7, 0, s1
	v_lshlrev_b64 v[11:12], 2, v[3:4]
	v_cmp_gt_i64_e32 vcc_lo, s[20:21], v[5:6]
	v_lshlrev_b64 v[3:4], 2, v[5:6]
	v_add_co_u32 v11, s1, s3, v11
	v_add_co_ci_u32_e64 v12, null, s5, v12, s1
	s_and_saveexec_b32 s2, vcc_lo
	s_cbranch_execz .LBB53_11
; %bb.10:
	v_add_co_u32 v13, s1, v11, v3
	v_add_co_ci_u32_e64 v14, null, v12, v4, s1
	v_mul_f32_e32 v15, s4, v10
	global_store_dword v[13:14], v15, off
.LBB53_11:
	s_or_b32 exec_lo, exec_lo, s2
	v_add_co_u32 v5, s1, v5, 16
	v_add_co_ci_u32_e64 v6, null, 0, v6, s1
	v_cmp_gt_i64_e64 s1, s[20:21], v[5:6]
	s_and_saveexec_b32 s11, s1
	s_cbranch_execz .LBB53_13
; %bb.12:
	v_add_co_u32 v5, s2, v11, v3
	v_add_co_ci_u32_e64 v6, null, v12, v4, s2
	v_mul_f32_e32 v13, s4, v9
	global_store_dword v[5:6], v13, off offset:64
.LBB53_13:
	s_or_b32 exec_lo, exec_lo, s11
	v_add_co_u32 v5, s2, v1, 16
	v_add_co_ci_u32_e64 v6, null, 0, v2, s2
	v_cmp_gt_i64_e64 s2, s[22:23], v[5:6]
	s_and_b32 exec_lo, exec_lo, s2
	s_cbranch_execz .LBB53_18
; %bb.14:
	s_lshl_b64 s[18:19], s[24:25], 6
	v_add_co_u32 v5, s2, v11, s18
	v_add_co_ci_u32_e64 v6, null, s19, v12, s2
	v_add_co_u32 v3, s2, v5, v3
	v_add_co_ci_u32_e64 v4, null, v6, v4, s2
	s_and_saveexec_b32 s2, vcc_lo
	s_cbranch_execz .LBB53_16
; %bb.15:
	v_mul_f32_e32 v5, s4, v8
	global_store_dword v[3:4], v5, off
.LBB53_16:
	s_or_b32 exec_lo, exec_lo, s2
	s_and_b32 exec_lo, exec_lo, s1
	s_cbranch_execz .LBB53_18
; %bb.17:
	v_mul_f32_e32 v5, s4, v7
	global_store_dword v[3:4], v5, off offset:64
.LBB53_18:
	s_or_b32 exec_lo, exec_lo, s10
	s_cbranch_execz .LBB53_21
.LBB53_19:
	s_endpgm
.LBB53_20:
.LBB53_21:
	s_and_saveexec_b32 s1, s0
	s_cbranch_execz .LBB53_19
; %bb.22:
	v_mul_lo_u32 v5, v2, s14
	v_mul_lo_u32 v6, v1, s15
	v_mad_u64_u32 v[3:4], null, v1, s14, 0
	v_mul_lo_u32 v13, v2, s24
	v_mul_lo_u32 v14, v1, s25
	v_mad_u64_u32 v[11:12], null, v1, s24, 0
	s_mul_i32 s0, s17, s8
	s_mul_hi_u32 s1, s16, s8
	v_add3_u32 v4, v4, v6, v5
	s_add_i32 s1, s1, s0
	s_mul_i32 s0, s16, s8
	v_add_co_u32 v5, s2, s6, v0
	v_add3_u32 v12, v12, v14, v13
	v_lshlrev_b64 v[3:4], 2, v[3:4]
	s_lshl_b64 s[0:1], s[0:1], 2
	v_add_co_ci_u32_e64 v6, null, s7, 0, s2
	v_lshlrev_b64 v[12:13], 2, v[11:12]
	s_add_u32 s0, s12, s0
	s_addc_u32 s1, s13, s1
	v_add_co_u32 v0, s0, s0, v3
	v_add_co_ci_u32_e64 v11, null, s1, v4, s0
	v_add_co_u32 v12, s0, s3, v12
	v_cmp_gt_i64_e32 vcc_lo, s[20:21], v[5:6]
	v_lshlrev_b64 v[3:4], 2, v[5:6]
	v_add_co_ci_u32_e64 v13, null, s5, v13, s0
	s_and_saveexec_b32 s1, vcc_lo
	s_cbranch_execz .LBB53_24
; %bb.23:
	v_add_co_u32 v14, s0, v0, v3
	v_add_co_ci_u32_e64 v15, null, v11, v4, s0
	global_load_dword v14, v[14:15], off
	s_waitcnt vmcnt(0)
	v_mul_f32_e32 v16, s9, v14
	v_add_co_u32 v14, s0, v12, v3
	v_add_co_ci_u32_e64 v15, null, v13, v4, s0
	v_fmac_f32_e32 v16, s4, v10
	global_store_dword v[14:15], v16, off
.LBB53_24:
	s_or_b32 exec_lo, exec_lo, s1
	v_add_co_u32 v5, s0, v5, 16
	v_add_co_ci_u32_e64 v6, null, 0, v6, s0
	v_cmp_gt_i64_e64 s0, s[20:21], v[5:6]
	s_and_saveexec_b32 s2, s0
	s_cbranch_execz .LBB53_26
; %bb.25:
	v_add_co_u32 v5, s1, v0, v3
	v_add_co_ci_u32_e64 v6, null, v11, v4, s1
	global_load_dword v5, v[5:6], off offset:64
	s_waitcnt vmcnt(0)
	v_mul_f32_e32 v10, s9, v5
	v_add_co_u32 v5, s1, v12, v3
	v_add_co_ci_u32_e64 v6, null, v13, v4, s1
	v_fmac_f32_e32 v10, s4, v9
	global_store_dword v[5:6], v10, off offset:64
.LBB53_26:
	s_or_b32 exec_lo, exec_lo, s2
	v_add_co_u32 v1, s1, v1, 16
	v_add_co_ci_u32_e64 v2, null, 0, v2, s1
	v_cmp_gt_i64_e64 s1, s[22:23], v[1:2]
	s_and_b32 exec_lo, exec_lo, s1
	s_cbranch_execz .LBB53_19
; %bb.27:
	s_lshl_b64 s[2:3], s[14:15], 6
	v_add_co_u32 v0, s1, v0, s2
	v_add_co_ci_u32_e64 v1, null, s3, v11, s1
	s_lshl_b64 s[2:3], s[24:25], 6
	v_add_co_u32 v2, s1, v12, s2
	v_add_co_ci_u32_e64 v5, null, s3, v13, s1
	v_add_co_u32 v0, s1, v0, v3
	v_add_co_ci_u32_e64 v1, null, v1, v4, s1
	;; [unrolled: 2-line block ×3, first 2 shown]
	s_and_saveexec_b32 s1, vcc_lo
	s_cbranch_execz .LBB53_29
; %bb.28:
	global_load_dword v4, v[0:1], off
	s_waitcnt vmcnt(0)
	v_mul_f32_e32 v4, s9, v4
	v_fmac_f32_e32 v4, s4, v8
	global_store_dword v[2:3], v4, off
.LBB53_29:
	s_or_b32 exec_lo, exec_lo, s1
	s_and_b32 exec_lo, exec_lo, s0
	s_cbranch_execz .LBB53_19
; %bb.30:
	global_load_dword v0, v[0:1], off offset:64
	s_waitcnt vmcnt(0)
	v_mul_f32_e32 v0, s9, v0
	v_fmac_f32_e32 v0, s4, v7
	global_store_dword v[2:3], v0, off offset:64
	s_endpgm
	.section	.rodata,"a",@progbits
	.p2align	6, 0x0
	.amdhsa_kernel _ZN12_GLOBAL__N_135rocblas_gemm_batched_general_kernelIfLi16ELi16ELi32ELi32ELi8ELi32ELi8ELi8ELi32ELc67ELc67EKfS1_fEEvlllT_PT11_llS4_llS2_PT12_llPT13_lli
		.amdhsa_group_segment_fixed_size 2048
		.amdhsa_private_segment_fixed_size 0
		.amdhsa_kernarg_size 140
		.amdhsa_user_sgpr_count 6
		.amdhsa_user_sgpr_private_segment_buffer 1
		.amdhsa_user_sgpr_dispatch_ptr 0
		.amdhsa_user_sgpr_queue_ptr 0
		.amdhsa_user_sgpr_kernarg_segment_ptr 1
		.amdhsa_user_sgpr_dispatch_id 0
		.amdhsa_user_sgpr_flat_scratch_init 0
		.amdhsa_user_sgpr_private_segment_size 0
		.amdhsa_wavefront_size32 1
		.amdhsa_uses_dynamic_stack 0
		.amdhsa_system_sgpr_private_segment_wavefront_offset 0
		.amdhsa_system_sgpr_workgroup_id_x 1
		.amdhsa_system_sgpr_workgroup_id_y 1
		.amdhsa_system_sgpr_workgroup_id_z 1
		.amdhsa_system_sgpr_workgroup_info 0
		.amdhsa_system_vgpr_workitem_id 1
		.amdhsa_next_free_vgpr 44
		.amdhsa_next_free_sgpr 30
		.amdhsa_reserve_vcc 1
		.amdhsa_reserve_flat_scratch 0
		.amdhsa_float_round_mode_32 0
		.amdhsa_float_round_mode_16_64 0
		.amdhsa_float_denorm_mode_32 3
		.amdhsa_float_denorm_mode_16_64 3
		.amdhsa_dx10_clamp 1
		.amdhsa_ieee_mode 1
		.amdhsa_fp16_overflow 0
		.amdhsa_workgroup_processor_mode 1
		.amdhsa_memory_ordered 1
		.amdhsa_forward_progress 1
		.amdhsa_shared_vgpr_count 0
		.amdhsa_exception_fp_ieee_invalid_op 0
		.amdhsa_exception_fp_denorm_src 0
		.amdhsa_exception_fp_ieee_div_zero 0
		.amdhsa_exception_fp_ieee_overflow 0
		.amdhsa_exception_fp_ieee_underflow 0
		.amdhsa_exception_fp_ieee_inexact 0
		.amdhsa_exception_int_div_zero 0
	.end_amdhsa_kernel
	.section	.text._ZN12_GLOBAL__N_135rocblas_gemm_batched_general_kernelIfLi16ELi16ELi32ELi32ELi8ELi32ELi8ELi8ELi32ELc67ELc67EKfS1_fEEvlllT_PT11_llS4_llS2_PT12_llPT13_lli,"axG",@progbits,_ZN12_GLOBAL__N_135rocblas_gemm_batched_general_kernelIfLi16ELi16ELi32ELi32ELi8ELi32ELi8ELi8ELi32ELc67ELc67EKfS1_fEEvlllT_PT11_llS4_llS2_PT12_llPT13_lli,comdat
.Lfunc_end53:
	.size	_ZN12_GLOBAL__N_135rocblas_gemm_batched_general_kernelIfLi16ELi16ELi32ELi32ELi8ELi32ELi8ELi8ELi32ELc67ELc67EKfS1_fEEvlllT_PT11_llS4_llS2_PT12_llPT13_lli, .Lfunc_end53-_ZN12_GLOBAL__N_135rocblas_gemm_batched_general_kernelIfLi16ELi16ELi32ELi32ELi8ELi32ELi8ELi8ELi32ELc67ELc67EKfS1_fEEvlllT_PT11_llS4_llS2_PT12_llPT13_lli
                                        ; -- End function
	.set _ZN12_GLOBAL__N_135rocblas_gemm_batched_general_kernelIfLi16ELi16ELi32ELi32ELi8ELi32ELi8ELi8ELi32ELc67ELc67EKfS1_fEEvlllT_PT11_llS4_llS2_PT12_llPT13_lli.num_vgpr, 44
	.set _ZN12_GLOBAL__N_135rocblas_gemm_batched_general_kernelIfLi16ELi16ELi32ELi32ELi8ELi32ELi8ELi8ELi32ELc67ELc67EKfS1_fEEvlllT_PT11_llS4_llS2_PT12_llPT13_lli.num_agpr, 0
	.set _ZN12_GLOBAL__N_135rocblas_gemm_batched_general_kernelIfLi16ELi16ELi32ELi32ELi8ELi32ELi8ELi8ELi32ELc67ELc67EKfS1_fEEvlllT_PT11_llS4_llS2_PT12_llPT13_lli.numbered_sgpr, 30
	.set _ZN12_GLOBAL__N_135rocblas_gemm_batched_general_kernelIfLi16ELi16ELi32ELi32ELi8ELi32ELi8ELi8ELi32ELc67ELc67EKfS1_fEEvlllT_PT11_llS4_llS2_PT12_llPT13_lli.num_named_barrier, 0
	.set _ZN12_GLOBAL__N_135rocblas_gemm_batched_general_kernelIfLi16ELi16ELi32ELi32ELi8ELi32ELi8ELi8ELi32ELc67ELc67EKfS1_fEEvlllT_PT11_llS4_llS2_PT12_llPT13_lli.private_seg_size, 0
	.set _ZN12_GLOBAL__N_135rocblas_gemm_batched_general_kernelIfLi16ELi16ELi32ELi32ELi8ELi32ELi8ELi8ELi32ELc67ELc67EKfS1_fEEvlllT_PT11_llS4_llS2_PT12_llPT13_lli.uses_vcc, 1
	.set _ZN12_GLOBAL__N_135rocblas_gemm_batched_general_kernelIfLi16ELi16ELi32ELi32ELi8ELi32ELi8ELi8ELi32ELc67ELc67EKfS1_fEEvlllT_PT11_llS4_llS2_PT12_llPT13_lli.uses_flat_scratch, 0
	.set _ZN12_GLOBAL__N_135rocblas_gemm_batched_general_kernelIfLi16ELi16ELi32ELi32ELi8ELi32ELi8ELi8ELi32ELc67ELc67EKfS1_fEEvlllT_PT11_llS4_llS2_PT12_llPT13_lli.has_dyn_sized_stack, 0
	.set _ZN12_GLOBAL__N_135rocblas_gemm_batched_general_kernelIfLi16ELi16ELi32ELi32ELi8ELi32ELi8ELi8ELi32ELc67ELc67EKfS1_fEEvlllT_PT11_llS4_llS2_PT12_llPT13_lli.has_recursion, 0
	.set _ZN12_GLOBAL__N_135rocblas_gemm_batched_general_kernelIfLi16ELi16ELi32ELi32ELi8ELi32ELi8ELi8ELi32ELc67ELc67EKfS1_fEEvlllT_PT11_llS4_llS2_PT12_llPT13_lli.has_indirect_call, 0
	.section	.AMDGPU.csdata,"",@progbits
; Kernel info:
; codeLenInByte = 1892
; TotalNumSgprs: 32
; NumVgprs: 44
; ScratchSize: 0
; MemoryBound: 0
; FloatMode: 240
; IeeeMode: 1
; LDSByteSize: 2048 bytes/workgroup (compile time only)
; SGPRBlocks: 0
; VGPRBlocks: 5
; NumSGPRsForWavesPerEU: 32
; NumVGPRsForWavesPerEU: 44
; Occupancy: 16
; WaveLimiterHint : 0
; COMPUTE_PGM_RSRC2:SCRATCH_EN: 0
; COMPUTE_PGM_RSRC2:USER_SGPR: 6
; COMPUTE_PGM_RSRC2:TRAP_HANDLER: 0
; COMPUTE_PGM_RSRC2:TGID_X_EN: 1
; COMPUTE_PGM_RSRC2:TGID_Y_EN: 1
; COMPUTE_PGM_RSRC2:TGID_Z_EN: 1
; COMPUTE_PGM_RSRC2:TIDIG_COMP_CNT: 1
	.section	.text._ZN12_GLOBAL__N_135rocblas_gemm_batched_general_kernelIfLi16ELi16ELi32ELi32ELi8ELi32ELi8ELi8ELi32ELc67ELc78EKfS1_fEEvlllT_PT11_llS4_llS2_PT12_llPT13_lli,"axG",@progbits,_ZN12_GLOBAL__N_135rocblas_gemm_batched_general_kernelIfLi16ELi16ELi32ELi32ELi8ELi32ELi8ELi8ELi32ELc67ELc78EKfS1_fEEvlllT_PT11_llS4_llS2_PT12_llPT13_lli,comdat
	.globl	_ZN12_GLOBAL__N_135rocblas_gemm_batched_general_kernelIfLi16ELi16ELi32ELi32ELi8ELi32ELi8ELi8ELi32ELc67ELc78EKfS1_fEEvlllT_PT11_llS4_llS2_PT12_llPT13_lli ; -- Begin function _ZN12_GLOBAL__N_135rocblas_gemm_batched_general_kernelIfLi16ELi16ELi32ELi32ELi8ELi32ELi8ELi8ELi32ELc67ELc78EKfS1_fEEvlllT_PT11_llS4_llS2_PT12_llPT13_lli
	.p2align	8
	.type	_ZN12_GLOBAL__N_135rocblas_gemm_batched_general_kernelIfLi16ELi16ELi32ELi32ELi8ELi32ELi8ELi8ELi32ELc67ELc78EKfS1_fEEvlllT_PT11_llS4_llS2_PT12_llPT13_lli,@function
_ZN12_GLOBAL__N_135rocblas_gemm_batched_general_kernelIfLi16ELi16ELi32ELi32ELi8ELi32ELi8ELi8ELi32ELc67ELc78EKfS1_fEEvlllT_PT11_llS4_llS2_PT12_llPT13_lli: ; @_ZN12_GLOBAL__N_135rocblas_gemm_batched_general_kernelIfLi16ELi16ELi32ELi32ELi8ELi32ELi8ELi8ELi32ELc67ELc78EKfS1_fEEvlllT_PT11_llS4_llS2_PT12_llPT13_lli
; %bb.0:
	s_clause 0x1
	s_load_dwordx2 s[10:11], s[4:5], 0x10
	s_load_dwordx4 s[20:23], s[4:5], 0x0
	s_mov_b32 s0, s7
	v_mov_b32_e32 v10, 0
	v_mov_b32_e32 v9, 0
	;; [unrolled: 1-line block ×4, first 2 shown]
	s_ashr_i32 s7, s6, 31
	s_ashr_i32 s1, s0, 31
	s_lshl_b64 s[6:7], s[6:7], 5
	s_waitcnt lgkmcnt(0)
	v_cmp_lt_i64_e64 s2, s[10:11], 1
	s_and_b32 vcc_lo, exec_lo, s2
	s_lshl_b64 s[2:3], s[0:1], 5
	s_cbranch_vccnz .LBB54_7
; %bb.1:
	s_load_dwordx4 s[24:27], s[4:5], 0x40
	v_lshl_add_u32 v2, v1, 4, v0
	s_load_dwordx8 s[12:19], s[4:5], 0x20
	v_and_b32_e32 v6, 7, v0
	v_mov_b32_e32 v3, s7
	v_mov_b32_e32 v7, 0
	v_lshrrev_b32_e32 v9, 3, v2
	v_and_b32_e32 v8, 31, v2
	v_lshlrev_b32_e32 v10, 2, v6
	v_lshrrev_b32_e32 v11, 5, v2
	v_add_co_u32 v4, s0, v9, s2
	v_or_b32_e32 v2, s6, v8
	v_add_co_ci_u32_e64 v5, null, 0, s3, s0
	v_lshlrev_b32_e32 v12, 2, v8
	v_add_co_u32 v8, s1, s6, v8
	v_lshl_or_b32 v9, v9, 5, v10
	v_add_co_ci_u32_e64 v14, null, s7, 0, s1
	v_cmp_gt_i64_e64 s0, s[20:21], v[2:3]
	s_waitcnt lgkmcnt(0)
	v_mul_lo_u32 v15, s25, v4
	v_mul_lo_u32 v16, s24, v5
	v_mad_u64_u32 v[2:3], null, s24, v4, 0
	v_cmp_gt_i64_e64 s1, s[22:23], v[4:5]
	v_add_nc_u32_e32 v13, 0x400, v9
	v_mul_lo_u32 v9, s15, v8
	v_mul_lo_u32 v17, s14, v14
	v_mad_u64_u32 v[4:5], null, s14, v8, 0
	v_add3_u32 v3, v3, v16, v15
	s_mul_i32 s9, s27, s8
	s_mul_hi_u32 s14, s26, s8
	v_lshlrev_b32_e32 v8, 2, v11
	s_add_i32 s15, s14, s9
	v_lshlrev_b64 v[2:3], 2, v[2:3]
	v_add3_u32 v5, v5, v17, v9
	s_mul_i32 s14, s26, s8
	s_mul_i32 s9, s17, s8
	s_lshl_b64 s[14:15], s[14:15], 2
	s_mul_hi_u32 s17, s16, s8
	v_lshlrev_b64 v[4:5], 2, v[4:5]
	s_add_i32 s17, s17, s9
	s_mul_i32 s16, s16, s8
	v_add_co_u32 v2, vcc_lo, v2, s14
	v_add_co_ci_u32_e64 v3, null, s15, v3, vcc_lo
	s_lshl_b64 s[14:15], s[16:17], 2
	v_lshl_or_b32 v12, v11, 7, v12
	v_add_co_u32 v4, vcc_lo, v4, s14
	v_add_co_ci_u32_e64 v5, null, s15, v5, vcc_lo
	v_add_co_u32 v2, vcc_lo, v2, v10
	v_add_co_ci_u32_e64 v3, null, 0, v3, vcc_lo
	;; [unrolled: 2-line block ×4, first 2 shown]
	v_add_co_u32 v4, vcc_lo, s12, v4
	v_lshlrev_b32_e32 v14, 2, v0
	v_lshl_add_u32 v15, v1, 5, 0x400
	v_add_co_ci_u32_e64 v5, null, s13, v5, vcc_lo
	v_mov_b32_e32 v8, 0
	v_mov_b32_e32 v9, 0
	;; [unrolled: 1-line block ×3, first 2 shown]
	s_mov_b64 s[12:13], 0
	s_branch .LBB54_3
.LBB54_2:                               ;   in Loop: Header=BB54_3 Depth=1
	s_or_b32 exec_lo, exec_lo, s9
	s_waitcnt vmcnt(0)
	ds_write_b32 v13, v17
	s_waitcnt lgkmcnt(0)
	s_barrier
	buffer_gl0_inv
	ds_read_b128 v[16:19], v15
	ds_read2_b32 v[32:33], v14 offset1:16
	ds_read_b128 v[20:23], v15 offset:512
	ds_read2_b32 v[34:35], v14 offset0:32 offset1:48
	ds_read2_b32 v[36:37], v14 offset0:64 offset1:80
	;; [unrolled: 1-line block ×3, first 2 shown]
	ds_read_b128 v[24:27], v15 offset:16
	ds_read2_b32 v[40:41], v14 offset0:128 offset1:144
	ds_read_b128 v[28:31], v15 offset:528
	ds_read2_b32 v[42:43], v14 offset0:160 offset1:176
	s_add_u32 s12, s12, 8
	s_addc_u32 s13, s13, 0
	v_add_co_u32 v2, vcc_lo, v2, 32
	v_cmp_lt_i64_e64 s9, s[12:13], s[10:11]
	v_add_co_ci_u32_e64 v3, null, 0, v3, vcc_lo
	v_add_co_u32 v4, vcc_lo, v4, 32
	v_add_co_ci_u32_e64 v5, null, 0, v5, vcc_lo
	s_waitcnt lgkmcnt(8)
	v_fmac_f32_e32 v10, v32, v16
	v_fmac_f32_e32 v9, v33, v16
	s_waitcnt lgkmcnt(7)
	v_fmac_f32_e32 v8, v32, v20
	v_fmac_f32_e32 v7, v33, v20
	ds_read2_b32 v[32:33], v14 offset0:192 offset1:208
	s_waitcnt lgkmcnt(7)
	v_fmac_f32_e32 v10, v34, v17
	v_fmac_f32_e32 v9, v35, v17
	;; [unrolled: 1-line block ×4, first 2 shown]
	ds_read2_b32 v[16:17], v14 offset0:224 offset1:240
	s_waitcnt lgkmcnt(7)
	v_fmac_f32_e32 v10, v36, v18
	v_fmac_f32_e32 v9, v37, v18
	;; [unrolled: 1-line block ×4, first 2 shown]
	s_and_b32 vcc_lo, exec_lo, s9
	s_waitcnt lgkmcnt(6)
	v_fmac_f32_e32 v10, v38, v19
	v_fmac_f32_e32 v9, v39, v19
	;; [unrolled: 1-line block ×4, first 2 shown]
	s_waitcnt lgkmcnt(0)
	v_fmac_f32_e32 v10, v40, v24
	v_fmac_f32_e32 v9, v41, v24
	v_fmac_f32_e32 v8, v40, v28
	v_fmac_f32_e32 v7, v41, v28
	s_barrier
	v_fmac_f32_e32 v10, v42, v25
	v_fmac_f32_e32 v9, v43, v25
	;; [unrolled: 1-line block ×4, first 2 shown]
	buffer_gl0_inv
	v_fmac_f32_e32 v10, v32, v26
	v_fmac_f32_e32 v9, v33, v26
	;; [unrolled: 1-line block ×8, first 2 shown]
	s_cbranch_vccz .LBB54_7
.LBB54_3:                               ; =>This Inner Loop Header: Depth=1
	v_add_co_u32 v16, s9, v11, s12
	v_add_co_ci_u32_e64 v17, null, 0, s13, s9
	v_cmp_gt_i64_e32 vcc_lo, s[10:11], v[16:17]
	v_mov_b32_e32 v16, 0
	s_and_b32 s14, s0, vcc_lo
	s_and_saveexec_b32 s9, s14
	s_cbranch_execz .LBB54_5
; %bb.4:                                ;   in Loop: Header=BB54_3 Depth=1
	global_load_dword v16, v[4:5], off
.LBB54_5:                               ;   in Loop: Header=BB54_3 Depth=1
	s_or_b32 exec_lo, exec_lo, s9
	v_add_co_u32 v17, s9, v6, s12
	v_add_co_ci_u32_e64 v18, null, 0, s13, s9
	s_waitcnt vmcnt(0)
	ds_write_b32 v12, v16
	v_cmp_gt_i64_e32 vcc_lo, s[10:11], v[17:18]
	v_mov_b32_e32 v17, 0
	s_and_b32 s14, vcc_lo, s1
	s_and_saveexec_b32 s9, s14
	s_cbranch_execz .LBB54_2
; %bb.6:                                ;   in Loop: Header=BB54_3 Depth=1
	global_load_dword v17, v[2:3], off
	s_branch .LBB54_2
.LBB54_7:
	s_clause 0x3
	s_load_dwordx4 s[24:27], s[4:5], 0x78
	s_load_dword s9, s[4:5], 0x50
	s_load_dwordx8 s[12:19], s[4:5], 0x58
	s_load_dword s4, s[4:5], 0x18
	v_add_co_u32 v1, s0, s2, v1
	v_add_co_ci_u32_e64 v2, null, s3, 0, s0
	s_waitcnt lgkmcnt(0)
	s_mul_i32 s1, s27, s8
	s_mul_hi_u32 s2, s26, s8
	s_mul_i32 s0, s26, s8
	s_add_i32 s1, s2, s1
	v_cmp_neq_f32_e64 s2, s9, 0
	s_lshl_b64 s[10:11], s[0:1], 2
	v_cmp_gt_i64_e64 s0, s[22:23], v[1:2]
	s_add_u32 s3, s18, s10
	s_addc_u32 s5, s19, s11
	s_and_b32 vcc_lo, exec_lo, s2
	s_cbranch_vccnz .LBB54_20
; %bb.8:
	s_and_saveexec_b32 s10, s0
	s_cbranch_execz .LBB54_18
; %bb.9:
	v_mul_lo_u32 v5, v2, s24
	v_mul_lo_u32 v6, v1, s25
	v_mad_u64_u32 v[3:4], null, v1, s24, 0
	v_add3_u32 v4, v4, v6, v5
	v_add_co_u32 v5, s1, s6, v0
	v_add_co_ci_u32_e64 v6, null, s7, 0, s1
	v_lshlrev_b64 v[11:12], 2, v[3:4]
	v_cmp_gt_i64_e32 vcc_lo, s[20:21], v[5:6]
	v_lshlrev_b64 v[3:4], 2, v[5:6]
	v_add_co_u32 v11, s1, s3, v11
	v_add_co_ci_u32_e64 v12, null, s5, v12, s1
	s_and_saveexec_b32 s2, vcc_lo
	s_cbranch_execz .LBB54_11
; %bb.10:
	v_add_co_u32 v13, s1, v11, v3
	v_add_co_ci_u32_e64 v14, null, v12, v4, s1
	v_mul_f32_e32 v15, s4, v10
	global_store_dword v[13:14], v15, off
.LBB54_11:
	s_or_b32 exec_lo, exec_lo, s2
	v_add_co_u32 v5, s1, v5, 16
	v_add_co_ci_u32_e64 v6, null, 0, v6, s1
	v_cmp_gt_i64_e64 s1, s[20:21], v[5:6]
	s_and_saveexec_b32 s11, s1
	s_cbranch_execz .LBB54_13
; %bb.12:
	v_add_co_u32 v5, s2, v11, v3
	v_add_co_ci_u32_e64 v6, null, v12, v4, s2
	v_mul_f32_e32 v13, s4, v9
	global_store_dword v[5:6], v13, off offset:64
.LBB54_13:
	s_or_b32 exec_lo, exec_lo, s11
	v_add_co_u32 v5, s2, v1, 16
	v_add_co_ci_u32_e64 v6, null, 0, v2, s2
	v_cmp_gt_i64_e64 s2, s[22:23], v[5:6]
	s_and_b32 exec_lo, exec_lo, s2
	s_cbranch_execz .LBB54_18
; %bb.14:
	s_lshl_b64 s[18:19], s[24:25], 6
	v_add_co_u32 v5, s2, v11, s18
	v_add_co_ci_u32_e64 v6, null, s19, v12, s2
	v_add_co_u32 v3, s2, v5, v3
	v_add_co_ci_u32_e64 v4, null, v6, v4, s2
	s_and_saveexec_b32 s2, vcc_lo
	s_cbranch_execz .LBB54_16
; %bb.15:
	v_mul_f32_e32 v5, s4, v8
	global_store_dword v[3:4], v5, off
.LBB54_16:
	s_or_b32 exec_lo, exec_lo, s2
	s_and_b32 exec_lo, exec_lo, s1
	s_cbranch_execz .LBB54_18
; %bb.17:
	v_mul_f32_e32 v5, s4, v7
	global_store_dword v[3:4], v5, off offset:64
.LBB54_18:
	s_or_b32 exec_lo, exec_lo, s10
	s_cbranch_execz .LBB54_21
.LBB54_19:
	s_endpgm
.LBB54_20:
.LBB54_21:
	s_and_saveexec_b32 s1, s0
	s_cbranch_execz .LBB54_19
; %bb.22:
	v_mul_lo_u32 v5, v2, s14
	v_mul_lo_u32 v6, v1, s15
	v_mad_u64_u32 v[3:4], null, v1, s14, 0
	v_mul_lo_u32 v13, v2, s24
	v_mul_lo_u32 v14, v1, s25
	v_mad_u64_u32 v[11:12], null, v1, s24, 0
	s_mul_i32 s0, s17, s8
	s_mul_hi_u32 s1, s16, s8
	v_add3_u32 v4, v4, v6, v5
	s_add_i32 s1, s1, s0
	s_mul_i32 s0, s16, s8
	v_add_co_u32 v5, s2, s6, v0
	v_add3_u32 v12, v12, v14, v13
	v_lshlrev_b64 v[3:4], 2, v[3:4]
	s_lshl_b64 s[0:1], s[0:1], 2
	v_add_co_ci_u32_e64 v6, null, s7, 0, s2
	v_lshlrev_b64 v[12:13], 2, v[11:12]
	s_add_u32 s0, s12, s0
	s_addc_u32 s1, s13, s1
	v_add_co_u32 v0, s0, s0, v3
	v_add_co_ci_u32_e64 v11, null, s1, v4, s0
	v_add_co_u32 v12, s0, s3, v12
	v_cmp_gt_i64_e32 vcc_lo, s[20:21], v[5:6]
	v_lshlrev_b64 v[3:4], 2, v[5:6]
	v_add_co_ci_u32_e64 v13, null, s5, v13, s0
	s_and_saveexec_b32 s1, vcc_lo
	s_cbranch_execz .LBB54_24
; %bb.23:
	v_add_co_u32 v14, s0, v0, v3
	v_add_co_ci_u32_e64 v15, null, v11, v4, s0
	global_load_dword v14, v[14:15], off
	s_waitcnt vmcnt(0)
	v_mul_f32_e32 v16, s9, v14
	v_add_co_u32 v14, s0, v12, v3
	v_add_co_ci_u32_e64 v15, null, v13, v4, s0
	v_fmac_f32_e32 v16, s4, v10
	global_store_dword v[14:15], v16, off
.LBB54_24:
	s_or_b32 exec_lo, exec_lo, s1
	v_add_co_u32 v5, s0, v5, 16
	v_add_co_ci_u32_e64 v6, null, 0, v6, s0
	v_cmp_gt_i64_e64 s0, s[20:21], v[5:6]
	s_and_saveexec_b32 s2, s0
	s_cbranch_execz .LBB54_26
; %bb.25:
	v_add_co_u32 v5, s1, v0, v3
	v_add_co_ci_u32_e64 v6, null, v11, v4, s1
	global_load_dword v5, v[5:6], off offset:64
	s_waitcnt vmcnt(0)
	v_mul_f32_e32 v10, s9, v5
	v_add_co_u32 v5, s1, v12, v3
	v_add_co_ci_u32_e64 v6, null, v13, v4, s1
	v_fmac_f32_e32 v10, s4, v9
	global_store_dword v[5:6], v10, off offset:64
.LBB54_26:
	s_or_b32 exec_lo, exec_lo, s2
	v_add_co_u32 v1, s1, v1, 16
	v_add_co_ci_u32_e64 v2, null, 0, v2, s1
	v_cmp_gt_i64_e64 s1, s[22:23], v[1:2]
	s_and_b32 exec_lo, exec_lo, s1
	s_cbranch_execz .LBB54_19
; %bb.27:
	s_lshl_b64 s[2:3], s[14:15], 6
	v_add_co_u32 v0, s1, v0, s2
	v_add_co_ci_u32_e64 v1, null, s3, v11, s1
	s_lshl_b64 s[2:3], s[24:25], 6
	v_add_co_u32 v2, s1, v12, s2
	v_add_co_ci_u32_e64 v5, null, s3, v13, s1
	v_add_co_u32 v0, s1, v0, v3
	v_add_co_ci_u32_e64 v1, null, v1, v4, s1
	;; [unrolled: 2-line block ×3, first 2 shown]
	s_and_saveexec_b32 s1, vcc_lo
	s_cbranch_execz .LBB54_29
; %bb.28:
	global_load_dword v4, v[0:1], off
	s_waitcnt vmcnt(0)
	v_mul_f32_e32 v4, s9, v4
	v_fmac_f32_e32 v4, s4, v8
	global_store_dword v[2:3], v4, off
.LBB54_29:
	s_or_b32 exec_lo, exec_lo, s1
	s_and_b32 exec_lo, exec_lo, s0
	s_cbranch_execz .LBB54_19
; %bb.30:
	global_load_dword v0, v[0:1], off offset:64
	s_waitcnt vmcnt(0)
	v_mul_f32_e32 v0, s9, v0
	v_fmac_f32_e32 v0, s4, v7
	global_store_dword v[2:3], v0, off offset:64
	s_endpgm
	.section	.rodata,"a",@progbits
	.p2align	6, 0x0
	.amdhsa_kernel _ZN12_GLOBAL__N_135rocblas_gemm_batched_general_kernelIfLi16ELi16ELi32ELi32ELi8ELi32ELi8ELi8ELi32ELc67ELc78EKfS1_fEEvlllT_PT11_llS4_llS2_PT12_llPT13_lli
		.amdhsa_group_segment_fixed_size 2048
		.amdhsa_private_segment_fixed_size 0
		.amdhsa_kernarg_size 140
		.amdhsa_user_sgpr_count 6
		.amdhsa_user_sgpr_private_segment_buffer 1
		.amdhsa_user_sgpr_dispatch_ptr 0
		.amdhsa_user_sgpr_queue_ptr 0
		.amdhsa_user_sgpr_kernarg_segment_ptr 1
		.amdhsa_user_sgpr_dispatch_id 0
		.amdhsa_user_sgpr_flat_scratch_init 0
		.amdhsa_user_sgpr_private_segment_size 0
		.amdhsa_wavefront_size32 1
		.amdhsa_uses_dynamic_stack 0
		.amdhsa_system_sgpr_private_segment_wavefront_offset 0
		.amdhsa_system_sgpr_workgroup_id_x 1
		.amdhsa_system_sgpr_workgroup_id_y 1
		.amdhsa_system_sgpr_workgroup_id_z 1
		.amdhsa_system_sgpr_workgroup_info 0
		.amdhsa_system_vgpr_workitem_id 1
		.amdhsa_next_free_vgpr 44
		.amdhsa_next_free_sgpr 28
		.amdhsa_reserve_vcc 1
		.amdhsa_reserve_flat_scratch 0
		.amdhsa_float_round_mode_32 0
		.amdhsa_float_round_mode_16_64 0
		.amdhsa_float_denorm_mode_32 3
		.amdhsa_float_denorm_mode_16_64 3
		.amdhsa_dx10_clamp 1
		.amdhsa_ieee_mode 1
		.amdhsa_fp16_overflow 0
		.amdhsa_workgroup_processor_mode 1
		.amdhsa_memory_ordered 1
		.amdhsa_forward_progress 1
		.amdhsa_shared_vgpr_count 0
		.amdhsa_exception_fp_ieee_invalid_op 0
		.amdhsa_exception_fp_denorm_src 0
		.amdhsa_exception_fp_ieee_div_zero 0
		.amdhsa_exception_fp_ieee_overflow 0
		.amdhsa_exception_fp_ieee_underflow 0
		.amdhsa_exception_fp_ieee_inexact 0
		.amdhsa_exception_int_div_zero 0
	.end_amdhsa_kernel
	.section	.text._ZN12_GLOBAL__N_135rocblas_gemm_batched_general_kernelIfLi16ELi16ELi32ELi32ELi8ELi32ELi8ELi8ELi32ELc67ELc78EKfS1_fEEvlllT_PT11_llS4_llS2_PT12_llPT13_lli,"axG",@progbits,_ZN12_GLOBAL__N_135rocblas_gemm_batched_general_kernelIfLi16ELi16ELi32ELi32ELi8ELi32ELi8ELi8ELi32ELc67ELc78EKfS1_fEEvlllT_PT11_llS4_llS2_PT12_llPT13_lli,comdat
.Lfunc_end54:
	.size	_ZN12_GLOBAL__N_135rocblas_gemm_batched_general_kernelIfLi16ELi16ELi32ELi32ELi8ELi32ELi8ELi8ELi32ELc67ELc78EKfS1_fEEvlllT_PT11_llS4_llS2_PT12_llPT13_lli, .Lfunc_end54-_ZN12_GLOBAL__N_135rocblas_gemm_batched_general_kernelIfLi16ELi16ELi32ELi32ELi8ELi32ELi8ELi8ELi32ELc67ELc78EKfS1_fEEvlllT_PT11_llS4_llS2_PT12_llPT13_lli
                                        ; -- End function
	.set _ZN12_GLOBAL__N_135rocblas_gemm_batched_general_kernelIfLi16ELi16ELi32ELi32ELi8ELi32ELi8ELi8ELi32ELc67ELc78EKfS1_fEEvlllT_PT11_llS4_llS2_PT12_llPT13_lli.num_vgpr, 44
	.set _ZN12_GLOBAL__N_135rocblas_gemm_batched_general_kernelIfLi16ELi16ELi32ELi32ELi8ELi32ELi8ELi8ELi32ELc67ELc78EKfS1_fEEvlllT_PT11_llS4_llS2_PT12_llPT13_lli.num_agpr, 0
	.set _ZN12_GLOBAL__N_135rocblas_gemm_batched_general_kernelIfLi16ELi16ELi32ELi32ELi8ELi32ELi8ELi8ELi32ELc67ELc78EKfS1_fEEvlllT_PT11_llS4_llS2_PT12_llPT13_lli.numbered_sgpr, 28
	.set _ZN12_GLOBAL__N_135rocblas_gemm_batched_general_kernelIfLi16ELi16ELi32ELi32ELi8ELi32ELi8ELi8ELi32ELc67ELc78EKfS1_fEEvlllT_PT11_llS4_llS2_PT12_llPT13_lli.num_named_barrier, 0
	.set _ZN12_GLOBAL__N_135rocblas_gemm_batched_general_kernelIfLi16ELi16ELi32ELi32ELi8ELi32ELi8ELi8ELi32ELc67ELc78EKfS1_fEEvlllT_PT11_llS4_llS2_PT12_llPT13_lli.private_seg_size, 0
	.set _ZN12_GLOBAL__N_135rocblas_gemm_batched_general_kernelIfLi16ELi16ELi32ELi32ELi8ELi32ELi8ELi8ELi32ELc67ELc78EKfS1_fEEvlllT_PT11_llS4_llS2_PT12_llPT13_lli.uses_vcc, 1
	.set _ZN12_GLOBAL__N_135rocblas_gemm_batched_general_kernelIfLi16ELi16ELi32ELi32ELi8ELi32ELi8ELi8ELi32ELc67ELc78EKfS1_fEEvlllT_PT11_llS4_llS2_PT12_llPT13_lli.uses_flat_scratch, 0
	.set _ZN12_GLOBAL__N_135rocblas_gemm_batched_general_kernelIfLi16ELi16ELi32ELi32ELi8ELi32ELi8ELi8ELi32ELc67ELc78EKfS1_fEEvlllT_PT11_llS4_llS2_PT12_llPT13_lli.has_dyn_sized_stack, 0
	.set _ZN12_GLOBAL__N_135rocblas_gemm_batched_general_kernelIfLi16ELi16ELi32ELi32ELi8ELi32ELi8ELi8ELi32ELc67ELc78EKfS1_fEEvlllT_PT11_llS4_llS2_PT12_llPT13_lli.has_recursion, 0
	.set _ZN12_GLOBAL__N_135rocblas_gemm_batched_general_kernelIfLi16ELi16ELi32ELi32ELi8ELi32ELi8ELi8ELi32ELc67ELc78EKfS1_fEEvlllT_PT11_llS4_llS2_PT12_llPT13_lli.has_indirect_call, 0
	.section	.AMDGPU.csdata,"",@progbits
; Kernel info:
; codeLenInByte = 1880
; TotalNumSgprs: 30
; NumVgprs: 44
; ScratchSize: 0
; MemoryBound: 0
; FloatMode: 240
; IeeeMode: 1
; LDSByteSize: 2048 bytes/workgroup (compile time only)
; SGPRBlocks: 0
; VGPRBlocks: 5
; NumSGPRsForWavesPerEU: 30
; NumVGPRsForWavesPerEU: 44
; Occupancy: 16
; WaveLimiterHint : 0
; COMPUTE_PGM_RSRC2:SCRATCH_EN: 0
; COMPUTE_PGM_RSRC2:USER_SGPR: 6
; COMPUTE_PGM_RSRC2:TRAP_HANDLER: 0
; COMPUTE_PGM_RSRC2:TGID_X_EN: 1
; COMPUTE_PGM_RSRC2:TGID_Y_EN: 1
; COMPUTE_PGM_RSRC2:TGID_Z_EN: 1
; COMPUTE_PGM_RSRC2:TIDIG_COMP_CNT: 1
	.section	.text._ZN12_GLOBAL__N_135rocblas_gemm_batched_general_kernelIfLi16ELi16ELi32ELi32ELi8ELi32ELi8ELi8ELi32ELc67ELc84EKfS1_fEEvlllT_PT11_llS4_llS2_PT12_llPT13_lli,"axG",@progbits,_ZN12_GLOBAL__N_135rocblas_gemm_batched_general_kernelIfLi16ELi16ELi32ELi32ELi8ELi32ELi8ELi8ELi32ELc67ELc84EKfS1_fEEvlllT_PT11_llS4_llS2_PT12_llPT13_lli,comdat
	.globl	_ZN12_GLOBAL__N_135rocblas_gemm_batched_general_kernelIfLi16ELi16ELi32ELi32ELi8ELi32ELi8ELi8ELi32ELc67ELc84EKfS1_fEEvlllT_PT11_llS4_llS2_PT12_llPT13_lli ; -- Begin function _ZN12_GLOBAL__N_135rocblas_gemm_batched_general_kernelIfLi16ELi16ELi32ELi32ELi8ELi32ELi8ELi8ELi32ELc67ELc84EKfS1_fEEvlllT_PT11_llS4_llS2_PT12_llPT13_lli
	.p2align	8
	.type	_ZN12_GLOBAL__N_135rocblas_gemm_batched_general_kernelIfLi16ELi16ELi32ELi32ELi8ELi32ELi8ELi8ELi32ELc67ELc84EKfS1_fEEvlllT_PT11_llS4_llS2_PT12_llPT13_lli,@function
_ZN12_GLOBAL__N_135rocblas_gemm_batched_general_kernelIfLi16ELi16ELi32ELi32ELi8ELi32ELi8ELi8ELi32ELc67ELc84EKfS1_fEEvlllT_PT11_llS4_llS2_PT12_llPT13_lli: ; @_ZN12_GLOBAL__N_135rocblas_gemm_batched_general_kernelIfLi16ELi16ELi32ELi32ELi8ELi32ELi8ELi8ELi32ELc67ELc84EKfS1_fEEvlllT_PT11_llS4_llS2_PT12_llPT13_lli
; %bb.0:
	s_clause 0x1
	s_load_dwordx2 s[10:11], s[4:5], 0x10
	s_load_dwordx4 s[20:23], s[4:5], 0x0
	s_mov_b32 s0, s7
	v_mov_b32_e32 v10, 0
	v_mov_b32_e32 v9, 0
	;; [unrolled: 1-line block ×4, first 2 shown]
	s_ashr_i32 s7, s6, 31
	s_ashr_i32 s1, s0, 31
	s_lshl_b64 s[6:7], s[6:7], 5
	s_waitcnt lgkmcnt(0)
	v_cmp_lt_i64_e64 s2, s[10:11], 1
	s_and_b32 vcc_lo, exec_lo, s2
	s_lshl_b64 s[2:3], s[0:1], 5
	s_cbranch_vccnz .LBB55_7
; %bb.1:
	s_clause 0x1
	s_load_dwordx4 s[24:27], s[4:5], 0x40
	s_load_dwordx8 s[12:19], s[4:5], 0x20
	v_lshl_add_u32 v2, v1, 4, v0
	v_and_b32_e32 v6, 7, v0
	v_mov_b32_e32 v3, s7
	s_lshl_b64 s[28:29], s[0:1], 7
	v_mov_b32_e32 v7, 0
	v_and_b32_e32 v14, 31, v2
	v_lshrrev_b32_e32 v10, 3, v2
	v_lshrrev_b32_e32 v13, 5, v2
	v_lshlrev_b32_e32 v15, 2, v6
	v_lshlrev_b32_e32 v11, 2, v0
	v_or_b32_e32 v2, s6, v14
	v_add_co_u32 v8, s0, v10, s2
	v_add_co_ci_u32_e64 v9, null, 0, s3, s0
	v_add_co_u32 v17, s0, s6, v14
	v_add_co_ci_u32_e64 v18, null, s7, 0, s0
	s_waitcnt lgkmcnt(0)
	v_mad_u64_u32 v[4:5], null, s24, v6, 0
	v_cmp_gt_i64_e64 s0, s[20:21], v[2:3]
	v_cmp_gt_i64_e64 s1, s[22:23], v[8:9]
	v_mul_lo_u32 v8, s15, v17
	v_mul_lo_u32 v9, s14, v18
	s_mul_i32 s9, s27, s8
	s_mul_hi_u32 s27, s26, s8
	v_mad_u64_u32 v[2:3], null, s25, v6, v[5:6]
	s_mul_i32 s26, s26, s8
	s_add_i32 s27, s27, s9
	s_mul_i32 s9, s17, s8
	s_mul_hi_u32 s17, s16, s8
	v_lshlrev_b32_e32 v16, 2, v14
	v_lshl_or_b32 v15, v10, 5, v15
	v_mov_b32_e32 v5, v2
	v_mad_u64_u32 v[2:3], null, s14, v17, 0
	s_lshl_b64 s[14:15], s[26:27], 2
	v_lshl_add_u32 v12, v1, 5, 0x400
	v_lshlrev_b64 v[4:5], 2, v[4:5]
	s_add_u32 s14, s28, s14
	s_addc_u32 s15, s29, s15
	v_lshl_or_b32 v14, v13, 7, v16
	v_add3_u32 v3, v3, v9, v8
	v_lshlrev_b32_e32 v8, 2, v10
	v_add_co_u32 v4, vcc_lo, s14, v4
	v_add_co_ci_u32_e64 v5, null, s15, v5, vcc_lo
	v_lshlrev_b64 v[2:3], 2, v[2:3]
	s_add_i32 s15, s17, s9
	s_mul_i32 s14, s16, s8
	v_lshlrev_b32_e32 v9, 2, v13
	s_lshl_b64 s[14:15], s[14:15], 2
	v_add_nc_u32_e32 v15, 0x400, v15
	v_add_co_u32 v2, vcc_lo, v2, s14
	v_add_co_ci_u32_e64 v3, null, s15, v3, vcc_lo
	v_add_co_u32 v4, vcc_lo, v4, v8
	v_add_co_ci_u32_e64 v5, null, 0, v5, vcc_lo
	;; [unrolled: 2-line block ×5, first 2 shown]
	v_mov_b32_e32 v8, 0
	v_mov_b32_e32 v9, 0
	v_mov_b32_e32 v10, 0
	s_lshl_b64 s[12:13], s[24:25], 5
	s_mov_b64 s[14:15], 0
	s_branch .LBB55_3
.LBB55_2:                               ;   in Loop: Header=BB55_3 Depth=1
	s_or_b32 exec_lo, exec_lo, s9
	s_waitcnt vmcnt(0)
	ds_write_b32 v15, v17
	s_waitcnt lgkmcnt(0)
	s_barrier
	buffer_gl0_inv
	ds_read_b128 v[16:19], v12
	ds_read2_b32 v[32:33], v11 offset1:16
	ds_read_b128 v[20:23], v12 offset:512
	ds_read2_b32 v[34:35], v11 offset0:32 offset1:48
	ds_read2_b32 v[36:37], v11 offset0:64 offset1:80
	;; [unrolled: 1-line block ×3, first 2 shown]
	ds_read_b128 v[24:27], v12 offset:16
	ds_read2_b32 v[40:41], v11 offset0:128 offset1:144
	ds_read_b128 v[28:31], v12 offset:528
	ds_read2_b32 v[42:43], v11 offset0:160 offset1:176
	s_add_u32 s14, s14, 8
	s_addc_u32 s15, s15, 0
	v_add_co_u32 v2, vcc_lo, v2, s12
	v_cmp_lt_i64_e64 s9, s[14:15], s[10:11]
	v_add_co_ci_u32_e64 v3, null, s13, v3, vcc_lo
	v_add_co_u32 v4, vcc_lo, v4, 32
	v_add_co_ci_u32_e64 v5, null, 0, v5, vcc_lo
	s_waitcnt lgkmcnt(8)
	v_fmac_f32_e32 v10, v32, v16
	v_fmac_f32_e32 v9, v33, v16
	s_waitcnt lgkmcnt(7)
	v_fmac_f32_e32 v8, v32, v20
	v_fmac_f32_e32 v7, v33, v20
	ds_read2_b32 v[32:33], v11 offset0:192 offset1:208
	s_waitcnt lgkmcnt(7)
	v_fmac_f32_e32 v10, v34, v17
	v_fmac_f32_e32 v9, v35, v17
	;; [unrolled: 1-line block ×4, first 2 shown]
	ds_read2_b32 v[16:17], v11 offset0:224 offset1:240
	s_waitcnt lgkmcnt(7)
	v_fmac_f32_e32 v10, v36, v18
	v_fmac_f32_e32 v9, v37, v18
	;; [unrolled: 1-line block ×4, first 2 shown]
	s_and_b32 vcc_lo, exec_lo, s9
	s_waitcnt lgkmcnt(6)
	v_fmac_f32_e32 v10, v38, v19
	v_fmac_f32_e32 v9, v39, v19
	;; [unrolled: 1-line block ×4, first 2 shown]
	s_waitcnt lgkmcnt(0)
	v_fmac_f32_e32 v10, v40, v24
	v_fmac_f32_e32 v9, v41, v24
	;; [unrolled: 1-line block ×4, first 2 shown]
	s_barrier
	v_fmac_f32_e32 v10, v42, v25
	v_fmac_f32_e32 v9, v43, v25
	;; [unrolled: 1-line block ×4, first 2 shown]
	buffer_gl0_inv
	v_fmac_f32_e32 v10, v32, v26
	v_fmac_f32_e32 v9, v33, v26
	;; [unrolled: 1-line block ×8, first 2 shown]
	s_cbranch_vccz .LBB55_7
.LBB55_3:                               ; =>This Inner Loop Header: Depth=1
	v_add_co_u32 v16, s9, v13, s14
	v_add_co_ci_u32_e64 v17, null, 0, s15, s9
	v_cmp_gt_i64_e32 vcc_lo, s[10:11], v[16:17]
	v_mov_b32_e32 v16, 0
	s_and_b32 s16, s0, vcc_lo
	s_and_saveexec_b32 s9, s16
	s_cbranch_execz .LBB55_5
; %bb.4:                                ;   in Loop: Header=BB55_3 Depth=1
	global_load_dword v16, v[4:5], off
.LBB55_5:                               ;   in Loop: Header=BB55_3 Depth=1
	s_or_b32 exec_lo, exec_lo, s9
	v_add_co_u32 v17, s9, v6, s14
	v_add_co_ci_u32_e64 v18, null, 0, s15, s9
	s_waitcnt vmcnt(0)
	ds_write_b32 v14, v16
	v_cmp_gt_i64_e32 vcc_lo, s[10:11], v[17:18]
	v_mov_b32_e32 v17, 0
	s_and_b32 s16, vcc_lo, s1
	s_and_saveexec_b32 s9, s16
	s_cbranch_execz .LBB55_2
; %bb.6:                                ;   in Loop: Header=BB55_3 Depth=1
	global_load_dword v17, v[2:3], off
	s_branch .LBB55_2
.LBB55_7:
	s_clause 0x3
	s_load_dwordx4 s[24:27], s[4:5], 0x78
	s_load_dword s9, s[4:5], 0x50
	s_load_dwordx8 s[12:19], s[4:5], 0x58
	s_load_dword s4, s[4:5], 0x18
	v_add_co_u32 v1, s0, s2, v1
	v_add_co_ci_u32_e64 v2, null, s3, 0, s0
	s_waitcnt lgkmcnt(0)
	s_mul_i32 s1, s27, s8
	s_mul_hi_u32 s2, s26, s8
	s_mul_i32 s0, s26, s8
	s_add_i32 s1, s2, s1
	v_cmp_neq_f32_e64 s2, s9, 0
	s_lshl_b64 s[10:11], s[0:1], 2
	v_cmp_gt_i64_e64 s0, s[22:23], v[1:2]
	s_add_u32 s3, s18, s10
	s_addc_u32 s5, s19, s11
	s_and_b32 vcc_lo, exec_lo, s2
	s_cbranch_vccnz .LBB55_20
; %bb.8:
	s_and_saveexec_b32 s10, s0
	s_cbranch_execz .LBB55_18
; %bb.9:
	v_mul_lo_u32 v5, v2, s24
	v_mul_lo_u32 v6, v1, s25
	v_mad_u64_u32 v[3:4], null, v1, s24, 0
	v_add3_u32 v4, v4, v6, v5
	v_add_co_u32 v5, s1, s6, v0
	v_add_co_ci_u32_e64 v6, null, s7, 0, s1
	v_lshlrev_b64 v[11:12], 2, v[3:4]
	v_cmp_gt_i64_e32 vcc_lo, s[20:21], v[5:6]
	v_lshlrev_b64 v[3:4], 2, v[5:6]
	v_add_co_u32 v11, s1, s3, v11
	v_add_co_ci_u32_e64 v12, null, s5, v12, s1
	s_and_saveexec_b32 s2, vcc_lo
	s_cbranch_execz .LBB55_11
; %bb.10:
	v_add_co_u32 v13, s1, v11, v3
	v_add_co_ci_u32_e64 v14, null, v12, v4, s1
	v_mul_f32_e32 v15, s4, v10
	global_store_dword v[13:14], v15, off
.LBB55_11:
	s_or_b32 exec_lo, exec_lo, s2
	v_add_co_u32 v5, s1, v5, 16
	v_add_co_ci_u32_e64 v6, null, 0, v6, s1
	v_cmp_gt_i64_e64 s1, s[20:21], v[5:6]
	s_and_saveexec_b32 s11, s1
	s_cbranch_execz .LBB55_13
; %bb.12:
	v_add_co_u32 v5, s2, v11, v3
	v_add_co_ci_u32_e64 v6, null, v12, v4, s2
	v_mul_f32_e32 v13, s4, v9
	global_store_dword v[5:6], v13, off offset:64
.LBB55_13:
	s_or_b32 exec_lo, exec_lo, s11
	v_add_co_u32 v5, s2, v1, 16
	v_add_co_ci_u32_e64 v6, null, 0, v2, s2
	v_cmp_gt_i64_e64 s2, s[22:23], v[5:6]
	s_and_b32 exec_lo, exec_lo, s2
	s_cbranch_execz .LBB55_18
; %bb.14:
	s_lshl_b64 s[18:19], s[24:25], 6
	v_add_co_u32 v5, s2, v11, s18
	v_add_co_ci_u32_e64 v6, null, s19, v12, s2
	v_add_co_u32 v3, s2, v5, v3
	v_add_co_ci_u32_e64 v4, null, v6, v4, s2
	s_and_saveexec_b32 s2, vcc_lo
	s_cbranch_execz .LBB55_16
; %bb.15:
	v_mul_f32_e32 v5, s4, v8
	global_store_dword v[3:4], v5, off
.LBB55_16:
	s_or_b32 exec_lo, exec_lo, s2
	s_and_b32 exec_lo, exec_lo, s1
	s_cbranch_execz .LBB55_18
; %bb.17:
	v_mul_f32_e32 v5, s4, v7
	global_store_dword v[3:4], v5, off offset:64
.LBB55_18:
	s_or_b32 exec_lo, exec_lo, s10
	s_cbranch_execz .LBB55_21
.LBB55_19:
	s_endpgm
.LBB55_20:
.LBB55_21:
	s_and_saveexec_b32 s1, s0
	s_cbranch_execz .LBB55_19
; %bb.22:
	v_mul_lo_u32 v5, v2, s14
	v_mul_lo_u32 v6, v1, s15
	v_mad_u64_u32 v[3:4], null, v1, s14, 0
	v_mul_lo_u32 v13, v2, s24
	v_mul_lo_u32 v14, v1, s25
	v_mad_u64_u32 v[11:12], null, v1, s24, 0
	s_mul_i32 s0, s17, s8
	s_mul_hi_u32 s1, s16, s8
	v_add3_u32 v4, v4, v6, v5
	s_add_i32 s1, s1, s0
	s_mul_i32 s0, s16, s8
	v_add_co_u32 v5, s2, s6, v0
	v_add3_u32 v12, v12, v14, v13
	v_lshlrev_b64 v[3:4], 2, v[3:4]
	s_lshl_b64 s[0:1], s[0:1], 2
	v_add_co_ci_u32_e64 v6, null, s7, 0, s2
	v_lshlrev_b64 v[12:13], 2, v[11:12]
	s_add_u32 s0, s12, s0
	s_addc_u32 s1, s13, s1
	v_add_co_u32 v0, s0, s0, v3
	v_add_co_ci_u32_e64 v11, null, s1, v4, s0
	v_add_co_u32 v12, s0, s3, v12
	v_cmp_gt_i64_e32 vcc_lo, s[20:21], v[5:6]
	v_lshlrev_b64 v[3:4], 2, v[5:6]
	v_add_co_ci_u32_e64 v13, null, s5, v13, s0
	s_and_saveexec_b32 s1, vcc_lo
	s_cbranch_execz .LBB55_24
; %bb.23:
	v_add_co_u32 v14, s0, v0, v3
	v_add_co_ci_u32_e64 v15, null, v11, v4, s0
	global_load_dword v14, v[14:15], off
	s_waitcnt vmcnt(0)
	v_mul_f32_e32 v16, s9, v14
	v_add_co_u32 v14, s0, v12, v3
	v_add_co_ci_u32_e64 v15, null, v13, v4, s0
	v_fmac_f32_e32 v16, s4, v10
	global_store_dword v[14:15], v16, off
.LBB55_24:
	s_or_b32 exec_lo, exec_lo, s1
	v_add_co_u32 v5, s0, v5, 16
	v_add_co_ci_u32_e64 v6, null, 0, v6, s0
	v_cmp_gt_i64_e64 s0, s[20:21], v[5:6]
	s_and_saveexec_b32 s2, s0
	s_cbranch_execz .LBB55_26
; %bb.25:
	v_add_co_u32 v5, s1, v0, v3
	v_add_co_ci_u32_e64 v6, null, v11, v4, s1
	global_load_dword v5, v[5:6], off offset:64
	s_waitcnt vmcnt(0)
	v_mul_f32_e32 v10, s9, v5
	v_add_co_u32 v5, s1, v12, v3
	v_add_co_ci_u32_e64 v6, null, v13, v4, s1
	v_fmac_f32_e32 v10, s4, v9
	global_store_dword v[5:6], v10, off offset:64
.LBB55_26:
	s_or_b32 exec_lo, exec_lo, s2
	v_add_co_u32 v1, s1, v1, 16
	v_add_co_ci_u32_e64 v2, null, 0, v2, s1
	v_cmp_gt_i64_e64 s1, s[22:23], v[1:2]
	s_and_b32 exec_lo, exec_lo, s1
	s_cbranch_execz .LBB55_19
; %bb.27:
	s_lshl_b64 s[2:3], s[14:15], 6
	v_add_co_u32 v0, s1, v0, s2
	v_add_co_ci_u32_e64 v1, null, s3, v11, s1
	s_lshl_b64 s[2:3], s[24:25], 6
	v_add_co_u32 v2, s1, v12, s2
	v_add_co_ci_u32_e64 v5, null, s3, v13, s1
	v_add_co_u32 v0, s1, v0, v3
	v_add_co_ci_u32_e64 v1, null, v1, v4, s1
	;; [unrolled: 2-line block ×3, first 2 shown]
	s_and_saveexec_b32 s1, vcc_lo
	s_cbranch_execz .LBB55_29
; %bb.28:
	global_load_dword v4, v[0:1], off
	s_waitcnt vmcnt(0)
	v_mul_f32_e32 v4, s9, v4
	v_fmac_f32_e32 v4, s4, v8
	global_store_dword v[2:3], v4, off
.LBB55_29:
	s_or_b32 exec_lo, exec_lo, s1
	s_and_b32 exec_lo, exec_lo, s0
	s_cbranch_execz .LBB55_19
; %bb.30:
	global_load_dword v0, v[0:1], off offset:64
	s_waitcnt vmcnt(0)
	v_mul_f32_e32 v0, s9, v0
	v_fmac_f32_e32 v0, s4, v7
	global_store_dword v[2:3], v0, off offset:64
	s_endpgm
	.section	.rodata,"a",@progbits
	.p2align	6, 0x0
	.amdhsa_kernel _ZN12_GLOBAL__N_135rocblas_gemm_batched_general_kernelIfLi16ELi16ELi32ELi32ELi8ELi32ELi8ELi8ELi32ELc67ELc84EKfS1_fEEvlllT_PT11_llS4_llS2_PT12_llPT13_lli
		.amdhsa_group_segment_fixed_size 2048
		.amdhsa_private_segment_fixed_size 0
		.amdhsa_kernarg_size 140
		.amdhsa_user_sgpr_count 6
		.amdhsa_user_sgpr_private_segment_buffer 1
		.amdhsa_user_sgpr_dispatch_ptr 0
		.amdhsa_user_sgpr_queue_ptr 0
		.amdhsa_user_sgpr_kernarg_segment_ptr 1
		.amdhsa_user_sgpr_dispatch_id 0
		.amdhsa_user_sgpr_flat_scratch_init 0
		.amdhsa_user_sgpr_private_segment_size 0
		.amdhsa_wavefront_size32 1
		.amdhsa_uses_dynamic_stack 0
		.amdhsa_system_sgpr_private_segment_wavefront_offset 0
		.amdhsa_system_sgpr_workgroup_id_x 1
		.amdhsa_system_sgpr_workgroup_id_y 1
		.amdhsa_system_sgpr_workgroup_id_z 1
		.amdhsa_system_sgpr_workgroup_info 0
		.amdhsa_system_vgpr_workitem_id 1
		.amdhsa_next_free_vgpr 44
		.amdhsa_next_free_sgpr 30
		.amdhsa_reserve_vcc 1
		.amdhsa_reserve_flat_scratch 0
		.amdhsa_float_round_mode_32 0
		.amdhsa_float_round_mode_16_64 0
		.amdhsa_float_denorm_mode_32 3
		.amdhsa_float_denorm_mode_16_64 3
		.amdhsa_dx10_clamp 1
		.amdhsa_ieee_mode 1
		.amdhsa_fp16_overflow 0
		.amdhsa_workgroup_processor_mode 1
		.amdhsa_memory_ordered 1
		.amdhsa_forward_progress 1
		.amdhsa_shared_vgpr_count 0
		.amdhsa_exception_fp_ieee_invalid_op 0
		.amdhsa_exception_fp_denorm_src 0
		.amdhsa_exception_fp_ieee_div_zero 0
		.amdhsa_exception_fp_ieee_overflow 0
		.amdhsa_exception_fp_ieee_underflow 0
		.amdhsa_exception_fp_ieee_inexact 0
		.amdhsa_exception_int_div_zero 0
	.end_amdhsa_kernel
	.section	.text._ZN12_GLOBAL__N_135rocblas_gemm_batched_general_kernelIfLi16ELi16ELi32ELi32ELi8ELi32ELi8ELi8ELi32ELc67ELc84EKfS1_fEEvlllT_PT11_llS4_llS2_PT12_llPT13_lli,"axG",@progbits,_ZN12_GLOBAL__N_135rocblas_gemm_batched_general_kernelIfLi16ELi16ELi32ELi32ELi8ELi32ELi8ELi8ELi32ELc67ELc84EKfS1_fEEvlllT_PT11_llS4_llS2_PT12_llPT13_lli,comdat
.Lfunc_end55:
	.size	_ZN12_GLOBAL__N_135rocblas_gemm_batched_general_kernelIfLi16ELi16ELi32ELi32ELi8ELi32ELi8ELi8ELi32ELc67ELc84EKfS1_fEEvlllT_PT11_llS4_llS2_PT12_llPT13_lli, .Lfunc_end55-_ZN12_GLOBAL__N_135rocblas_gemm_batched_general_kernelIfLi16ELi16ELi32ELi32ELi8ELi32ELi8ELi8ELi32ELc67ELc84EKfS1_fEEvlllT_PT11_llS4_llS2_PT12_llPT13_lli
                                        ; -- End function
	.set _ZN12_GLOBAL__N_135rocblas_gemm_batched_general_kernelIfLi16ELi16ELi32ELi32ELi8ELi32ELi8ELi8ELi32ELc67ELc84EKfS1_fEEvlllT_PT11_llS4_llS2_PT12_llPT13_lli.num_vgpr, 44
	.set _ZN12_GLOBAL__N_135rocblas_gemm_batched_general_kernelIfLi16ELi16ELi32ELi32ELi8ELi32ELi8ELi8ELi32ELc67ELc84EKfS1_fEEvlllT_PT11_llS4_llS2_PT12_llPT13_lli.num_agpr, 0
	.set _ZN12_GLOBAL__N_135rocblas_gemm_batched_general_kernelIfLi16ELi16ELi32ELi32ELi8ELi32ELi8ELi8ELi32ELc67ELc84EKfS1_fEEvlllT_PT11_llS4_llS2_PT12_llPT13_lli.numbered_sgpr, 30
	.set _ZN12_GLOBAL__N_135rocblas_gemm_batched_general_kernelIfLi16ELi16ELi32ELi32ELi8ELi32ELi8ELi8ELi32ELc67ELc84EKfS1_fEEvlllT_PT11_llS4_llS2_PT12_llPT13_lli.num_named_barrier, 0
	.set _ZN12_GLOBAL__N_135rocblas_gemm_batched_general_kernelIfLi16ELi16ELi32ELi32ELi8ELi32ELi8ELi8ELi32ELc67ELc84EKfS1_fEEvlllT_PT11_llS4_llS2_PT12_llPT13_lli.private_seg_size, 0
	.set _ZN12_GLOBAL__N_135rocblas_gemm_batched_general_kernelIfLi16ELi16ELi32ELi32ELi8ELi32ELi8ELi8ELi32ELc67ELc84EKfS1_fEEvlllT_PT11_llS4_llS2_PT12_llPT13_lli.uses_vcc, 1
	.set _ZN12_GLOBAL__N_135rocblas_gemm_batched_general_kernelIfLi16ELi16ELi32ELi32ELi8ELi32ELi8ELi8ELi32ELc67ELc84EKfS1_fEEvlllT_PT11_llS4_llS2_PT12_llPT13_lli.uses_flat_scratch, 0
	.set _ZN12_GLOBAL__N_135rocblas_gemm_batched_general_kernelIfLi16ELi16ELi32ELi32ELi8ELi32ELi8ELi8ELi32ELc67ELc84EKfS1_fEEvlllT_PT11_llS4_llS2_PT12_llPT13_lli.has_dyn_sized_stack, 0
	.set _ZN12_GLOBAL__N_135rocblas_gemm_batched_general_kernelIfLi16ELi16ELi32ELi32ELi8ELi32ELi8ELi8ELi32ELc67ELc84EKfS1_fEEvlllT_PT11_llS4_llS2_PT12_llPT13_lli.has_recursion, 0
	.set _ZN12_GLOBAL__N_135rocblas_gemm_batched_general_kernelIfLi16ELi16ELi32ELi32ELi8ELi32ELi8ELi8ELi32ELc67ELc84EKfS1_fEEvlllT_PT11_llS4_llS2_PT12_llPT13_lli.has_indirect_call, 0
	.section	.AMDGPU.csdata,"",@progbits
; Kernel info:
; codeLenInByte = 1892
; TotalNumSgprs: 32
; NumVgprs: 44
; ScratchSize: 0
; MemoryBound: 0
; FloatMode: 240
; IeeeMode: 1
; LDSByteSize: 2048 bytes/workgroup (compile time only)
; SGPRBlocks: 0
; VGPRBlocks: 5
; NumSGPRsForWavesPerEU: 32
; NumVGPRsForWavesPerEU: 44
; Occupancy: 16
; WaveLimiterHint : 0
; COMPUTE_PGM_RSRC2:SCRATCH_EN: 0
; COMPUTE_PGM_RSRC2:USER_SGPR: 6
; COMPUTE_PGM_RSRC2:TRAP_HANDLER: 0
; COMPUTE_PGM_RSRC2:TGID_X_EN: 1
; COMPUTE_PGM_RSRC2:TGID_Y_EN: 1
; COMPUTE_PGM_RSRC2:TGID_Z_EN: 1
; COMPUTE_PGM_RSRC2:TIDIG_COMP_CNT: 1
	.section	.text._ZN12_GLOBAL__N_135rocblas_gemm_batched_general_kernelIfLi16ELi16ELi32ELi32ELi8ELi32ELi8ELi8ELi32ELc78ELc67EKfS1_fEEvlllT_PT11_llS4_llS2_PT12_llPT13_lli,"axG",@progbits,_ZN12_GLOBAL__N_135rocblas_gemm_batched_general_kernelIfLi16ELi16ELi32ELi32ELi8ELi32ELi8ELi8ELi32ELc78ELc67EKfS1_fEEvlllT_PT11_llS4_llS2_PT12_llPT13_lli,comdat
	.globl	_ZN12_GLOBAL__N_135rocblas_gemm_batched_general_kernelIfLi16ELi16ELi32ELi32ELi8ELi32ELi8ELi8ELi32ELc78ELc67EKfS1_fEEvlllT_PT11_llS4_llS2_PT12_llPT13_lli ; -- Begin function _ZN12_GLOBAL__N_135rocblas_gemm_batched_general_kernelIfLi16ELi16ELi32ELi32ELi8ELi32ELi8ELi8ELi32ELc78ELc67EKfS1_fEEvlllT_PT11_llS4_llS2_PT12_llPT13_lli
	.p2align	8
	.type	_ZN12_GLOBAL__N_135rocblas_gemm_batched_general_kernelIfLi16ELi16ELi32ELi32ELi8ELi32ELi8ELi8ELi32ELc78ELc67EKfS1_fEEvlllT_PT11_llS4_llS2_PT12_llPT13_lli,@function
_ZN12_GLOBAL__N_135rocblas_gemm_batched_general_kernelIfLi16ELi16ELi32ELi32ELi8ELi32ELi8ELi8ELi32ELc78ELc67EKfS1_fEEvlllT_PT11_llS4_llS2_PT12_llPT13_lli: ; @_ZN12_GLOBAL__N_135rocblas_gemm_batched_general_kernelIfLi16ELi16ELi32ELi32ELi8ELi32ELi8ELi8ELi32ELc78ELc67EKfS1_fEEvlllT_PT11_llS4_llS2_PT12_llPT13_lli
; %bb.0:
	s_clause 0x1
	s_load_dwordx2 s[28:29], s[4:5], 0x10
	s_load_dwordx4 s[20:23], s[4:5], 0x0
	s_mov_b32 s0, s7
	v_mov_b32_e32 v10, 0
	v_mov_b32_e32 v9, 0
	;; [unrolled: 1-line block ×4, first 2 shown]
	s_ashr_i32 s7, s6, 31
	s_ashr_i32 s1, s0, 31
	s_lshl_b64 s[10:11], s[6:7], 5
	s_waitcnt lgkmcnt(0)
	v_cmp_lt_i64_e64 s2, s[28:29], 1
	s_and_b32 vcc_lo, exec_lo, s2
	s_lshl_b64 s[2:3], s[0:1], 5
	s_cbranch_vccnz .LBB56_7
; %bb.1:
	s_clause 0x1
	s_load_dwordx4 s[24:27], s[4:5], 0x40
	s_load_dwordx8 s[12:19], s[4:5], 0x20
	v_lshl_add_u32 v2, v1, 4, v0
	v_and_b32_e32 v6, 7, v0
	v_mov_b32_e32 v3, s11
	s_lshl_b64 s[30:31], s[0:1], 7
	v_mov_b32_e32 v7, 0
	v_and_b32_e32 v4, 31, v2
	v_lshrrev_b32_e32 v13, 5, v2
	v_lshrrev_b32_e32 v10, 3, v2
	v_lshlrev_b32_e32 v14, 2, v6
	v_lshlrev_b32_e32 v11, 2, v0
	v_or_b32_e32 v2, s10, v4
	v_lshlrev_b32_e32 v18, 2, v4
	v_add_co_u32 v8, s0, v10, s2
	v_add_co_ci_u32_e64 v9, null, 0, s3, s0
	v_cmp_gt_i64_e64 s0, s[20:21], v[2:3]
	v_lshl_or_b32 v15, v10, 5, v14
	s_waitcnt lgkmcnt(0)
	v_mad_u64_u32 v[4:5], null, s24, v6, 0
	v_mad_u64_u32 v[16:17], null, s14, v13, 0
	s_mul_i32 s9, s27, s8
	s_mul_hi_u32 s27, s26, s8
	s_mul_i32 s26, s26, s8
	s_add_i32 s27, s27, s9
	v_mov_b32_e32 v2, v5
	s_lshl_b64 s[26:27], s[26:27], 2
	s_mul_i32 s17, s17, s8
	s_mul_hi_u32 s33, s16, s8
	s_add_u32 s9, s30, s26
	v_mad_u64_u32 v[2:3], null, s25, v6, v[2:3]
	v_mov_b32_e32 v3, v17
	s_mul_i32 s16, s16, s8
	s_addc_u32 s26, s31, s27
	s_add_i32 s17, s33, s17
	v_lshlrev_b32_e32 v10, 2, v10
	s_lshl_b64 s[16:17], s[16:17], 2
	v_mov_b32_e32 v5, v2
	v_mad_u64_u32 v[2:3], null, s15, v13, v[3:4]
	v_cmp_gt_i64_e64 s1, s[22:23], v[8:9]
	v_lshl_add_u32 v12, v1, 5, 0x400
	v_lshlrev_b64 v[3:4], 2, v[4:5]
	v_lshl_or_b32 v14, v13, 7, v18
	v_add_nc_u32_e32 v15, 0x400, v15
	v_mov_b32_e32 v17, v2
	v_add_co_u32 v5, vcc_lo, s9, v3
	v_add_co_ci_u32_e64 v4, null, s26, v4, vcc_lo
	v_lshlrev_b64 v[2:3], 2, v[16:17]
	s_lshl_b64 s[26:27], s[6:7], 7
	s_lshl_b64 s[6:7], s[24:25], 5
	s_add_u32 s9, s26, s16
	s_addc_u32 s16, s27, s17
	v_add_co_u32 v2, vcc_lo, s9, v2
	v_add_co_ci_u32_e64 v3, null, s16, v3, vcc_lo
	v_add_co_u32 v5, vcc_lo, v5, v10
	v_add_co_ci_u32_e64 v4, null, 0, v4, vcc_lo
	;; [unrolled: 2-line block ×5, first 2 shown]
	v_mov_b32_e32 v8, 0
	v_mov_b32_e32 v9, 0
	;; [unrolled: 1-line block ×3, first 2 shown]
	s_lshl_b64 s[12:13], s[14:15], 5
	s_mov_b64 s[14:15], 0
	s_branch .LBB56_3
.LBB56_2:                               ;   in Loop: Header=BB56_3 Depth=1
	s_or_b32 exec_lo, exec_lo, s9
	s_waitcnt vmcnt(0)
	ds_write_b32 v15, v17
	s_waitcnt lgkmcnt(0)
	s_barrier
	buffer_gl0_inv
	ds_read_b128 v[16:19], v12
	ds_read2_b32 v[32:33], v11 offset1:16
	ds_read_b128 v[20:23], v12 offset:512
	ds_read2_b32 v[34:35], v11 offset0:32 offset1:48
	ds_read2_b32 v[36:37], v11 offset0:64 offset1:80
	;; [unrolled: 1-line block ×3, first 2 shown]
	ds_read_b128 v[24:27], v12 offset:16
	ds_read2_b32 v[40:41], v11 offset0:128 offset1:144
	ds_read_b128 v[28:31], v12 offset:528
	ds_read2_b32 v[42:43], v11 offset0:160 offset1:176
	s_add_u32 s14, s14, 8
	s_addc_u32 s15, s15, 0
	v_add_co_u32 v2, vcc_lo, v2, s6
	v_cmp_lt_i64_e64 s9, s[14:15], s[28:29]
	v_add_co_ci_u32_e64 v3, null, s7, v3, vcc_lo
	v_add_co_u32 v4, vcc_lo, v4, s12
	v_add_co_ci_u32_e64 v5, null, s13, v5, vcc_lo
	s_waitcnt lgkmcnt(8)
	v_fmac_f32_e32 v10, v32, v16
	v_fmac_f32_e32 v9, v33, v16
	s_waitcnt lgkmcnt(7)
	v_fmac_f32_e32 v8, v32, v20
	v_fmac_f32_e32 v7, v33, v20
	ds_read2_b32 v[32:33], v11 offset0:192 offset1:208
	s_waitcnt lgkmcnt(7)
	v_fmac_f32_e32 v10, v34, v17
	v_fmac_f32_e32 v9, v35, v17
	;; [unrolled: 1-line block ×4, first 2 shown]
	ds_read2_b32 v[16:17], v11 offset0:224 offset1:240
	s_waitcnt lgkmcnt(7)
	v_fmac_f32_e32 v10, v36, v18
	v_fmac_f32_e32 v9, v37, v18
	;; [unrolled: 1-line block ×4, first 2 shown]
	s_and_b32 vcc_lo, exec_lo, s9
	s_waitcnt lgkmcnt(6)
	v_fmac_f32_e32 v10, v38, v19
	v_fmac_f32_e32 v9, v39, v19
	;; [unrolled: 1-line block ×4, first 2 shown]
	s_waitcnt lgkmcnt(0)
	v_fmac_f32_e32 v10, v40, v24
	v_fmac_f32_e32 v9, v41, v24
	;; [unrolled: 1-line block ×4, first 2 shown]
	s_barrier
	v_fmac_f32_e32 v10, v42, v25
	v_fmac_f32_e32 v9, v43, v25
	;; [unrolled: 1-line block ×4, first 2 shown]
	buffer_gl0_inv
	v_fmac_f32_e32 v10, v32, v26
	v_fmac_f32_e32 v9, v33, v26
	;; [unrolled: 1-line block ×8, first 2 shown]
	s_cbranch_vccz .LBB56_7
.LBB56_3:                               ; =>This Inner Loop Header: Depth=1
	v_add_co_u32 v16, s9, v13, s14
	v_add_co_ci_u32_e64 v17, null, 0, s15, s9
	v_cmp_gt_i64_e32 vcc_lo, s[28:29], v[16:17]
	v_mov_b32_e32 v16, 0
	s_and_b32 s16, s0, vcc_lo
	s_and_saveexec_b32 s9, s16
	s_cbranch_execz .LBB56_5
; %bb.4:                                ;   in Loop: Header=BB56_3 Depth=1
	global_load_dword v16, v[4:5], off
.LBB56_5:                               ;   in Loop: Header=BB56_3 Depth=1
	s_or_b32 exec_lo, exec_lo, s9
	v_add_co_u32 v17, s9, v6, s14
	v_add_co_ci_u32_e64 v18, null, 0, s15, s9
	s_waitcnt vmcnt(0)
	ds_write_b32 v14, v16
	v_cmp_gt_i64_e32 vcc_lo, s[28:29], v[17:18]
	v_mov_b32_e32 v17, 0
	s_and_b32 s16, vcc_lo, s1
	s_and_saveexec_b32 s9, s16
	s_cbranch_execz .LBB56_2
; %bb.6:                                ;   in Loop: Header=BB56_3 Depth=1
	global_load_dword v17, v[2:3], off
	s_branch .LBB56_2
.LBB56_7:
	s_clause 0x3
	s_load_dwordx4 s[24:27], s[4:5], 0x78
	s_load_dword s6, s[4:5], 0x50
	s_load_dwordx8 s[12:19], s[4:5], 0x58
	s_load_dword s4, s[4:5], 0x18
	v_add_co_u32 v1, s0, s2, v1
	v_add_co_ci_u32_e64 v2, null, s3, 0, s0
	s_waitcnt lgkmcnt(0)
	s_mul_i32 s1, s27, s8
	s_mul_hi_u32 s2, s26, s8
	s_mul_i32 s0, s26, s8
	s_add_i32 s1, s2, s1
	v_cmp_neq_f32_e64 s2, s6, 0
	s_lshl_b64 s[26:27], s[0:1], 2
	v_cmp_gt_i64_e64 s0, s[22:23], v[1:2]
	s_add_u32 s3, s18, s26
	s_addc_u32 s5, s19, s27
	s_and_b32 vcc_lo, exec_lo, s2
	s_cbranch_vccnz .LBB56_20
; %bb.8:
	s_and_saveexec_b32 s7, s0
	s_cbranch_execz .LBB56_18
; %bb.9:
	v_mul_lo_u32 v5, v2, s24
	v_mul_lo_u32 v6, v1, s25
	v_mad_u64_u32 v[3:4], null, v1, s24, 0
	v_add3_u32 v4, v4, v6, v5
	v_add_co_u32 v5, s1, s10, v0
	v_add_co_ci_u32_e64 v6, null, s11, 0, s1
	v_lshlrev_b64 v[11:12], 2, v[3:4]
	v_cmp_gt_i64_e32 vcc_lo, s[20:21], v[5:6]
	v_lshlrev_b64 v[3:4], 2, v[5:6]
	v_add_co_u32 v11, s1, s3, v11
	v_add_co_ci_u32_e64 v12, null, s5, v12, s1
	s_and_saveexec_b32 s2, vcc_lo
	s_cbranch_execz .LBB56_11
; %bb.10:
	v_add_co_u32 v13, s1, v11, v3
	v_add_co_ci_u32_e64 v14, null, v12, v4, s1
	v_mul_f32_e32 v15, s4, v10
	global_store_dword v[13:14], v15, off
.LBB56_11:
	s_or_b32 exec_lo, exec_lo, s2
	v_add_co_u32 v5, s1, v5, 16
	v_add_co_ci_u32_e64 v6, null, 0, v6, s1
	v_cmp_gt_i64_e64 s1, s[20:21], v[5:6]
	s_and_saveexec_b32 s9, s1
	s_cbranch_execz .LBB56_13
; %bb.12:
	v_add_co_u32 v5, s2, v11, v3
	v_add_co_ci_u32_e64 v6, null, v12, v4, s2
	v_mul_f32_e32 v13, s4, v9
	global_store_dword v[5:6], v13, off offset:64
.LBB56_13:
	s_or_b32 exec_lo, exec_lo, s9
	v_add_co_u32 v5, s2, v1, 16
	v_add_co_ci_u32_e64 v6, null, 0, v2, s2
	v_cmp_gt_i64_e64 s2, s[22:23], v[5:6]
	s_and_b32 exec_lo, exec_lo, s2
	s_cbranch_execz .LBB56_18
; %bb.14:
	s_lshl_b64 s[18:19], s[24:25], 6
	v_add_co_u32 v5, s2, v11, s18
	v_add_co_ci_u32_e64 v6, null, s19, v12, s2
	v_add_co_u32 v3, s2, v5, v3
	v_add_co_ci_u32_e64 v4, null, v6, v4, s2
	s_and_saveexec_b32 s2, vcc_lo
	s_cbranch_execz .LBB56_16
; %bb.15:
	v_mul_f32_e32 v5, s4, v8
	global_store_dword v[3:4], v5, off
.LBB56_16:
	s_or_b32 exec_lo, exec_lo, s2
	s_and_b32 exec_lo, exec_lo, s1
	s_cbranch_execz .LBB56_18
; %bb.17:
	v_mul_f32_e32 v5, s4, v7
	global_store_dword v[3:4], v5, off offset:64
.LBB56_18:
	s_or_b32 exec_lo, exec_lo, s7
	s_cbranch_execz .LBB56_21
.LBB56_19:
	s_endpgm
.LBB56_20:
.LBB56_21:
	s_and_saveexec_b32 s1, s0
	s_cbranch_execz .LBB56_19
; %bb.22:
	v_mul_lo_u32 v5, v2, s14
	v_mul_lo_u32 v6, v1, s15
	v_mad_u64_u32 v[3:4], null, v1, s14, 0
	v_mul_lo_u32 v13, v2, s24
	v_mul_lo_u32 v14, v1, s25
	v_mad_u64_u32 v[11:12], null, v1, s24, 0
	s_mul_i32 s0, s17, s8
	s_mul_hi_u32 s1, s16, s8
	v_add3_u32 v4, v4, v6, v5
	s_add_i32 s1, s1, s0
	s_mul_i32 s0, s16, s8
	v_add_co_u32 v5, s2, s10, v0
	v_add3_u32 v12, v12, v14, v13
	v_lshlrev_b64 v[3:4], 2, v[3:4]
	s_lshl_b64 s[0:1], s[0:1], 2
	v_add_co_ci_u32_e64 v6, null, s11, 0, s2
	v_lshlrev_b64 v[12:13], 2, v[11:12]
	s_add_u32 s0, s12, s0
	s_addc_u32 s1, s13, s1
	v_add_co_u32 v0, s0, s0, v3
	v_add_co_ci_u32_e64 v11, null, s1, v4, s0
	v_add_co_u32 v12, s0, s3, v12
	v_cmp_gt_i64_e32 vcc_lo, s[20:21], v[5:6]
	v_lshlrev_b64 v[3:4], 2, v[5:6]
	v_add_co_ci_u32_e64 v13, null, s5, v13, s0
	s_and_saveexec_b32 s1, vcc_lo
	s_cbranch_execz .LBB56_24
; %bb.23:
	v_add_co_u32 v14, s0, v0, v3
	v_add_co_ci_u32_e64 v15, null, v11, v4, s0
	global_load_dword v14, v[14:15], off
	s_waitcnt vmcnt(0)
	v_mul_f32_e32 v16, s6, v14
	v_add_co_u32 v14, s0, v12, v3
	v_add_co_ci_u32_e64 v15, null, v13, v4, s0
	v_fmac_f32_e32 v16, s4, v10
	global_store_dword v[14:15], v16, off
.LBB56_24:
	s_or_b32 exec_lo, exec_lo, s1
	v_add_co_u32 v5, s0, v5, 16
	v_add_co_ci_u32_e64 v6, null, 0, v6, s0
	v_cmp_gt_i64_e64 s0, s[20:21], v[5:6]
	s_and_saveexec_b32 s2, s0
	s_cbranch_execz .LBB56_26
; %bb.25:
	v_add_co_u32 v5, s1, v0, v3
	v_add_co_ci_u32_e64 v6, null, v11, v4, s1
	global_load_dword v5, v[5:6], off offset:64
	s_waitcnt vmcnt(0)
	v_mul_f32_e32 v10, s6, v5
	v_add_co_u32 v5, s1, v12, v3
	v_add_co_ci_u32_e64 v6, null, v13, v4, s1
	v_fmac_f32_e32 v10, s4, v9
	global_store_dword v[5:6], v10, off offset:64
.LBB56_26:
	s_or_b32 exec_lo, exec_lo, s2
	v_add_co_u32 v1, s1, v1, 16
	v_add_co_ci_u32_e64 v2, null, 0, v2, s1
	v_cmp_gt_i64_e64 s1, s[22:23], v[1:2]
	s_and_b32 exec_lo, exec_lo, s1
	s_cbranch_execz .LBB56_19
; %bb.27:
	s_lshl_b64 s[2:3], s[14:15], 6
	v_add_co_u32 v0, s1, v0, s2
	v_add_co_ci_u32_e64 v1, null, s3, v11, s1
	s_lshl_b64 s[2:3], s[24:25], 6
	v_add_co_u32 v2, s1, v12, s2
	v_add_co_ci_u32_e64 v5, null, s3, v13, s1
	v_add_co_u32 v0, s1, v0, v3
	v_add_co_ci_u32_e64 v1, null, v1, v4, s1
	;; [unrolled: 2-line block ×3, first 2 shown]
	s_and_saveexec_b32 s1, vcc_lo
	s_cbranch_execz .LBB56_29
; %bb.28:
	global_load_dword v4, v[0:1], off
	s_waitcnt vmcnt(0)
	v_mul_f32_e32 v4, s6, v4
	v_fmac_f32_e32 v4, s4, v8
	global_store_dword v[2:3], v4, off
.LBB56_29:
	s_or_b32 exec_lo, exec_lo, s1
	s_and_b32 exec_lo, exec_lo, s0
	s_cbranch_execz .LBB56_19
; %bb.30:
	global_load_dword v0, v[0:1], off offset:64
	s_waitcnt vmcnt(0)
	v_mul_f32_e32 v0, s6, v0
	v_fmac_f32_e32 v0, s4, v7
	global_store_dword v[2:3], v0, off offset:64
	s_endpgm
	.section	.rodata,"a",@progbits
	.p2align	6, 0x0
	.amdhsa_kernel _ZN12_GLOBAL__N_135rocblas_gemm_batched_general_kernelIfLi16ELi16ELi32ELi32ELi8ELi32ELi8ELi8ELi32ELc78ELc67EKfS1_fEEvlllT_PT11_llS4_llS2_PT12_llPT13_lli
		.amdhsa_group_segment_fixed_size 2048
		.amdhsa_private_segment_fixed_size 0
		.amdhsa_kernarg_size 140
		.amdhsa_user_sgpr_count 6
		.amdhsa_user_sgpr_private_segment_buffer 1
		.amdhsa_user_sgpr_dispatch_ptr 0
		.amdhsa_user_sgpr_queue_ptr 0
		.amdhsa_user_sgpr_kernarg_segment_ptr 1
		.amdhsa_user_sgpr_dispatch_id 0
		.amdhsa_user_sgpr_flat_scratch_init 0
		.amdhsa_user_sgpr_private_segment_size 0
		.amdhsa_wavefront_size32 1
		.amdhsa_uses_dynamic_stack 0
		.amdhsa_system_sgpr_private_segment_wavefront_offset 0
		.amdhsa_system_sgpr_workgroup_id_x 1
		.amdhsa_system_sgpr_workgroup_id_y 1
		.amdhsa_system_sgpr_workgroup_id_z 1
		.amdhsa_system_sgpr_workgroup_info 0
		.amdhsa_system_vgpr_workitem_id 1
		.amdhsa_next_free_vgpr 44
		.amdhsa_next_free_sgpr 34
		.amdhsa_reserve_vcc 1
		.amdhsa_reserve_flat_scratch 0
		.amdhsa_float_round_mode_32 0
		.amdhsa_float_round_mode_16_64 0
		.amdhsa_float_denorm_mode_32 3
		.amdhsa_float_denorm_mode_16_64 3
		.amdhsa_dx10_clamp 1
		.amdhsa_ieee_mode 1
		.amdhsa_fp16_overflow 0
		.amdhsa_workgroup_processor_mode 1
		.amdhsa_memory_ordered 1
		.amdhsa_forward_progress 1
		.amdhsa_shared_vgpr_count 0
		.amdhsa_exception_fp_ieee_invalid_op 0
		.amdhsa_exception_fp_denorm_src 0
		.amdhsa_exception_fp_ieee_div_zero 0
		.amdhsa_exception_fp_ieee_overflow 0
		.amdhsa_exception_fp_ieee_underflow 0
		.amdhsa_exception_fp_ieee_inexact 0
		.amdhsa_exception_int_div_zero 0
	.end_amdhsa_kernel
	.section	.text._ZN12_GLOBAL__N_135rocblas_gemm_batched_general_kernelIfLi16ELi16ELi32ELi32ELi8ELi32ELi8ELi8ELi32ELc78ELc67EKfS1_fEEvlllT_PT11_llS4_llS2_PT12_llPT13_lli,"axG",@progbits,_ZN12_GLOBAL__N_135rocblas_gemm_batched_general_kernelIfLi16ELi16ELi32ELi32ELi8ELi32ELi8ELi8ELi32ELc78ELc67EKfS1_fEEvlllT_PT11_llS4_llS2_PT12_llPT13_lli,comdat
.Lfunc_end56:
	.size	_ZN12_GLOBAL__N_135rocblas_gemm_batched_general_kernelIfLi16ELi16ELi32ELi32ELi8ELi32ELi8ELi8ELi32ELc78ELc67EKfS1_fEEvlllT_PT11_llS4_llS2_PT12_llPT13_lli, .Lfunc_end56-_ZN12_GLOBAL__N_135rocblas_gemm_batched_general_kernelIfLi16ELi16ELi32ELi32ELi8ELi32ELi8ELi8ELi32ELc78ELc67EKfS1_fEEvlllT_PT11_llS4_llS2_PT12_llPT13_lli
                                        ; -- End function
	.set _ZN12_GLOBAL__N_135rocblas_gemm_batched_general_kernelIfLi16ELi16ELi32ELi32ELi8ELi32ELi8ELi8ELi32ELc78ELc67EKfS1_fEEvlllT_PT11_llS4_llS2_PT12_llPT13_lli.num_vgpr, 44
	.set _ZN12_GLOBAL__N_135rocblas_gemm_batched_general_kernelIfLi16ELi16ELi32ELi32ELi8ELi32ELi8ELi8ELi32ELc78ELc67EKfS1_fEEvlllT_PT11_llS4_llS2_PT12_llPT13_lli.num_agpr, 0
	.set _ZN12_GLOBAL__N_135rocblas_gemm_batched_general_kernelIfLi16ELi16ELi32ELi32ELi8ELi32ELi8ELi8ELi32ELc78ELc67EKfS1_fEEvlllT_PT11_llS4_llS2_PT12_llPT13_lli.numbered_sgpr, 34
	.set _ZN12_GLOBAL__N_135rocblas_gemm_batched_general_kernelIfLi16ELi16ELi32ELi32ELi8ELi32ELi8ELi8ELi32ELc78ELc67EKfS1_fEEvlllT_PT11_llS4_llS2_PT12_llPT13_lli.num_named_barrier, 0
	.set _ZN12_GLOBAL__N_135rocblas_gemm_batched_general_kernelIfLi16ELi16ELi32ELi32ELi8ELi32ELi8ELi8ELi32ELc78ELc67EKfS1_fEEvlllT_PT11_llS4_llS2_PT12_llPT13_lli.private_seg_size, 0
	.set _ZN12_GLOBAL__N_135rocblas_gemm_batched_general_kernelIfLi16ELi16ELi32ELi32ELi8ELi32ELi8ELi8ELi32ELc78ELc67EKfS1_fEEvlllT_PT11_llS4_llS2_PT12_llPT13_lli.uses_vcc, 1
	.set _ZN12_GLOBAL__N_135rocblas_gemm_batched_general_kernelIfLi16ELi16ELi32ELi32ELi8ELi32ELi8ELi8ELi32ELc78ELc67EKfS1_fEEvlllT_PT11_llS4_llS2_PT12_llPT13_lli.uses_flat_scratch, 0
	.set _ZN12_GLOBAL__N_135rocblas_gemm_batched_general_kernelIfLi16ELi16ELi32ELi32ELi8ELi32ELi8ELi8ELi32ELc78ELc67EKfS1_fEEvlllT_PT11_llS4_llS2_PT12_llPT13_lli.has_dyn_sized_stack, 0
	.set _ZN12_GLOBAL__N_135rocblas_gemm_batched_general_kernelIfLi16ELi16ELi32ELi32ELi8ELi32ELi8ELi8ELi32ELc78ELc67EKfS1_fEEvlllT_PT11_llS4_llS2_PT12_llPT13_lli.has_recursion, 0
	.set _ZN12_GLOBAL__N_135rocblas_gemm_batched_general_kernelIfLi16ELi16ELi32ELi32ELi8ELi32ELi8ELi8ELi32ELc78ELc67EKfS1_fEEvlllT_PT11_llS4_llS2_PT12_llPT13_lli.has_indirect_call, 0
	.section	.AMDGPU.csdata,"",@progbits
; Kernel info:
; codeLenInByte = 1884
; TotalNumSgprs: 36
; NumVgprs: 44
; ScratchSize: 0
; MemoryBound: 0
; FloatMode: 240
; IeeeMode: 1
; LDSByteSize: 2048 bytes/workgroup (compile time only)
; SGPRBlocks: 0
; VGPRBlocks: 5
; NumSGPRsForWavesPerEU: 36
; NumVGPRsForWavesPerEU: 44
; Occupancy: 16
; WaveLimiterHint : 0
; COMPUTE_PGM_RSRC2:SCRATCH_EN: 0
; COMPUTE_PGM_RSRC2:USER_SGPR: 6
; COMPUTE_PGM_RSRC2:TRAP_HANDLER: 0
; COMPUTE_PGM_RSRC2:TGID_X_EN: 1
; COMPUTE_PGM_RSRC2:TGID_Y_EN: 1
; COMPUTE_PGM_RSRC2:TGID_Z_EN: 1
; COMPUTE_PGM_RSRC2:TIDIG_COMP_CNT: 1
	.section	.text._ZN12_GLOBAL__N_135rocblas_gemm_batched_general_kernelIfLi16ELi16ELi32ELi32ELi8ELi32ELi8ELi8ELi32ELc84ELc67EKfS1_fEEvlllT_PT11_llS4_llS2_PT12_llPT13_lli,"axG",@progbits,_ZN12_GLOBAL__N_135rocblas_gemm_batched_general_kernelIfLi16ELi16ELi32ELi32ELi8ELi32ELi8ELi8ELi32ELc84ELc67EKfS1_fEEvlllT_PT11_llS4_llS2_PT12_llPT13_lli,comdat
	.globl	_ZN12_GLOBAL__N_135rocblas_gemm_batched_general_kernelIfLi16ELi16ELi32ELi32ELi8ELi32ELi8ELi8ELi32ELc84ELc67EKfS1_fEEvlllT_PT11_llS4_llS2_PT12_llPT13_lli ; -- Begin function _ZN12_GLOBAL__N_135rocblas_gemm_batched_general_kernelIfLi16ELi16ELi32ELi32ELi8ELi32ELi8ELi8ELi32ELc84ELc67EKfS1_fEEvlllT_PT11_llS4_llS2_PT12_llPT13_lli
	.p2align	8
	.type	_ZN12_GLOBAL__N_135rocblas_gemm_batched_general_kernelIfLi16ELi16ELi32ELi32ELi8ELi32ELi8ELi8ELi32ELc84ELc67EKfS1_fEEvlllT_PT11_llS4_llS2_PT12_llPT13_lli,@function
_ZN12_GLOBAL__N_135rocblas_gemm_batched_general_kernelIfLi16ELi16ELi32ELi32ELi8ELi32ELi8ELi8ELi32ELc84ELc67EKfS1_fEEvlllT_PT11_llS4_llS2_PT12_llPT13_lli: ; @_ZN12_GLOBAL__N_135rocblas_gemm_batched_general_kernelIfLi16ELi16ELi32ELi32ELi8ELi32ELi8ELi8ELi32ELc84ELc67EKfS1_fEEvlllT_PT11_llS4_llS2_PT12_llPT13_lli
; %bb.0:
	s_clause 0x1
	s_load_dwordx2 s[10:11], s[4:5], 0x10
	s_load_dwordx4 s[20:23], s[4:5], 0x0
	s_mov_b32 s0, s7
	v_mov_b32_e32 v10, 0
	v_mov_b32_e32 v9, 0
	v_mov_b32_e32 v8, 0
	v_mov_b32_e32 v7, 0
	s_ashr_i32 s7, s6, 31
	s_ashr_i32 s1, s0, 31
	s_lshl_b64 s[6:7], s[6:7], 5
	s_waitcnt lgkmcnt(0)
	v_cmp_lt_i64_e64 s2, s[10:11], 1
	s_and_b32 vcc_lo, exec_lo, s2
	s_lshl_b64 s[2:3], s[0:1], 5
	s_cbranch_vccnz .LBB57_7
; %bb.1:
	s_clause 0x1
	s_load_dwordx4 s[24:27], s[4:5], 0x40
	s_load_dwordx8 s[12:19], s[4:5], 0x20
	v_lshl_add_u32 v2, v1, 4, v0
	v_and_b32_e32 v6, 7, v0
	v_mov_b32_e32 v3, s7
	s_lshl_b64 s[28:29], s[0:1], 7
	v_mov_b32_e32 v7, 0
	v_and_b32_e32 v14, 31, v2
	v_lshrrev_b32_e32 v10, 3, v2
	v_lshrrev_b32_e32 v13, 5, v2
	v_lshlrev_b32_e32 v15, 2, v6
	v_lshlrev_b32_e32 v11, 2, v0
	v_or_b32_e32 v2, s6, v14
	v_add_co_u32 v8, s0, v10, s2
	v_add_co_ci_u32_e64 v9, null, 0, s3, s0
	v_add_co_u32 v17, s0, s6, v14
	v_add_co_ci_u32_e64 v18, null, s7, 0, s0
	s_waitcnt lgkmcnt(0)
	v_mad_u64_u32 v[4:5], null, s24, v6, 0
	v_cmp_gt_i64_e64 s0, s[20:21], v[2:3]
	v_cmp_gt_i64_e64 s1, s[22:23], v[8:9]
	v_mul_lo_u32 v8, s15, v17
	v_mul_lo_u32 v9, s14, v18
	s_mul_i32 s9, s27, s8
	s_mul_hi_u32 s27, s26, s8
	v_mad_u64_u32 v[2:3], null, s25, v6, v[5:6]
	s_mul_i32 s26, s26, s8
	s_add_i32 s27, s27, s9
	s_mul_i32 s9, s17, s8
	s_mul_hi_u32 s17, s16, s8
	v_lshlrev_b32_e32 v16, 2, v14
	v_lshl_or_b32 v15, v10, 5, v15
	v_mov_b32_e32 v5, v2
	v_mad_u64_u32 v[2:3], null, s14, v17, 0
	s_lshl_b64 s[14:15], s[26:27], 2
	v_lshl_add_u32 v12, v1, 5, 0x400
	v_lshlrev_b64 v[4:5], 2, v[4:5]
	s_add_u32 s14, s28, s14
	s_addc_u32 s15, s29, s15
	v_lshl_or_b32 v14, v13, 7, v16
	v_add3_u32 v3, v3, v9, v8
	v_lshlrev_b32_e32 v8, 2, v10
	v_add_co_u32 v4, vcc_lo, s14, v4
	v_add_co_ci_u32_e64 v5, null, s15, v5, vcc_lo
	v_lshlrev_b64 v[2:3], 2, v[2:3]
	s_add_i32 s15, s17, s9
	s_mul_i32 s14, s16, s8
	v_lshlrev_b32_e32 v9, 2, v13
	s_lshl_b64 s[14:15], s[14:15], 2
	v_add_nc_u32_e32 v15, 0x400, v15
	v_add_co_u32 v2, vcc_lo, v2, s14
	v_add_co_ci_u32_e64 v3, null, s15, v3, vcc_lo
	v_add_co_u32 v4, vcc_lo, v4, v8
	v_add_co_ci_u32_e64 v5, null, 0, v5, vcc_lo
	;; [unrolled: 2-line block ×5, first 2 shown]
	v_mov_b32_e32 v8, 0
	v_mov_b32_e32 v9, 0
	;; [unrolled: 1-line block ×3, first 2 shown]
	s_lshl_b64 s[12:13], s[24:25], 5
	s_mov_b64 s[14:15], 0
	s_branch .LBB57_3
.LBB57_2:                               ;   in Loop: Header=BB57_3 Depth=1
	s_or_b32 exec_lo, exec_lo, s9
	s_waitcnt vmcnt(0)
	ds_write_b32 v15, v17
	s_waitcnt lgkmcnt(0)
	s_barrier
	buffer_gl0_inv
	ds_read_b128 v[16:19], v12
	ds_read2_b32 v[32:33], v11 offset1:16
	ds_read_b128 v[20:23], v12 offset:512
	ds_read2_b32 v[34:35], v11 offset0:32 offset1:48
	ds_read2_b32 v[36:37], v11 offset0:64 offset1:80
	;; [unrolled: 1-line block ×3, first 2 shown]
	ds_read_b128 v[24:27], v12 offset:16
	ds_read2_b32 v[40:41], v11 offset0:128 offset1:144
	ds_read_b128 v[28:31], v12 offset:528
	ds_read2_b32 v[42:43], v11 offset0:160 offset1:176
	s_add_u32 s14, s14, 8
	s_addc_u32 s15, s15, 0
	v_add_co_u32 v2, vcc_lo, v2, s12
	v_cmp_lt_i64_e64 s9, s[14:15], s[10:11]
	v_add_co_ci_u32_e64 v3, null, s13, v3, vcc_lo
	v_add_co_u32 v4, vcc_lo, v4, 32
	v_add_co_ci_u32_e64 v5, null, 0, v5, vcc_lo
	s_waitcnt lgkmcnt(8)
	v_fmac_f32_e32 v10, v32, v16
	v_fmac_f32_e32 v9, v33, v16
	s_waitcnt lgkmcnt(7)
	v_fmac_f32_e32 v8, v32, v20
	v_fmac_f32_e32 v7, v33, v20
	ds_read2_b32 v[32:33], v11 offset0:192 offset1:208
	s_waitcnt lgkmcnt(7)
	v_fmac_f32_e32 v10, v34, v17
	v_fmac_f32_e32 v9, v35, v17
	;; [unrolled: 1-line block ×4, first 2 shown]
	ds_read2_b32 v[16:17], v11 offset0:224 offset1:240
	s_waitcnt lgkmcnt(7)
	v_fmac_f32_e32 v10, v36, v18
	v_fmac_f32_e32 v9, v37, v18
	;; [unrolled: 1-line block ×4, first 2 shown]
	s_and_b32 vcc_lo, exec_lo, s9
	s_waitcnt lgkmcnt(6)
	v_fmac_f32_e32 v10, v38, v19
	v_fmac_f32_e32 v9, v39, v19
	v_fmac_f32_e32 v8, v38, v23
	v_fmac_f32_e32 v7, v39, v23
	s_waitcnt lgkmcnt(0)
	v_fmac_f32_e32 v10, v40, v24
	v_fmac_f32_e32 v9, v41, v24
	;; [unrolled: 1-line block ×4, first 2 shown]
	s_barrier
	v_fmac_f32_e32 v10, v42, v25
	v_fmac_f32_e32 v9, v43, v25
	;; [unrolled: 1-line block ×4, first 2 shown]
	buffer_gl0_inv
	v_fmac_f32_e32 v10, v32, v26
	v_fmac_f32_e32 v9, v33, v26
	;; [unrolled: 1-line block ×8, first 2 shown]
	s_cbranch_vccz .LBB57_7
.LBB57_3:                               ; =>This Inner Loop Header: Depth=1
	v_add_co_u32 v16, s9, v13, s14
	v_add_co_ci_u32_e64 v17, null, 0, s15, s9
	v_cmp_gt_i64_e32 vcc_lo, s[10:11], v[16:17]
	v_mov_b32_e32 v16, 0
	s_and_b32 s16, s0, vcc_lo
	s_and_saveexec_b32 s9, s16
	s_cbranch_execz .LBB57_5
; %bb.4:                                ;   in Loop: Header=BB57_3 Depth=1
	global_load_dword v16, v[4:5], off
.LBB57_5:                               ;   in Loop: Header=BB57_3 Depth=1
	s_or_b32 exec_lo, exec_lo, s9
	v_add_co_u32 v17, s9, v6, s14
	v_add_co_ci_u32_e64 v18, null, 0, s15, s9
	s_waitcnt vmcnt(0)
	ds_write_b32 v14, v16
	v_cmp_gt_i64_e32 vcc_lo, s[10:11], v[17:18]
	v_mov_b32_e32 v17, 0
	s_and_b32 s16, vcc_lo, s1
	s_and_saveexec_b32 s9, s16
	s_cbranch_execz .LBB57_2
; %bb.6:                                ;   in Loop: Header=BB57_3 Depth=1
	global_load_dword v17, v[2:3], off
	s_branch .LBB57_2
.LBB57_7:
	s_clause 0x3
	s_load_dwordx4 s[24:27], s[4:5], 0x78
	s_load_dword s9, s[4:5], 0x50
	s_load_dwordx8 s[12:19], s[4:5], 0x58
	s_load_dword s4, s[4:5], 0x18
	v_add_co_u32 v1, s0, s2, v1
	v_add_co_ci_u32_e64 v2, null, s3, 0, s0
	s_waitcnt lgkmcnt(0)
	s_mul_i32 s1, s27, s8
	s_mul_hi_u32 s2, s26, s8
	s_mul_i32 s0, s26, s8
	s_add_i32 s1, s2, s1
	v_cmp_neq_f32_e64 s2, s9, 0
	s_lshl_b64 s[10:11], s[0:1], 2
	v_cmp_gt_i64_e64 s0, s[22:23], v[1:2]
	s_add_u32 s3, s18, s10
	s_addc_u32 s5, s19, s11
	s_and_b32 vcc_lo, exec_lo, s2
	s_cbranch_vccnz .LBB57_20
; %bb.8:
	s_and_saveexec_b32 s10, s0
	s_cbranch_execz .LBB57_18
; %bb.9:
	v_mul_lo_u32 v5, v2, s24
	v_mul_lo_u32 v6, v1, s25
	v_mad_u64_u32 v[3:4], null, v1, s24, 0
	v_add3_u32 v4, v4, v6, v5
	v_add_co_u32 v5, s1, s6, v0
	v_add_co_ci_u32_e64 v6, null, s7, 0, s1
	v_lshlrev_b64 v[11:12], 2, v[3:4]
	v_cmp_gt_i64_e32 vcc_lo, s[20:21], v[5:6]
	v_lshlrev_b64 v[3:4], 2, v[5:6]
	v_add_co_u32 v11, s1, s3, v11
	v_add_co_ci_u32_e64 v12, null, s5, v12, s1
	s_and_saveexec_b32 s2, vcc_lo
	s_cbranch_execz .LBB57_11
; %bb.10:
	v_add_co_u32 v13, s1, v11, v3
	v_add_co_ci_u32_e64 v14, null, v12, v4, s1
	v_mul_f32_e32 v15, s4, v10
	global_store_dword v[13:14], v15, off
.LBB57_11:
	s_or_b32 exec_lo, exec_lo, s2
	v_add_co_u32 v5, s1, v5, 16
	v_add_co_ci_u32_e64 v6, null, 0, v6, s1
	v_cmp_gt_i64_e64 s1, s[20:21], v[5:6]
	s_and_saveexec_b32 s11, s1
	s_cbranch_execz .LBB57_13
; %bb.12:
	v_add_co_u32 v5, s2, v11, v3
	v_add_co_ci_u32_e64 v6, null, v12, v4, s2
	v_mul_f32_e32 v13, s4, v9
	global_store_dword v[5:6], v13, off offset:64
.LBB57_13:
	s_or_b32 exec_lo, exec_lo, s11
	v_add_co_u32 v5, s2, v1, 16
	v_add_co_ci_u32_e64 v6, null, 0, v2, s2
	v_cmp_gt_i64_e64 s2, s[22:23], v[5:6]
	s_and_b32 exec_lo, exec_lo, s2
	s_cbranch_execz .LBB57_18
; %bb.14:
	s_lshl_b64 s[18:19], s[24:25], 6
	v_add_co_u32 v5, s2, v11, s18
	v_add_co_ci_u32_e64 v6, null, s19, v12, s2
	v_add_co_u32 v3, s2, v5, v3
	v_add_co_ci_u32_e64 v4, null, v6, v4, s2
	s_and_saveexec_b32 s2, vcc_lo
	s_cbranch_execz .LBB57_16
; %bb.15:
	v_mul_f32_e32 v5, s4, v8
	global_store_dword v[3:4], v5, off
.LBB57_16:
	s_or_b32 exec_lo, exec_lo, s2
	s_and_b32 exec_lo, exec_lo, s1
	s_cbranch_execz .LBB57_18
; %bb.17:
	v_mul_f32_e32 v5, s4, v7
	global_store_dword v[3:4], v5, off offset:64
.LBB57_18:
	s_or_b32 exec_lo, exec_lo, s10
	s_cbranch_execz .LBB57_21
.LBB57_19:
	s_endpgm
.LBB57_20:
.LBB57_21:
	s_and_saveexec_b32 s1, s0
	s_cbranch_execz .LBB57_19
; %bb.22:
	v_mul_lo_u32 v5, v2, s14
	v_mul_lo_u32 v6, v1, s15
	v_mad_u64_u32 v[3:4], null, v1, s14, 0
	v_mul_lo_u32 v13, v2, s24
	v_mul_lo_u32 v14, v1, s25
	v_mad_u64_u32 v[11:12], null, v1, s24, 0
	s_mul_i32 s0, s17, s8
	s_mul_hi_u32 s1, s16, s8
	v_add3_u32 v4, v4, v6, v5
	s_add_i32 s1, s1, s0
	s_mul_i32 s0, s16, s8
	v_add_co_u32 v5, s2, s6, v0
	v_add3_u32 v12, v12, v14, v13
	v_lshlrev_b64 v[3:4], 2, v[3:4]
	s_lshl_b64 s[0:1], s[0:1], 2
	v_add_co_ci_u32_e64 v6, null, s7, 0, s2
	v_lshlrev_b64 v[12:13], 2, v[11:12]
	s_add_u32 s0, s12, s0
	s_addc_u32 s1, s13, s1
	v_add_co_u32 v0, s0, s0, v3
	v_add_co_ci_u32_e64 v11, null, s1, v4, s0
	v_add_co_u32 v12, s0, s3, v12
	v_cmp_gt_i64_e32 vcc_lo, s[20:21], v[5:6]
	v_lshlrev_b64 v[3:4], 2, v[5:6]
	v_add_co_ci_u32_e64 v13, null, s5, v13, s0
	s_and_saveexec_b32 s1, vcc_lo
	s_cbranch_execz .LBB57_24
; %bb.23:
	v_add_co_u32 v14, s0, v0, v3
	v_add_co_ci_u32_e64 v15, null, v11, v4, s0
	global_load_dword v14, v[14:15], off
	s_waitcnt vmcnt(0)
	v_mul_f32_e32 v16, s9, v14
	v_add_co_u32 v14, s0, v12, v3
	v_add_co_ci_u32_e64 v15, null, v13, v4, s0
	v_fmac_f32_e32 v16, s4, v10
	global_store_dword v[14:15], v16, off
.LBB57_24:
	s_or_b32 exec_lo, exec_lo, s1
	v_add_co_u32 v5, s0, v5, 16
	v_add_co_ci_u32_e64 v6, null, 0, v6, s0
	v_cmp_gt_i64_e64 s0, s[20:21], v[5:6]
	s_and_saveexec_b32 s2, s0
	s_cbranch_execz .LBB57_26
; %bb.25:
	v_add_co_u32 v5, s1, v0, v3
	v_add_co_ci_u32_e64 v6, null, v11, v4, s1
	global_load_dword v5, v[5:6], off offset:64
	s_waitcnt vmcnt(0)
	v_mul_f32_e32 v10, s9, v5
	v_add_co_u32 v5, s1, v12, v3
	v_add_co_ci_u32_e64 v6, null, v13, v4, s1
	v_fmac_f32_e32 v10, s4, v9
	global_store_dword v[5:6], v10, off offset:64
.LBB57_26:
	s_or_b32 exec_lo, exec_lo, s2
	v_add_co_u32 v1, s1, v1, 16
	v_add_co_ci_u32_e64 v2, null, 0, v2, s1
	v_cmp_gt_i64_e64 s1, s[22:23], v[1:2]
	s_and_b32 exec_lo, exec_lo, s1
	s_cbranch_execz .LBB57_19
; %bb.27:
	s_lshl_b64 s[2:3], s[14:15], 6
	v_add_co_u32 v0, s1, v0, s2
	v_add_co_ci_u32_e64 v1, null, s3, v11, s1
	s_lshl_b64 s[2:3], s[24:25], 6
	v_add_co_u32 v2, s1, v12, s2
	v_add_co_ci_u32_e64 v5, null, s3, v13, s1
	v_add_co_u32 v0, s1, v0, v3
	v_add_co_ci_u32_e64 v1, null, v1, v4, s1
	v_add_co_u32 v2, s1, v2, v3
	v_add_co_ci_u32_e64 v3, null, v5, v4, s1
	s_and_saveexec_b32 s1, vcc_lo
	s_cbranch_execz .LBB57_29
; %bb.28:
	global_load_dword v4, v[0:1], off
	s_waitcnt vmcnt(0)
	v_mul_f32_e32 v4, s9, v4
	v_fmac_f32_e32 v4, s4, v8
	global_store_dword v[2:3], v4, off
.LBB57_29:
	s_or_b32 exec_lo, exec_lo, s1
	s_and_b32 exec_lo, exec_lo, s0
	s_cbranch_execz .LBB57_19
; %bb.30:
	global_load_dword v0, v[0:1], off offset:64
	s_waitcnt vmcnt(0)
	v_mul_f32_e32 v0, s9, v0
	v_fmac_f32_e32 v0, s4, v7
	global_store_dword v[2:3], v0, off offset:64
	s_endpgm
	.section	.rodata,"a",@progbits
	.p2align	6, 0x0
	.amdhsa_kernel _ZN12_GLOBAL__N_135rocblas_gemm_batched_general_kernelIfLi16ELi16ELi32ELi32ELi8ELi32ELi8ELi8ELi32ELc84ELc67EKfS1_fEEvlllT_PT11_llS4_llS2_PT12_llPT13_lli
		.amdhsa_group_segment_fixed_size 2048
		.amdhsa_private_segment_fixed_size 0
		.amdhsa_kernarg_size 140
		.amdhsa_user_sgpr_count 6
		.amdhsa_user_sgpr_private_segment_buffer 1
		.amdhsa_user_sgpr_dispatch_ptr 0
		.amdhsa_user_sgpr_queue_ptr 0
		.amdhsa_user_sgpr_kernarg_segment_ptr 1
		.amdhsa_user_sgpr_dispatch_id 0
		.amdhsa_user_sgpr_flat_scratch_init 0
		.amdhsa_user_sgpr_private_segment_size 0
		.amdhsa_wavefront_size32 1
		.amdhsa_uses_dynamic_stack 0
		.amdhsa_system_sgpr_private_segment_wavefront_offset 0
		.amdhsa_system_sgpr_workgroup_id_x 1
		.amdhsa_system_sgpr_workgroup_id_y 1
		.amdhsa_system_sgpr_workgroup_id_z 1
		.amdhsa_system_sgpr_workgroup_info 0
		.amdhsa_system_vgpr_workitem_id 1
		.amdhsa_next_free_vgpr 44
		.amdhsa_next_free_sgpr 30
		.amdhsa_reserve_vcc 1
		.amdhsa_reserve_flat_scratch 0
		.amdhsa_float_round_mode_32 0
		.amdhsa_float_round_mode_16_64 0
		.amdhsa_float_denorm_mode_32 3
		.amdhsa_float_denorm_mode_16_64 3
		.amdhsa_dx10_clamp 1
		.amdhsa_ieee_mode 1
		.amdhsa_fp16_overflow 0
		.amdhsa_workgroup_processor_mode 1
		.amdhsa_memory_ordered 1
		.amdhsa_forward_progress 1
		.amdhsa_shared_vgpr_count 0
		.amdhsa_exception_fp_ieee_invalid_op 0
		.amdhsa_exception_fp_denorm_src 0
		.amdhsa_exception_fp_ieee_div_zero 0
		.amdhsa_exception_fp_ieee_overflow 0
		.amdhsa_exception_fp_ieee_underflow 0
		.amdhsa_exception_fp_ieee_inexact 0
		.amdhsa_exception_int_div_zero 0
	.end_amdhsa_kernel
	.section	.text._ZN12_GLOBAL__N_135rocblas_gemm_batched_general_kernelIfLi16ELi16ELi32ELi32ELi8ELi32ELi8ELi8ELi32ELc84ELc67EKfS1_fEEvlllT_PT11_llS4_llS2_PT12_llPT13_lli,"axG",@progbits,_ZN12_GLOBAL__N_135rocblas_gemm_batched_general_kernelIfLi16ELi16ELi32ELi32ELi8ELi32ELi8ELi8ELi32ELc84ELc67EKfS1_fEEvlllT_PT11_llS4_llS2_PT12_llPT13_lli,comdat
.Lfunc_end57:
	.size	_ZN12_GLOBAL__N_135rocblas_gemm_batched_general_kernelIfLi16ELi16ELi32ELi32ELi8ELi32ELi8ELi8ELi32ELc84ELc67EKfS1_fEEvlllT_PT11_llS4_llS2_PT12_llPT13_lli, .Lfunc_end57-_ZN12_GLOBAL__N_135rocblas_gemm_batched_general_kernelIfLi16ELi16ELi32ELi32ELi8ELi32ELi8ELi8ELi32ELc84ELc67EKfS1_fEEvlllT_PT11_llS4_llS2_PT12_llPT13_lli
                                        ; -- End function
	.set _ZN12_GLOBAL__N_135rocblas_gemm_batched_general_kernelIfLi16ELi16ELi32ELi32ELi8ELi32ELi8ELi8ELi32ELc84ELc67EKfS1_fEEvlllT_PT11_llS4_llS2_PT12_llPT13_lli.num_vgpr, 44
	.set _ZN12_GLOBAL__N_135rocblas_gemm_batched_general_kernelIfLi16ELi16ELi32ELi32ELi8ELi32ELi8ELi8ELi32ELc84ELc67EKfS1_fEEvlllT_PT11_llS4_llS2_PT12_llPT13_lli.num_agpr, 0
	.set _ZN12_GLOBAL__N_135rocblas_gemm_batched_general_kernelIfLi16ELi16ELi32ELi32ELi8ELi32ELi8ELi8ELi32ELc84ELc67EKfS1_fEEvlllT_PT11_llS4_llS2_PT12_llPT13_lli.numbered_sgpr, 30
	.set _ZN12_GLOBAL__N_135rocblas_gemm_batched_general_kernelIfLi16ELi16ELi32ELi32ELi8ELi32ELi8ELi8ELi32ELc84ELc67EKfS1_fEEvlllT_PT11_llS4_llS2_PT12_llPT13_lli.num_named_barrier, 0
	.set _ZN12_GLOBAL__N_135rocblas_gemm_batched_general_kernelIfLi16ELi16ELi32ELi32ELi8ELi32ELi8ELi8ELi32ELc84ELc67EKfS1_fEEvlllT_PT11_llS4_llS2_PT12_llPT13_lli.private_seg_size, 0
	.set _ZN12_GLOBAL__N_135rocblas_gemm_batched_general_kernelIfLi16ELi16ELi32ELi32ELi8ELi32ELi8ELi8ELi32ELc84ELc67EKfS1_fEEvlllT_PT11_llS4_llS2_PT12_llPT13_lli.uses_vcc, 1
	.set _ZN12_GLOBAL__N_135rocblas_gemm_batched_general_kernelIfLi16ELi16ELi32ELi32ELi8ELi32ELi8ELi8ELi32ELc84ELc67EKfS1_fEEvlllT_PT11_llS4_llS2_PT12_llPT13_lli.uses_flat_scratch, 0
	.set _ZN12_GLOBAL__N_135rocblas_gemm_batched_general_kernelIfLi16ELi16ELi32ELi32ELi8ELi32ELi8ELi8ELi32ELc84ELc67EKfS1_fEEvlllT_PT11_llS4_llS2_PT12_llPT13_lli.has_dyn_sized_stack, 0
	.set _ZN12_GLOBAL__N_135rocblas_gemm_batched_general_kernelIfLi16ELi16ELi32ELi32ELi8ELi32ELi8ELi8ELi32ELc84ELc67EKfS1_fEEvlllT_PT11_llS4_llS2_PT12_llPT13_lli.has_recursion, 0
	.set _ZN12_GLOBAL__N_135rocblas_gemm_batched_general_kernelIfLi16ELi16ELi32ELi32ELi8ELi32ELi8ELi8ELi32ELc84ELc67EKfS1_fEEvlllT_PT11_llS4_llS2_PT12_llPT13_lli.has_indirect_call, 0
	.section	.AMDGPU.csdata,"",@progbits
; Kernel info:
; codeLenInByte = 1892
; TotalNumSgprs: 32
; NumVgprs: 44
; ScratchSize: 0
; MemoryBound: 0
; FloatMode: 240
; IeeeMode: 1
; LDSByteSize: 2048 bytes/workgroup (compile time only)
; SGPRBlocks: 0
; VGPRBlocks: 5
; NumSGPRsForWavesPerEU: 32
; NumVGPRsForWavesPerEU: 44
; Occupancy: 16
; WaveLimiterHint : 0
; COMPUTE_PGM_RSRC2:SCRATCH_EN: 0
; COMPUTE_PGM_RSRC2:USER_SGPR: 6
; COMPUTE_PGM_RSRC2:TRAP_HANDLER: 0
; COMPUTE_PGM_RSRC2:TGID_X_EN: 1
; COMPUTE_PGM_RSRC2:TGID_Y_EN: 1
; COMPUTE_PGM_RSRC2:TGID_Z_EN: 1
; COMPUTE_PGM_RSRC2:TIDIG_COMP_CNT: 1
	.section	.text._ZN12_GLOBAL__N_125rocblas_gemm_scale_kernelILi32ELi32EdPdEEviiT1_T2_llli,"axG",@progbits,_ZN12_GLOBAL__N_125rocblas_gemm_scale_kernelILi32ELi32EdPdEEviiT1_T2_llli,comdat
	.globl	_ZN12_GLOBAL__N_125rocblas_gemm_scale_kernelILi32ELi32EdPdEEviiT1_T2_llli ; -- Begin function _ZN12_GLOBAL__N_125rocblas_gemm_scale_kernelILi32ELi32EdPdEEviiT1_T2_llli
	.p2align	8
	.type	_ZN12_GLOBAL__N_125rocblas_gemm_scale_kernelILi32ELi32EdPdEEviiT1_T2_llli,@function
_ZN12_GLOBAL__N_125rocblas_gemm_scale_kernelILi32ELi32EdPdEEviiT1_T2_llli: ; @_ZN12_GLOBAL__N_125rocblas_gemm_scale_kernelILi32ELi32EdPdEEviiT1_T2_llli
; %bb.0:
	s_load_dwordx2 s[0:1], s[4:5], 0x0
	v_lshl_add_u32 v0, s6, 5, v0
	v_lshl_add_u32 v1, s7, 5, v1
	s_waitcnt lgkmcnt(0)
	v_cmp_gt_u32_e32 vcc_lo, s0, v0
	v_cmp_gt_u32_e64 s0, s1, v1
	s_and_b32 s0, vcc_lo, s0
	s_and_saveexec_b32 s1, s0
	s_cbranch_execz .LBB58_4
; %bb.1:
	s_clause 0x1
	s_load_dwordx8 s[12:19], s[4:5], 0x8
	s_load_dwordx2 s[0:1], s[4:5], 0x28
	s_waitcnt lgkmcnt(0)
	v_mad_u64_u32 v[4:5], null, s18, v1, 0
	v_cmp_eq_f64_e64 s2, s[12:13], 0
	s_mul_i32 s1, s1, s8
	s_mul_hi_u32 s3, s0, s8
	s_mul_i32 s0, s0, s8
	s_add_i32 s1, s3, s1
	s_lshl_b64 s[0:1], s[0:1], 3
	v_mov_b32_e32 v2, v5
	s_add_u32 s3, s14, s0
	s_addc_u32 s4, s15, s1
	s_lshl_b64 s[0:1], s[16:17], 3
	v_mad_u64_u32 v[2:3], null, s19, v1, v[2:3]
	v_mov_b32_e32 v1, 0
	s_add_u32 s0, s3, s0
	s_addc_u32 s1, s4, s1
	v_lshlrev_b64 v[0:1], 3, v[0:1]
	v_mov_b32_e32 v5, v2
	v_mov_b32_e32 v2, 0
	;; [unrolled: 1-line block ×3, first 2 shown]
	s_and_b32 vcc_lo, exec_lo, s2
	v_lshlrev_b64 v[4:5], 3, v[4:5]
	s_cbranch_vccnz .LBB58_3
; %bb.2:
	v_add_co_u32 v2, vcc_lo, s0, v4
	v_add_co_ci_u32_e64 v3, null, s1, v5, vcc_lo
	v_add_co_u32 v2, vcc_lo, v2, v0
	v_add_co_ci_u32_e64 v3, null, v3, v1, vcc_lo
	global_load_dwordx2 v[2:3], v[2:3], off
	s_waitcnt vmcnt(0)
	v_mul_f64 v[2:3], s[12:13], v[2:3]
.LBB58_3:
	v_add_co_u32 v4, vcc_lo, s0, v4
	v_add_co_ci_u32_e64 v5, null, s1, v5, vcc_lo
	v_add_co_u32 v0, vcc_lo, v4, v0
	v_add_co_ci_u32_e64 v1, null, v5, v1, vcc_lo
	global_store_dwordx2 v[0:1], v[2:3], off
.LBB58_4:
	s_endpgm
	.section	.rodata,"a",@progbits
	.p2align	6, 0x0
	.amdhsa_kernel _ZN12_GLOBAL__N_125rocblas_gemm_scale_kernelILi32ELi32EdPdEEviiT1_T2_llli
		.amdhsa_group_segment_fixed_size 0
		.amdhsa_private_segment_fixed_size 0
		.amdhsa_kernarg_size 52
		.amdhsa_user_sgpr_count 6
		.amdhsa_user_sgpr_private_segment_buffer 1
		.amdhsa_user_sgpr_dispatch_ptr 0
		.amdhsa_user_sgpr_queue_ptr 0
		.amdhsa_user_sgpr_kernarg_segment_ptr 1
		.amdhsa_user_sgpr_dispatch_id 0
		.amdhsa_user_sgpr_flat_scratch_init 0
		.amdhsa_user_sgpr_private_segment_size 0
		.amdhsa_wavefront_size32 1
		.amdhsa_uses_dynamic_stack 0
		.amdhsa_system_sgpr_private_segment_wavefront_offset 0
		.amdhsa_system_sgpr_workgroup_id_x 1
		.amdhsa_system_sgpr_workgroup_id_y 1
		.amdhsa_system_sgpr_workgroup_id_z 1
		.amdhsa_system_sgpr_workgroup_info 0
		.amdhsa_system_vgpr_workitem_id 1
		.amdhsa_next_free_vgpr 6
		.amdhsa_next_free_sgpr 20
		.amdhsa_reserve_vcc 1
		.amdhsa_reserve_flat_scratch 0
		.amdhsa_float_round_mode_32 0
		.amdhsa_float_round_mode_16_64 0
		.amdhsa_float_denorm_mode_32 3
		.amdhsa_float_denorm_mode_16_64 3
		.amdhsa_dx10_clamp 1
		.amdhsa_ieee_mode 1
		.amdhsa_fp16_overflow 0
		.amdhsa_workgroup_processor_mode 1
		.amdhsa_memory_ordered 1
		.amdhsa_forward_progress 1
		.amdhsa_shared_vgpr_count 0
		.amdhsa_exception_fp_ieee_invalid_op 0
		.amdhsa_exception_fp_denorm_src 0
		.amdhsa_exception_fp_ieee_div_zero 0
		.amdhsa_exception_fp_ieee_overflow 0
		.amdhsa_exception_fp_ieee_underflow 0
		.amdhsa_exception_fp_ieee_inexact 0
		.amdhsa_exception_int_div_zero 0
	.end_amdhsa_kernel
	.section	.text._ZN12_GLOBAL__N_125rocblas_gemm_scale_kernelILi32ELi32EdPdEEviiT1_T2_llli,"axG",@progbits,_ZN12_GLOBAL__N_125rocblas_gemm_scale_kernelILi32ELi32EdPdEEviiT1_T2_llli,comdat
.Lfunc_end58:
	.size	_ZN12_GLOBAL__N_125rocblas_gemm_scale_kernelILi32ELi32EdPdEEviiT1_T2_llli, .Lfunc_end58-_ZN12_GLOBAL__N_125rocblas_gemm_scale_kernelILi32ELi32EdPdEEviiT1_T2_llli
                                        ; -- End function
	.set _ZN12_GLOBAL__N_125rocblas_gemm_scale_kernelILi32ELi32EdPdEEviiT1_T2_llli.num_vgpr, 6
	.set _ZN12_GLOBAL__N_125rocblas_gemm_scale_kernelILi32ELi32EdPdEEviiT1_T2_llli.num_agpr, 0
	.set _ZN12_GLOBAL__N_125rocblas_gemm_scale_kernelILi32ELi32EdPdEEviiT1_T2_llli.numbered_sgpr, 20
	.set _ZN12_GLOBAL__N_125rocblas_gemm_scale_kernelILi32ELi32EdPdEEviiT1_T2_llli.num_named_barrier, 0
	.set _ZN12_GLOBAL__N_125rocblas_gemm_scale_kernelILi32ELi32EdPdEEviiT1_T2_llli.private_seg_size, 0
	.set _ZN12_GLOBAL__N_125rocblas_gemm_scale_kernelILi32ELi32EdPdEEviiT1_T2_llli.uses_vcc, 1
	.set _ZN12_GLOBAL__N_125rocblas_gemm_scale_kernelILi32ELi32EdPdEEviiT1_T2_llli.uses_flat_scratch, 0
	.set _ZN12_GLOBAL__N_125rocblas_gemm_scale_kernelILi32ELi32EdPdEEviiT1_T2_llli.has_dyn_sized_stack, 0
	.set _ZN12_GLOBAL__N_125rocblas_gemm_scale_kernelILi32ELi32EdPdEEviiT1_T2_llli.has_recursion, 0
	.set _ZN12_GLOBAL__N_125rocblas_gemm_scale_kernelILi32ELi32EdPdEEviiT1_T2_llli.has_indirect_call, 0
	.section	.AMDGPU.csdata,"",@progbits
; Kernel info:
; codeLenInByte = 280
; TotalNumSgprs: 22
; NumVgprs: 6
; ScratchSize: 0
; MemoryBound: 0
; FloatMode: 240
; IeeeMode: 1
; LDSByteSize: 0 bytes/workgroup (compile time only)
; SGPRBlocks: 0
; VGPRBlocks: 0
; NumSGPRsForWavesPerEU: 22
; NumVGPRsForWavesPerEU: 6
; Occupancy: 16
; WaveLimiterHint : 0
; COMPUTE_PGM_RSRC2:SCRATCH_EN: 0
; COMPUTE_PGM_RSRC2:USER_SGPR: 6
; COMPUTE_PGM_RSRC2:TRAP_HANDLER: 0
; COMPUTE_PGM_RSRC2:TGID_X_EN: 1
; COMPUTE_PGM_RSRC2:TGID_Y_EN: 1
; COMPUTE_PGM_RSRC2:TGID_Z_EN: 1
; COMPUTE_PGM_RSRC2:TIDIG_COMP_CNT: 1
	.section	.text._ZN12_GLOBAL__N_120gemm_ex_scale_kernelILi32ELi32EdPKdPdEEviiT1_T2_lllT3_llli,"axG",@progbits,_ZN12_GLOBAL__N_120gemm_ex_scale_kernelILi32ELi32EdPKdPdEEviiT1_T2_lllT3_llli,comdat
	.globl	_ZN12_GLOBAL__N_120gemm_ex_scale_kernelILi32ELi32EdPKdPdEEviiT1_T2_lllT3_llli ; -- Begin function _ZN12_GLOBAL__N_120gemm_ex_scale_kernelILi32ELi32EdPKdPdEEviiT1_T2_lllT3_llli
	.p2align	8
	.type	_ZN12_GLOBAL__N_120gemm_ex_scale_kernelILi32ELi32EdPKdPdEEviiT1_T2_lllT3_llli,@function
_ZN12_GLOBAL__N_120gemm_ex_scale_kernelILi32ELi32EdPKdPdEEviiT1_T2_lllT3_llli: ; @_ZN12_GLOBAL__N_120gemm_ex_scale_kernelILi32ELi32EdPKdPdEEviiT1_T2_lllT3_llli
; %bb.0:
	s_load_dwordx2 s[0:1], s[4:5], 0x0
	v_lshl_add_u32 v0, s6, 5, v0
	v_lshl_add_u32 v4, s7, 5, v1
	s_waitcnt lgkmcnt(0)
	v_cmp_gt_u32_e32 vcc_lo, s0, v0
	v_cmp_gt_u32_e64 s0, s1, v4
	s_and_b32 s0, vcc_lo, s0
	s_and_saveexec_b32 s1, s0
	s_cbranch_execz .LBB59_5
; %bb.1:
	s_load_dwordx16 s[12:27], s[4:5], 0x8
	v_mov_b32_e32 v1, 0
	s_waitcnt lgkmcnt(0)
	v_cmp_neq_f64_e64 s0, s[12:13], 0
	s_and_b32 vcc_lo, exec_lo, s0
	s_mov_b32 s0, 0
	s_cbranch_vccnz .LBB59_6
; %bb.2:
	v_mov_b32_e32 v2, 0
	v_mov_b32_e32 v3, 0
	s_andn2_b32 vcc_lo, exec_lo, s0
	s_cbranch_vccnz .LBB59_4
.LBB59_3:
	v_mad_u64_u32 v[2:3], null, s18, v4, 0
	s_mul_i32 s1, s21, s8
	s_mul_hi_u32 s2, s20, s8
	s_mul_i32 s0, s20, s8
	s_add_i32 s1, s2, s1
	s_lshl_b64 s[0:1], s[0:1], 3
	v_mad_u64_u32 v[5:6], null, s19, v4, v[3:4]
	s_add_u32 s2, s14, s0
	s_addc_u32 s3, s15, s1
	s_lshl_b64 s[0:1], s[16:17], 3
	s_add_u32 s0, s2, s0
	s_addc_u32 s1, s3, s1
	v_mov_b32_e32 v3, v5
	v_lshlrev_b64 v[5:6], 3, v[0:1]
	v_lshlrev_b64 v[2:3], 3, v[2:3]
	v_add_co_u32 v2, vcc_lo, s0, v2
	v_add_co_ci_u32_e64 v3, null, s1, v3, vcc_lo
	v_add_co_u32 v2, vcc_lo, v2, v5
	v_add_co_ci_u32_e64 v3, null, v3, v6, vcc_lo
	global_load_dwordx2 v[2:3], v[2:3], off
	s_waitcnt vmcnt(0)
	v_mul_f64 v[2:3], s[12:13], v[2:3]
.LBB59_4:
	s_load_dwordx2 s[0:1], s[4:5], 0x48
	v_mad_u64_u32 v[5:6], null, s26, v4, 0
	v_lshlrev_b64 v[0:1], 3, v[0:1]
	v_mad_u64_u32 v[6:7], null, s27, v4, v[6:7]
	v_lshlrev_b64 v[4:5], 3, v[5:6]
	s_waitcnt lgkmcnt(0)
	s_mul_i32 s1, s1, s8
	s_mul_hi_u32 s2, s0, s8
	s_mul_i32 s0, s0, s8
	s_add_i32 s1, s2, s1
	s_lshl_b64 s[0:1], s[0:1], 3
	s_add_u32 s2, s22, s0
	s_addc_u32 s3, s23, s1
	s_lshl_b64 s[0:1], s[24:25], 3
	s_add_u32 s0, s2, s0
	s_addc_u32 s1, s3, s1
	v_add_co_u32 v4, vcc_lo, s0, v4
	v_add_co_ci_u32_e64 v5, null, s1, v5, vcc_lo
	v_add_co_u32 v0, vcc_lo, v4, v0
	v_add_co_ci_u32_e64 v1, null, v5, v1, vcc_lo
	global_store_dwordx2 v[0:1], v[2:3], off
.LBB59_5:
	s_endpgm
.LBB59_6:
	v_mov_b32_e32 v2, 0
	v_mov_b32_e32 v3, 0
	s_branch .LBB59_3
	.section	.rodata,"a",@progbits
	.p2align	6, 0x0
	.amdhsa_kernel _ZN12_GLOBAL__N_120gemm_ex_scale_kernelILi32ELi32EdPKdPdEEviiT1_T2_lllT3_llli
		.amdhsa_group_segment_fixed_size 0
		.amdhsa_private_segment_fixed_size 0
		.amdhsa_kernarg_size 84
		.amdhsa_user_sgpr_count 6
		.amdhsa_user_sgpr_private_segment_buffer 1
		.amdhsa_user_sgpr_dispatch_ptr 0
		.amdhsa_user_sgpr_queue_ptr 0
		.amdhsa_user_sgpr_kernarg_segment_ptr 1
		.amdhsa_user_sgpr_dispatch_id 0
		.amdhsa_user_sgpr_flat_scratch_init 0
		.amdhsa_user_sgpr_private_segment_size 0
		.amdhsa_wavefront_size32 1
		.amdhsa_uses_dynamic_stack 0
		.amdhsa_system_sgpr_private_segment_wavefront_offset 0
		.amdhsa_system_sgpr_workgroup_id_x 1
		.amdhsa_system_sgpr_workgroup_id_y 1
		.amdhsa_system_sgpr_workgroup_id_z 1
		.amdhsa_system_sgpr_workgroup_info 0
		.amdhsa_system_vgpr_workitem_id 1
		.amdhsa_next_free_vgpr 8
		.amdhsa_next_free_sgpr 28
		.amdhsa_reserve_vcc 1
		.amdhsa_reserve_flat_scratch 0
		.amdhsa_float_round_mode_32 0
		.amdhsa_float_round_mode_16_64 0
		.amdhsa_float_denorm_mode_32 3
		.amdhsa_float_denorm_mode_16_64 3
		.amdhsa_dx10_clamp 1
		.amdhsa_ieee_mode 1
		.amdhsa_fp16_overflow 0
		.amdhsa_workgroup_processor_mode 1
		.amdhsa_memory_ordered 1
		.amdhsa_forward_progress 1
		.amdhsa_shared_vgpr_count 0
		.amdhsa_exception_fp_ieee_invalid_op 0
		.amdhsa_exception_fp_denorm_src 0
		.amdhsa_exception_fp_ieee_div_zero 0
		.amdhsa_exception_fp_ieee_overflow 0
		.amdhsa_exception_fp_ieee_underflow 0
		.amdhsa_exception_fp_ieee_inexact 0
		.amdhsa_exception_int_div_zero 0
	.end_amdhsa_kernel
	.section	.text._ZN12_GLOBAL__N_120gemm_ex_scale_kernelILi32ELi32EdPKdPdEEviiT1_T2_lllT3_llli,"axG",@progbits,_ZN12_GLOBAL__N_120gemm_ex_scale_kernelILi32ELi32EdPKdPdEEviiT1_T2_lllT3_llli,comdat
.Lfunc_end59:
	.size	_ZN12_GLOBAL__N_120gemm_ex_scale_kernelILi32ELi32EdPKdPdEEviiT1_T2_lllT3_llli, .Lfunc_end59-_ZN12_GLOBAL__N_120gemm_ex_scale_kernelILi32ELi32EdPKdPdEEviiT1_T2_lllT3_llli
                                        ; -- End function
	.set _ZN12_GLOBAL__N_120gemm_ex_scale_kernelILi32ELi32EdPKdPdEEviiT1_T2_lllT3_llli.num_vgpr, 8
	.set _ZN12_GLOBAL__N_120gemm_ex_scale_kernelILi32ELi32EdPKdPdEEviiT1_T2_lllT3_llli.num_agpr, 0
	.set _ZN12_GLOBAL__N_120gemm_ex_scale_kernelILi32ELi32EdPKdPdEEviiT1_T2_lllT3_llli.numbered_sgpr, 28
	.set _ZN12_GLOBAL__N_120gemm_ex_scale_kernelILi32ELi32EdPKdPdEEviiT1_T2_lllT3_llli.num_named_barrier, 0
	.set _ZN12_GLOBAL__N_120gemm_ex_scale_kernelILi32ELi32EdPKdPdEEviiT1_T2_lllT3_llli.private_seg_size, 0
	.set _ZN12_GLOBAL__N_120gemm_ex_scale_kernelILi32ELi32EdPKdPdEEviiT1_T2_lllT3_llli.uses_vcc, 1
	.set _ZN12_GLOBAL__N_120gemm_ex_scale_kernelILi32ELi32EdPKdPdEEviiT1_T2_lllT3_llli.uses_flat_scratch, 0
	.set _ZN12_GLOBAL__N_120gemm_ex_scale_kernelILi32ELi32EdPKdPdEEviiT1_T2_lllT3_llli.has_dyn_sized_stack, 0
	.set _ZN12_GLOBAL__N_120gemm_ex_scale_kernelILi32ELi32EdPKdPdEEviiT1_T2_lllT3_llli.has_recursion, 0
	.set _ZN12_GLOBAL__N_120gemm_ex_scale_kernelILi32ELi32EdPKdPdEEviiT1_T2_lllT3_llli.has_indirect_call, 0
	.section	.AMDGPU.csdata,"",@progbits
; Kernel info:
; codeLenInByte = 372
; TotalNumSgprs: 30
; NumVgprs: 8
; ScratchSize: 0
; MemoryBound: 0
; FloatMode: 240
; IeeeMode: 1
; LDSByteSize: 0 bytes/workgroup (compile time only)
; SGPRBlocks: 0
; VGPRBlocks: 0
; NumSGPRsForWavesPerEU: 30
; NumVGPRsForWavesPerEU: 8
; Occupancy: 16
; WaveLimiterHint : 0
; COMPUTE_PGM_RSRC2:SCRATCH_EN: 0
; COMPUTE_PGM_RSRC2:USER_SGPR: 6
; COMPUTE_PGM_RSRC2:TRAP_HANDLER: 0
; COMPUTE_PGM_RSRC2:TGID_X_EN: 1
; COMPUTE_PGM_RSRC2:TGID_Y_EN: 1
; COMPUTE_PGM_RSRC2:TGID_Z_EN: 1
; COMPUTE_PGM_RSRC2:TIDIG_COMP_CNT: 1
	.section	.text._ZN12_GLOBAL__N_127rocblas_gemm_batched_kernelIdLi16ELi16ELi64ELi64ELi4ELi64ELi4ELi4ELi64ELc78ELc78EKdS1_dEEvlllT_PT11_llS4_llS2_PT12_llPT13_lli,"axG",@progbits,_ZN12_GLOBAL__N_127rocblas_gemm_batched_kernelIdLi16ELi16ELi64ELi64ELi4ELi64ELi4ELi4ELi64ELc78ELc78EKdS1_dEEvlllT_PT11_llS4_llS2_PT12_llPT13_lli,comdat
	.globl	_ZN12_GLOBAL__N_127rocblas_gemm_batched_kernelIdLi16ELi16ELi64ELi64ELi4ELi64ELi4ELi4ELi64ELc78ELc78EKdS1_dEEvlllT_PT11_llS4_llS2_PT12_llPT13_lli ; -- Begin function _ZN12_GLOBAL__N_127rocblas_gemm_batched_kernelIdLi16ELi16ELi64ELi64ELi4ELi64ELi4ELi4ELi64ELc78ELc78EKdS1_dEEvlllT_PT11_llS4_llS2_PT12_llPT13_lli
	.p2align	8
	.type	_ZN12_GLOBAL__N_127rocblas_gemm_batched_kernelIdLi16ELi16ELi64ELi64ELi4ELi64ELi4ELi4ELi64ELc78ELc78EKdS1_dEEvlllT_PT11_llS4_llS2_PT12_llPT13_lli,@function
_ZN12_GLOBAL__N_127rocblas_gemm_batched_kernelIdLi16ELi16ELi64ELi64ELi4ELi64ELi4ELi4ELi64ELc78ELc78EKdS1_dEEvlllT_PT11_llS4_llS2_PT12_llPT13_lli: ; @_ZN12_GLOBAL__N_127rocblas_gemm_batched_kernelIdLi16ELi16ELi64ELi64ELi4ELi64ELi4ELi4ELi64ELc78ELc78EKdS1_dEEvlllT_PT11_llS4_llS2_PT12_llPT13_lli
; %bb.0:
	s_load_dwordx16 s[12:27], s[4:5], 0x10
	s_mov_b32 s0, s7
	s_ashr_i32 s7, s6, 31
	s_ashr_i32 s1, s0, 31
	s_lshl_b64 s[10:11], s[6:7], 6
	s_lshl_b64 s[28:29], s[0:1], 6
	s_waitcnt lgkmcnt(0)
	v_cmp_lt_i64_e64 s2, s[12:13], 1
	s_and_b32 vcc_lo, exec_lo, s2
	s_cbranch_vccnz .LBB60_3
; %bb.1:
	v_lshl_add_u32 v4, v1, 4, v0
	v_and_b32_e32 v5, 3, v0
	s_mul_i32 s1, s27, s8
	s_mul_hi_u32 s2, s26, s8
	s_mul_i32 s3, s21, s8
	v_lshrrev_b32_e32 v6, 2, v4
	v_lshlrev_b32_e32 v11, 3, v5
	v_lshrrev_b32_e32 v9, 6, v4
	v_and_b32_e32 v10, 63, v4
	s_add_i32 s1, s2, s1
	v_add_co_u32 v2, s0, v6, s28
	v_add_co_ci_u32_e64 v3, null, 0, s29, s0
	v_lshl_or_b32 v6, v6, 5, v11
	v_mul_lo_u32 v7, s25, v2
	s_mul_i32 s0, s26, s8
	v_mul_lo_u32 v8, s24, v3
	v_mad_u64_u32 v[2:3], null, s24, v2, 0
	v_mad_u64_u32 v[4:5], null, s18, v9, s[10:11]
	s_lshl_b64 s[0:1], s[0:1], 3
	v_add_nc_u32_e32 v41, 0x800, v6
	s_mul_hi_u32 s6, s20, s8
	v_mov_b32_e32 v12, 0
	v_add3_u32 v3, v3, v8, v7
	v_lshlrev_b32_e32 v7, 3, v10
	v_mov_b32_e32 v14, 0
	v_mov_b32_e32 v18, 0
	v_mov_b32_e32 v16, 0
	v_lshlrev_b64 v[2:3], 3, v[2:3]
	v_lshl_or_b32 v40, v9, 9, v7
	v_mov_b32_e32 v20, 0
	v_mov_b32_e32 v22, 0
	;; [unrolled: 1-line block ×4, first 2 shown]
	v_add_co_u32 v6, vcc_lo, v2, s0
	v_add_co_ci_u32_e64 v7, null, s1, v3, vcc_lo
	s_add_i32 s1, s6, s3
	v_mad_u64_u32 v[2:3], null, s19, v9, v[5:6]
	v_add_co_u32 v5, vcc_lo, v6, v11
	v_add_co_ci_u32_e64 v6, null, 0, v7, vcc_lo
	v_add_co_u32 v3, vcc_lo, v4, v10
	v_add_co_ci_u32_e64 v4, null, 0, v2, vcc_lo
	s_mul_i32 s0, s20, s8
	v_add_co_u32 v34, vcc_lo, s22, v5
	v_lshlrev_b64 v[36:37], 3, v[3:4]
	s_lshl_b64 s[0:1], s[0:1], 3
	v_add_co_ci_u32_e64 v35, null, s23, v6, vcc_lo
	s_add_u32 s0, s16, s0
	s_addc_u32 s1, s17, s1
	v_add_co_u32 v36, vcc_lo, s0, v36
	v_mov_b32_e32 v2, 0
	v_mov_b32_e32 v4, 0
	v_mov_b32_e32 v6, 0
	v_mov_b32_e32 v8, 0
	v_mov_b32_e32 v10, 0
	v_mov_b32_e32 v26, 0
	v_mov_b32_e32 v30, 0
	v_mov_b32_e32 v32, 0
	v_lshlrev_b32_e32 v38, 3, v0
	v_lshl_add_u32 v39, v1, 5, 0x800
	v_mov_b32_e32 v3, 0
	v_mov_b32_e32 v5, 0
	;; [unrolled: 1-line block ×16, first 2 shown]
	v_add_co_ci_u32_e64 v37, null, s1, v37, vcc_lo
	s_lshl_b64 s[0:1], s[18:19], 5
	s_mov_b64 s[2:3], 0
.LBB60_2:                               ; =>This Inner Loop Header: Depth=1
	global_load_dwordx2 v[42:43], v[36:37], off
	global_load_dwordx2 v[44:45], v[34:35], off
	s_add_u32 s2, s2, 4
	s_addc_u32 s3, s3, 0
	v_add_co_u32 v34, vcc_lo, v34, 32
	v_cmp_lt_i64_e64 s6, s[2:3], s[12:13]
	v_add_co_ci_u32_e64 v35, null, 0, v35, vcc_lo
	v_add_co_u32 v36, vcc_lo, v36, s0
	v_add_co_ci_u32_e64 v37, null, s1, v37, vcc_lo
	s_and_b32 vcc_lo, exec_lo, s6
	s_waitcnt vmcnt(1)
	ds_write_b64 v40, v[42:43]
	s_waitcnt vmcnt(0)
	ds_write_b64 v41, v[44:45]
	s_waitcnt lgkmcnt(0)
	s_barrier
	buffer_gl0_inv
	ds_read_b128 v[42:45], v39
	ds_read2_b64 v[46:49], v38 offset1:16
	ds_read_b128 v[50:53], v39 offset:512
	ds_read_b128 v[54:57], v39 offset:16
	;; [unrolled: 1-line block ×3, first 2 shown]
	s_waitcnt lgkmcnt(3)
	v_fma_f64 v[74:75], v[48:49], v[42:43], v[30:31]
	s_waitcnt lgkmcnt(2)
	v_fma_f64 v[76:77], v[46:47], v[50:51], v[28:29]
	ds_read_b128 v[28:31], v39 offset:1024
	ds_read_b128 v[62:65], v39 offset:1040
	;; [unrolled: 1-line block ×4, first 2 shown]
	v_fma_f64 v[32:33], v[46:47], v[42:43], v[32:33]
	v_fma_f64 v[22:23], v[48:49], v[50:51], v[22:23]
	s_waitcnt lgkmcnt(3)
	v_fma_f64 v[18:19], v[46:47], v[28:29], v[18:19]
	v_fma_f64 v[14:15], v[48:49], v[28:29], v[14:15]
	s_waitcnt lgkmcnt(1)
	v_fma_f64 v[46:47], v[46:47], v[66:67], v[8:9]
	v_fma_f64 v[48:49], v[48:49], v[66:67], v[6:7]
	ds_read2_b64 v[6:9], v38 offset0:32 offset1:48
	s_waitcnt lgkmcnt(0)
	v_fma_f64 v[26:27], v[6:7], v[42:43], v[26:27]
	v_fma_f64 v[24:25], v[8:9], v[42:43], v[24:25]
	;; [unrolled: 1-line block ×8, first 2 shown]
	ds_read2_b64 v[2:5], v38 offset0:64 offset1:80
	ds_read2_b64 v[6:9], v38 offset0:96 offset1:112
	s_waitcnt lgkmcnt(1)
	v_fma_f64 v[32:33], v[2:3], v[44:45], v[32:33]
	v_fma_f64 v[50:51], v[4:5], v[44:45], v[74:75]
	s_waitcnt lgkmcnt(0)
	v_fma_f64 v[26:27], v[6:7], v[44:45], v[26:27]
	v_fma_f64 v[24:25], v[8:9], v[44:45], v[24:25]
	;; [unrolled: 1-line block ×10, first 2 shown]
	ds_read2_b64 v[2:5], v38 offset0:128 offset1:144
	v_fma_f64 v[20:21], v[6:7], v[52:53], v[20:21]
	v_fma_f64 v[16:17], v[8:9], v[52:53], v[16:17]
	;; [unrolled: 1-line block ×4, first 2 shown]
	s_waitcnt lgkmcnt(0)
	v_fma_f64 v[28:29], v[2:3], v[54:55], v[32:33]
	v_fma_f64 v[42:43], v[4:5], v[54:55], v[50:51]
	;; [unrolled: 1-line block ×8, first 2 shown]
	ds_read2_b64 v[2:5], v38 offset0:160 offset1:176
	s_waitcnt lgkmcnt(0)
	v_fma_f64 v[26:27], v[2:3], v[54:55], v[26:27]
	v_fma_f64 v[24:25], v[4:5], v[54:55], v[24:25]
	;; [unrolled: 1-line block ×8, first 2 shown]
	ds_read2_b64 v[2:5], v38 offset0:192 offset1:208
	s_waitcnt lgkmcnt(0)
	v_fma_f64 v[30:31], v[4:5], v[56:57], v[42:43]
	ds_read2_b64 v[42:45], v38 offset0:224 offset1:240
	v_fma_f64 v[32:33], v[2:3], v[56:57], v[28:29]
	v_fma_f64 v[28:29], v[2:3], v[60:61], v[48:49]
	;; [unrolled: 1-line block ×7, first 2 shown]
	s_waitcnt lgkmcnt(0)
	s_barrier
	buffer_gl0_inv
	v_fma_f64 v[26:27], v[42:43], v[56:57], v[26:27]
	v_fma_f64 v[24:25], v[44:45], v[56:57], v[24:25]
	;; [unrolled: 1-line block ×8, first 2 shown]
	s_cbranch_vccnz .LBB60_2
	s_branch .LBB60_4
.LBB60_3:
	v_mov_b32_e32 v32, 0
	v_mov_b32_e32 v30, 0
	;; [unrolled: 1-line block ×32, first 2 shown]
.LBB60_4:
	s_clause 0x1
	s_load_dwordx8 s[16:23], s[4:5], 0x50
	s_load_dwordx8 s[0:7], s[4:5], 0x70
	s_waitcnt lgkmcnt(0)
	v_cmp_neq_f64_e64 s6, s[16:17], 0
	s_mul_i32 s5, s5, s8
	s_mul_hi_u32 s7, s4, s8
	s_mul_i32 s4, s4, s8
	s_add_i32 s5, s7, s5
	v_add_co_u32 v34, s7, s28, v1
	v_add_co_ci_u32_e64 v37, null, s29, 0, s7
	v_add_co_u32 v0, s7, s10, v0
	v_add_co_ci_u32_e64 v1, null, s11, 0, s7
	v_mul_lo_u32 v35, v37, s2
	v_mul_lo_u32 v36, v34, s3
	s_lshl_b64 s[4:5], s[4:5], 3
	v_lshlrev_b64 v[0:1], 3, v[0:1]
	s_add_u32 s0, s0, s4
	s_addc_u32 s1, s1, s5
	s_and_b32 vcc_lo, exec_lo, s6
	s_cbranch_vccnz .LBB60_8
; %bb.5:
	v_mad_u64_u32 v[38:39], null, v34, s2, 0
	v_mul_f64 v[40:41], s[14:15], v[32:33]
	v_mul_f64 v[42:43], s[14:15], v[30:31]
	;; [unrolled: 1-line block ×6, first 2 shown]
	v_add3_u32 v39, v39, v36, v35
	v_mul_f64 v[52:53], s[14:15], v[20:21]
	s_lshl_b64 s[4:5], s[2:3], 7
	v_lshlrev_b64 v[38:39], 3, v[38:39]
	v_add_co_u32 v54, vcc_lo, s0, v38
	v_add_co_ci_u32_e64 v55, null, s1, v39, vcc_lo
	v_mul_f64 v[38:39], s[14:15], v[16:17]
	v_add_co_u32 v58, vcc_lo, v54, s4
	v_add_co_ci_u32_e64 v59, null, s5, v55, vcc_lo
	v_add_co_u32 v54, vcc_lo, v54, v0
	v_add_co_ci_u32_e64 v55, null, v55, v1, vcc_lo
	;; [unrolled: 2-line block ×3, first 2 shown]
	global_store_dwordx2 v[54:55], v[40:41], off
	global_store_dwordx2 v[54:55], v[42:43], off offset:128
	global_store_dwordx2 v[54:55], v[44:45], off offset:256
	;; [unrolled: 1-line block ×3, first 2 shown]
	global_store_dwordx2 v[56:57], v[48:49], off
	global_store_dwordx2 v[56:57], v[50:51], off offset:128
	global_store_dwordx2 v[56:57], v[52:53], off offset:256
	v_mul_f64 v[40:41], s[14:15], v[18:19]
	v_mul_f64 v[54:55], s[14:15], v[2:3]
	;; [unrolled: 1-line block ×7, first 2 shown]
	v_add_co_u32 v58, vcc_lo, v58, s4
	v_mul_f64 v[52:53], s[14:15], v[4:5]
	v_add_co_ci_u32_e64 v59, null, s5, v59, vcc_lo
	global_store_dwordx2 v[56:57], v[38:39], off offset:384
	v_add_co_u32 v56, vcc_lo, v58, s4
	v_add_co_ci_u32_e64 v57, null, s5, v59, vcc_lo
	v_add_co_u32 v38, vcc_lo, v58, v0
	v_add_co_ci_u32_e64 v39, null, v59, v1, vcc_lo
	;; [unrolled: 2-line block ×3, first 2 shown]
	global_store_dwordx2 v[38:39], v[40:41], off
	global_store_dwordx2 v[38:39], v[42:43], off offset:128
	global_store_dwordx2 v[38:39], v[44:45], off offset:256
	;; [unrolled: 1-line block ×3, first 2 shown]
	global_store_dwordx2 v[56:57], v[48:49], off
	global_store_dwordx2 v[56:57], v[50:51], off offset:128
	global_store_dwordx2 v[56:57], v[52:53], off offset:256
	;; [unrolled: 1-line block ×3, first 2 shown]
	s_cbranch_execnz .LBB60_7
.LBB60_6:
	v_mul_lo_u32 v39, v37, s20
	v_mul_lo_u32 v40, v34, s21
	v_mad_u64_u32 v[37:38], null, v34, s20, 0
	s_mul_i32 s5, s23, s8
	s_mul_hi_u32 s6, s22, s8
	s_mul_i32 s4, s22, s8
	s_add_i32 s5, s6, s5
	v_mad_u64_u32 v[41:42], null, v34, s2, 0
	v_add3_u32 v38, v38, v40, v39
	s_lshl_b64 s[4:5], s[4:5], 3
	s_add_u32 s4, s18, s4
	s_addc_u32 s5, s19, s5
	v_lshlrev_b64 v[37:38], 3, v[37:38]
	v_add3_u32 v42, v42, v36, v35
	s_lshl_b64 s[2:3], s[2:3], 7
	v_lshlrev_b64 v[34:35], 3, v[41:42]
	v_add_co_u32 v43, vcc_lo, s4, v37
	v_add_co_ci_u32_e64 v44, null, s5, v38, vcc_lo
	v_add_co_u32 v37, vcc_lo, v43, v0
	v_add_co_ci_u32_e64 v38, null, v44, v1, vcc_lo
	v_add_co_u32 v36, vcc_lo, s0, v34
	global_load_dwordx2 v[39:40], v[37:38], off
	s_waitcnt vmcnt(0)
	v_mul_f64 v[39:40], s[16:17], v[39:40]
	v_fma_f64 v[32:33], s[14:15], v[32:33], v[39:40]
	v_add_co_ci_u32_e64 v39, null, s1, v35, vcc_lo
	v_add_co_u32 v34, vcc_lo, v36, v0
	s_lshl_b64 s[0:1], s[20:21], 7
	v_add_co_ci_u32_e64 v35, null, v39, v1, vcc_lo
	global_store_dwordx2 v[34:35], v[32:33], off
	global_load_dwordx2 v[32:33], v[37:38], off offset:128
	s_waitcnt vmcnt(0)
	v_mul_f64 v[32:33], s[16:17], v[32:33]
	v_fma_f64 v[30:31], s[14:15], v[30:31], v[32:33]
	global_store_dwordx2 v[34:35], v[30:31], off offset:128
	global_load_dwordx2 v[30:31], v[37:38], off offset:256
	s_waitcnt vmcnt(0)
	v_mul_f64 v[30:31], s[16:17], v[30:31]
	v_fma_f64 v[26:27], s[14:15], v[26:27], v[30:31]
	v_add_co_u32 v30, vcc_lo, v43, s0
	v_add_co_ci_u32_e64 v31, null, s1, v44, vcc_lo
	global_store_dwordx2 v[34:35], v[26:27], off offset:256
	global_load_dwordx2 v[26:27], v[37:38], off offset:384
	s_waitcnt vmcnt(0)
	v_mul_f64 v[26:27], s[16:17], v[26:27]
	v_fma_f64 v[24:25], s[14:15], v[24:25], v[26:27]
	v_add_co_u32 v26, vcc_lo, v30, v0
	v_add_co_ci_u32_e64 v27, null, v31, v1, vcc_lo
	v_add_co_u32 v32, vcc_lo, v36, s2
	v_add_co_ci_u32_e64 v33, null, s3, v39, vcc_lo
	global_store_dwordx2 v[34:35], v[24:25], off offset:384
	global_load_dwordx2 v[24:25], v[26:27], off
	s_waitcnt vmcnt(0)
	v_mul_f64 v[24:25], s[16:17], v[24:25]
	v_fma_f64 v[24:25], s[14:15], v[28:29], v[24:25]
	v_add_co_u32 v28, vcc_lo, v32, v0
	v_add_co_ci_u32_e64 v29, null, v33, v1, vcc_lo
	global_store_dwordx2 v[28:29], v[24:25], off
	global_load_dwordx2 v[24:25], v[26:27], off offset:128
	s_waitcnt vmcnt(0)
	v_mul_f64 v[24:25], s[16:17], v[24:25]
	v_fma_f64 v[22:23], s[14:15], v[22:23], v[24:25]
	global_store_dwordx2 v[28:29], v[22:23], off offset:128
	global_load_dwordx2 v[22:23], v[26:27], off offset:256
	s_waitcnt vmcnt(0)
	v_mul_f64 v[22:23], s[16:17], v[22:23]
	v_fma_f64 v[20:21], s[14:15], v[20:21], v[22:23]
	v_add_co_u32 v22, vcc_lo, v30, s0
	v_add_co_ci_u32_e64 v23, null, s1, v31, vcc_lo
	global_store_dwordx2 v[28:29], v[20:21], off offset:256
	global_load_dwordx2 v[20:21], v[26:27], off offset:384
	s_waitcnt vmcnt(0)
	v_mul_f64 v[20:21], s[16:17], v[20:21]
	v_fma_f64 v[16:17], s[14:15], v[16:17], v[20:21]
	v_add_co_u32 v20, vcc_lo, v22, v0
	v_add_co_ci_u32_e64 v21, null, v23, v1, vcc_lo
	v_add_co_u32 v24, vcc_lo, v32, s2
	v_add_co_ci_u32_e64 v25, null, s3, v33, vcc_lo
	global_store_dwordx2 v[28:29], v[16:17], off offset:384
	global_load_dwordx2 v[16:17], v[20:21], off
	s_waitcnt vmcnt(0)
	v_mul_f64 v[16:17], s[16:17], v[16:17]
	v_fma_f64 v[16:17], s[14:15], v[18:19], v[16:17]
	v_add_co_u32 v18, vcc_lo, v24, v0
	v_add_co_ci_u32_e64 v19, null, v25, v1, vcc_lo
	global_store_dwordx2 v[18:19], v[16:17], off
	global_load_dwordx2 v[16:17], v[20:21], off offset:128
	s_waitcnt vmcnt(0)
	v_mul_f64 v[16:17], s[16:17], v[16:17]
	v_fma_f64 v[14:15], s[14:15], v[14:15], v[16:17]
	global_store_dwordx2 v[18:19], v[14:15], off offset:128
	global_load_dwordx2 v[14:15], v[20:21], off offset:256
	s_waitcnt vmcnt(0)
	v_mul_f64 v[14:15], s[16:17], v[14:15]
	v_fma_f64 v[12:13], s[14:15], v[12:13], v[14:15]
	global_store_dwordx2 v[18:19], v[12:13], off offset:256
	global_load_dwordx2 v[12:13], v[20:21], off offset:384
	s_waitcnt vmcnt(0)
	v_mul_f64 v[12:13], s[16:17], v[12:13]
	v_fma_f64 v[10:11], s[14:15], v[10:11], v[12:13]
	v_add_co_u32 v12, vcc_lo, v22, s0
	v_add_co_ci_u32_e64 v13, null, s1, v23, vcc_lo
	v_add_co_u32 v12, vcc_lo, v12, v0
	v_add_co_ci_u32_e64 v13, null, v13, v1, vcc_lo
	global_store_dwordx2 v[18:19], v[10:11], off offset:384
	global_load_dwordx2 v[10:11], v[12:13], off
	s_waitcnt vmcnt(0)
	v_mul_f64 v[10:11], s[16:17], v[10:11]
	v_fma_f64 v[8:9], s[14:15], v[8:9], v[10:11]
	v_add_co_u32 v10, vcc_lo, v24, s2
	v_add_co_ci_u32_e64 v11, null, s3, v25, vcc_lo
	v_add_co_u32 v0, vcc_lo, v10, v0
	v_add_co_ci_u32_e64 v1, null, v11, v1, vcc_lo
	global_store_dwordx2 v[0:1], v[8:9], off
	global_load_dwordx2 v[8:9], v[12:13], off offset:128
	s_waitcnt vmcnt(0)
	v_mul_f64 v[8:9], s[16:17], v[8:9]
	v_fma_f64 v[6:7], s[14:15], v[6:7], v[8:9]
	global_store_dwordx2 v[0:1], v[6:7], off offset:128
	global_load_dwordx2 v[6:7], v[12:13], off offset:256
	s_waitcnt vmcnt(0)
	v_mul_f64 v[6:7], s[16:17], v[6:7]
	v_fma_f64 v[4:5], s[14:15], v[4:5], v[6:7]
	global_store_dwordx2 v[0:1], v[4:5], off offset:256
	;; [unrolled: 5-line block ×3, first 2 shown]
.LBB60_7:
	s_endpgm
.LBB60_8:
	s_branch .LBB60_6
	.section	.rodata,"a",@progbits
	.p2align	6, 0x0
	.amdhsa_kernel _ZN12_GLOBAL__N_127rocblas_gemm_batched_kernelIdLi16ELi16ELi64ELi64ELi4ELi64ELi4ELi4ELi64ELc78ELc78EKdS1_dEEvlllT_PT11_llS4_llS2_PT12_llPT13_lli
		.amdhsa_group_segment_fixed_size 4096
		.amdhsa_private_segment_fixed_size 0
		.amdhsa_kernarg_size 140
		.amdhsa_user_sgpr_count 6
		.amdhsa_user_sgpr_private_segment_buffer 1
		.amdhsa_user_sgpr_dispatch_ptr 0
		.amdhsa_user_sgpr_queue_ptr 0
		.amdhsa_user_sgpr_kernarg_segment_ptr 1
		.amdhsa_user_sgpr_dispatch_id 0
		.amdhsa_user_sgpr_flat_scratch_init 0
		.amdhsa_user_sgpr_private_segment_size 0
		.amdhsa_wavefront_size32 1
		.amdhsa_uses_dynamic_stack 0
		.amdhsa_system_sgpr_private_segment_wavefront_offset 0
		.amdhsa_system_sgpr_workgroup_id_x 1
		.amdhsa_system_sgpr_workgroup_id_y 1
		.amdhsa_system_sgpr_workgroup_id_z 1
		.amdhsa_system_sgpr_workgroup_info 0
		.amdhsa_system_vgpr_workitem_id 1
		.amdhsa_next_free_vgpr 78
		.amdhsa_next_free_sgpr 30
		.amdhsa_reserve_vcc 1
		.amdhsa_reserve_flat_scratch 0
		.amdhsa_float_round_mode_32 0
		.amdhsa_float_round_mode_16_64 0
		.amdhsa_float_denorm_mode_32 3
		.amdhsa_float_denorm_mode_16_64 3
		.amdhsa_dx10_clamp 1
		.amdhsa_ieee_mode 1
		.amdhsa_fp16_overflow 0
		.amdhsa_workgroup_processor_mode 1
		.amdhsa_memory_ordered 1
		.amdhsa_forward_progress 1
		.amdhsa_shared_vgpr_count 0
		.amdhsa_exception_fp_ieee_invalid_op 0
		.amdhsa_exception_fp_denorm_src 0
		.amdhsa_exception_fp_ieee_div_zero 0
		.amdhsa_exception_fp_ieee_overflow 0
		.amdhsa_exception_fp_ieee_underflow 0
		.amdhsa_exception_fp_ieee_inexact 0
		.amdhsa_exception_int_div_zero 0
	.end_amdhsa_kernel
	.section	.text._ZN12_GLOBAL__N_127rocblas_gemm_batched_kernelIdLi16ELi16ELi64ELi64ELi4ELi64ELi4ELi4ELi64ELc78ELc78EKdS1_dEEvlllT_PT11_llS4_llS2_PT12_llPT13_lli,"axG",@progbits,_ZN12_GLOBAL__N_127rocblas_gemm_batched_kernelIdLi16ELi16ELi64ELi64ELi4ELi64ELi4ELi4ELi64ELc78ELc78EKdS1_dEEvlllT_PT11_llS4_llS2_PT12_llPT13_lli,comdat
.Lfunc_end60:
	.size	_ZN12_GLOBAL__N_127rocblas_gemm_batched_kernelIdLi16ELi16ELi64ELi64ELi4ELi64ELi4ELi4ELi64ELc78ELc78EKdS1_dEEvlllT_PT11_llS4_llS2_PT12_llPT13_lli, .Lfunc_end60-_ZN12_GLOBAL__N_127rocblas_gemm_batched_kernelIdLi16ELi16ELi64ELi64ELi4ELi64ELi4ELi4ELi64ELc78ELc78EKdS1_dEEvlllT_PT11_llS4_llS2_PT12_llPT13_lli
                                        ; -- End function
	.set _ZN12_GLOBAL__N_127rocblas_gemm_batched_kernelIdLi16ELi16ELi64ELi64ELi4ELi64ELi4ELi4ELi64ELc78ELc78EKdS1_dEEvlllT_PT11_llS4_llS2_PT12_llPT13_lli.num_vgpr, 78
	.set _ZN12_GLOBAL__N_127rocblas_gemm_batched_kernelIdLi16ELi16ELi64ELi64ELi4ELi64ELi4ELi4ELi64ELc78ELc78EKdS1_dEEvlllT_PT11_llS4_llS2_PT12_llPT13_lli.num_agpr, 0
	.set _ZN12_GLOBAL__N_127rocblas_gemm_batched_kernelIdLi16ELi16ELi64ELi64ELi4ELi64ELi4ELi4ELi64ELc78ELc78EKdS1_dEEvlllT_PT11_llS4_llS2_PT12_llPT13_lli.numbered_sgpr, 30
	.set _ZN12_GLOBAL__N_127rocblas_gemm_batched_kernelIdLi16ELi16ELi64ELi64ELi4ELi64ELi4ELi4ELi64ELc78ELc78EKdS1_dEEvlllT_PT11_llS4_llS2_PT12_llPT13_lli.num_named_barrier, 0
	.set _ZN12_GLOBAL__N_127rocblas_gemm_batched_kernelIdLi16ELi16ELi64ELi64ELi4ELi64ELi4ELi4ELi64ELc78ELc78EKdS1_dEEvlllT_PT11_llS4_llS2_PT12_llPT13_lli.private_seg_size, 0
	.set _ZN12_GLOBAL__N_127rocblas_gemm_batched_kernelIdLi16ELi16ELi64ELi64ELi4ELi64ELi4ELi4ELi64ELc78ELc78EKdS1_dEEvlllT_PT11_llS4_llS2_PT12_llPT13_lli.uses_vcc, 1
	.set _ZN12_GLOBAL__N_127rocblas_gemm_batched_kernelIdLi16ELi16ELi64ELi64ELi4ELi64ELi4ELi4ELi64ELc78ELc78EKdS1_dEEvlllT_PT11_llS4_llS2_PT12_llPT13_lli.uses_flat_scratch, 0
	.set _ZN12_GLOBAL__N_127rocblas_gemm_batched_kernelIdLi16ELi16ELi64ELi64ELi4ELi64ELi4ELi4ELi64ELc78ELc78EKdS1_dEEvlllT_PT11_llS4_llS2_PT12_llPT13_lli.has_dyn_sized_stack, 0
	.set _ZN12_GLOBAL__N_127rocblas_gemm_batched_kernelIdLi16ELi16ELi64ELi64ELi4ELi64ELi4ELi4ELi64ELc78ELc78EKdS1_dEEvlllT_PT11_llS4_llS2_PT12_llPT13_lli.has_recursion, 0
	.set _ZN12_GLOBAL__N_127rocblas_gemm_batched_kernelIdLi16ELi16ELi64ELi64ELi4ELi64ELi4ELi4ELi64ELc78ELc78EKdS1_dEEvlllT_PT11_llS4_llS2_PT12_llPT13_lli.has_indirect_call, 0
	.section	.AMDGPU.csdata,"",@progbits
; Kernel info:
; codeLenInByte = 2884
; TotalNumSgprs: 32
; NumVgprs: 78
; ScratchSize: 0
; MemoryBound: 0
; FloatMode: 240
; IeeeMode: 1
; LDSByteSize: 4096 bytes/workgroup (compile time only)
; SGPRBlocks: 0
; VGPRBlocks: 9
; NumSGPRsForWavesPerEU: 32
; NumVGPRsForWavesPerEU: 78
; Occupancy: 12
; WaveLimiterHint : 1
; COMPUTE_PGM_RSRC2:SCRATCH_EN: 0
; COMPUTE_PGM_RSRC2:USER_SGPR: 6
; COMPUTE_PGM_RSRC2:TRAP_HANDLER: 0
; COMPUTE_PGM_RSRC2:TGID_X_EN: 1
; COMPUTE_PGM_RSRC2:TGID_Y_EN: 1
; COMPUTE_PGM_RSRC2:TGID_Z_EN: 1
; COMPUTE_PGM_RSRC2:TIDIG_COMP_CNT: 1
	.section	.text._ZN12_GLOBAL__N_127rocblas_gemm_batched_kernelIdLi16ELi16ELi64ELi64ELi4ELi64ELi4ELi4ELi64ELc84ELc78EKdS1_dEEvlllT_PT11_llS4_llS2_PT12_llPT13_lli,"axG",@progbits,_ZN12_GLOBAL__N_127rocblas_gemm_batched_kernelIdLi16ELi16ELi64ELi64ELi4ELi64ELi4ELi4ELi64ELc84ELc78EKdS1_dEEvlllT_PT11_llS4_llS2_PT12_llPT13_lli,comdat
	.globl	_ZN12_GLOBAL__N_127rocblas_gemm_batched_kernelIdLi16ELi16ELi64ELi64ELi4ELi64ELi4ELi4ELi64ELc84ELc78EKdS1_dEEvlllT_PT11_llS4_llS2_PT12_llPT13_lli ; -- Begin function _ZN12_GLOBAL__N_127rocblas_gemm_batched_kernelIdLi16ELi16ELi64ELi64ELi4ELi64ELi4ELi4ELi64ELc84ELc78EKdS1_dEEvlllT_PT11_llS4_llS2_PT12_llPT13_lli
	.p2align	8
	.type	_ZN12_GLOBAL__N_127rocblas_gemm_batched_kernelIdLi16ELi16ELi64ELi64ELi4ELi64ELi4ELi4ELi64ELc84ELc78EKdS1_dEEvlllT_PT11_llS4_llS2_PT12_llPT13_lli,@function
_ZN12_GLOBAL__N_127rocblas_gemm_batched_kernelIdLi16ELi16ELi64ELi64ELi4ELi64ELi4ELi4ELi64ELc84ELc78EKdS1_dEEvlllT_PT11_llS4_llS2_PT12_llPT13_lli: ; @_ZN12_GLOBAL__N_127rocblas_gemm_batched_kernelIdLi16ELi16ELi64ELi64ELi4ELi64ELi4ELi4ELi64ELc84ELc78EKdS1_dEEvlllT_PT11_llS4_llS2_PT12_llPT13_lli
; %bb.0:
	s_load_dwordx16 s[12:27], s[4:5], 0x10
	s_mov_b32 s0, s7
	s_ashr_i32 s7, s6, 31
	s_ashr_i32 s1, s0, 31
	s_lshl_b64 s[10:11], s[6:7], 6
	s_lshl_b64 s[28:29], s[0:1], 6
	s_waitcnt lgkmcnt(0)
	v_cmp_lt_i64_e64 s2, s[12:13], 1
	s_and_b32 vcc_lo, exec_lo, s2
	s_cbranch_vccnz .LBB61_3
; %bb.1:
	v_lshl_add_u32 v2, v1, 4, v0
	v_and_b32_e32 v3, 3, v0
	s_mul_hi_u32 s1, s26, s8
	v_mov_b32_e32 v12, 0
	v_mov_b32_e32 v14, 0
	v_lshrrev_b32_e32 v4, 2, v2
	v_and_b32_e32 v5, 63, v2
	v_lshlrev_b32_e32 v9, 3, v3
	v_lshrrev_b32_e32 v8, 6, v2
	v_mov_b32_e32 v18, 0
	v_add_co_u32 v6, s0, v4, s28
	v_add_co_ci_u32_e64 v7, null, 0, s29, s0
	v_lshlrev_b32_e32 v10, 3, v5
	v_mul_lo_u32 v11, s25, v6
	v_mad_u64_u32 v[2:3], null, s24, v6, 0
	v_mul_lo_u32 v7, s24, v7
	v_add_co_u32 v5, s0, s10, v5
	v_lshl_or_b32 v4, v4, 5, v9
	v_add_co_ci_u32_e64 v6, null, s11, 0, s0
	s_mul_i32 s0, s27, s8
	v_lshl_or_b32 v39, v8, 9, v10
	v_add_nc_u32_e32 v40, 0x800, v4
	v_add3_u32 v3, v3, v7, v11
	v_mul_lo_u32 v7, s19, v5
	v_mul_lo_u32 v6, s18, v6
	v_mad_u64_u32 v[4:5], null, s18, v5, 0
	v_lshlrev_b64 v[2:3], 3, v[2:3]
	s_add_i32 s1, s1, s0
	s_mul_i32 s0, s26, s8
	v_mov_b32_e32 v10, 0
	s_lshl_b64 s[0:1], s[0:1], 3
	v_mov_b32_e32 v16, 0
	v_add3_u32 v5, v5, v6, v7
	v_add_co_u32 v6, vcc_lo, v2, s0
	v_add_co_ci_u32_e64 v7, null, s1, v3, vcc_lo
	s_mul_i32 s0, s21, s8
	s_mul_hi_u32 s1, s20, s8
	v_lshlrev_b64 v[2:3], 3, v[4:5]
	s_add_i32 s1, s1, s0
	s_mul_i32 s0, s20, s8
	v_add_co_u32 v4, vcc_lo, v6, v9
	s_lshl_b64 s[0:1], s[0:1], 3
	v_add_co_ci_u32_e64 v5, null, 0, v7, vcc_lo
	v_add_co_u32 v2, vcc_lo, v2, s0
	v_lshlrev_b32_e32 v6, 3, v8
	v_add_co_ci_u32_e64 v3, null, s1, v3, vcc_lo
	v_add_co_u32 v34, vcc_lo, s22, v4
	v_add_co_ci_u32_e64 v35, null, s23, v5, vcc_lo
	v_add_co_u32 v36, vcc_lo, v2, v6
	v_add_co_ci_u32_e64 v37, null, 0, v3, vcc_lo
	v_mov_b32_e32 v2, 0
	v_add_co_u32 v36, vcc_lo, s16, v36
	v_mov_b32_e32 v4, 0
	v_mov_b32_e32 v6, 0
	;; [unrolled: 1-line block ×10, first 2 shown]
	v_lshlrev_b32_e32 v38, 3, v0
	v_lshl_add_u32 v41, v1, 5, 0x800
	v_mov_b32_e32 v3, 0
	v_mov_b32_e32 v5, 0
	;; [unrolled: 1-line block ×16, first 2 shown]
	v_add_co_ci_u32_e64 v37, null, s17, v37, vcc_lo
	s_mov_b64 s[0:1], 0
.LBB61_2:                               ; =>This Inner Loop Header: Depth=1
	global_load_dwordx2 v[42:43], v[36:37], off
	global_load_dwordx2 v[44:45], v[34:35], off
	s_add_u32 s0, s0, 4
	s_addc_u32 s1, s1, 0
	v_add_co_u32 v34, vcc_lo, v34, 32
	v_cmp_lt_i64_e64 s2, s[0:1], s[12:13]
	v_add_co_ci_u32_e64 v35, null, 0, v35, vcc_lo
	v_add_co_u32 v36, vcc_lo, v36, 32
	v_add_co_ci_u32_e64 v37, null, 0, v37, vcc_lo
	s_and_b32 vcc_lo, exec_lo, s2
	s_waitcnt vmcnt(1)
	ds_write_b64 v39, v[42:43]
	s_waitcnt vmcnt(0)
	ds_write_b64 v40, v[44:45]
	s_waitcnt lgkmcnt(0)
	s_barrier
	buffer_gl0_inv
	ds_read_b128 v[42:45], v41
	ds_read2_b64 v[46:49], v38 offset1:16
	ds_read_b128 v[50:53], v41 offset:512
	ds_read_b128 v[54:57], v41 offset:16
	;; [unrolled: 1-line block ×3, first 2 shown]
	s_waitcnt lgkmcnt(3)
	v_fma_f64 v[74:75], v[48:49], v[42:43], v[30:31]
	s_waitcnt lgkmcnt(2)
	v_fma_f64 v[76:77], v[46:47], v[50:51], v[28:29]
	ds_read_b128 v[28:31], v41 offset:1024
	ds_read_b128 v[62:65], v41 offset:1040
	;; [unrolled: 1-line block ×4, first 2 shown]
	v_fma_f64 v[32:33], v[46:47], v[42:43], v[32:33]
	v_fma_f64 v[22:23], v[48:49], v[50:51], v[22:23]
	s_waitcnt lgkmcnt(3)
	v_fma_f64 v[18:19], v[46:47], v[28:29], v[18:19]
	v_fma_f64 v[14:15], v[48:49], v[28:29], v[14:15]
	s_waitcnt lgkmcnt(1)
	v_fma_f64 v[46:47], v[46:47], v[66:67], v[8:9]
	v_fma_f64 v[48:49], v[48:49], v[66:67], v[6:7]
	ds_read2_b64 v[6:9], v38 offset0:32 offset1:48
	s_waitcnt lgkmcnt(0)
	v_fma_f64 v[26:27], v[6:7], v[42:43], v[26:27]
	v_fma_f64 v[24:25], v[8:9], v[42:43], v[24:25]
	;; [unrolled: 1-line block ×8, first 2 shown]
	ds_read2_b64 v[2:5], v38 offset0:64 offset1:80
	ds_read2_b64 v[6:9], v38 offset0:96 offset1:112
	s_waitcnt lgkmcnt(1)
	v_fma_f64 v[32:33], v[2:3], v[44:45], v[32:33]
	v_fma_f64 v[50:51], v[4:5], v[44:45], v[74:75]
	s_waitcnt lgkmcnt(0)
	v_fma_f64 v[26:27], v[6:7], v[44:45], v[26:27]
	v_fma_f64 v[24:25], v[8:9], v[44:45], v[24:25]
	;; [unrolled: 1-line block ×10, first 2 shown]
	ds_read2_b64 v[2:5], v38 offset0:128 offset1:144
	v_fma_f64 v[20:21], v[6:7], v[52:53], v[20:21]
	v_fma_f64 v[16:17], v[8:9], v[52:53], v[16:17]
	;; [unrolled: 1-line block ×4, first 2 shown]
	s_waitcnt lgkmcnt(0)
	v_fma_f64 v[28:29], v[2:3], v[54:55], v[32:33]
	v_fma_f64 v[42:43], v[4:5], v[54:55], v[50:51]
	;; [unrolled: 1-line block ×8, first 2 shown]
	ds_read2_b64 v[2:5], v38 offset0:160 offset1:176
	s_waitcnt lgkmcnt(0)
	v_fma_f64 v[26:27], v[2:3], v[54:55], v[26:27]
	v_fma_f64 v[24:25], v[4:5], v[54:55], v[24:25]
	;; [unrolled: 1-line block ×8, first 2 shown]
	ds_read2_b64 v[2:5], v38 offset0:192 offset1:208
	s_waitcnt lgkmcnt(0)
	v_fma_f64 v[30:31], v[4:5], v[56:57], v[42:43]
	ds_read2_b64 v[42:45], v38 offset0:224 offset1:240
	v_fma_f64 v[32:33], v[2:3], v[56:57], v[28:29]
	v_fma_f64 v[28:29], v[2:3], v[60:61], v[48:49]
	;; [unrolled: 1-line block ×7, first 2 shown]
	s_waitcnt lgkmcnt(0)
	s_barrier
	buffer_gl0_inv
	v_fma_f64 v[26:27], v[42:43], v[56:57], v[26:27]
	v_fma_f64 v[24:25], v[44:45], v[56:57], v[24:25]
	;; [unrolled: 1-line block ×8, first 2 shown]
	s_cbranch_vccnz .LBB61_2
	s_branch .LBB61_4
.LBB61_3:
	v_mov_b32_e32 v32, 0
	v_mov_b32_e32 v30, 0
	;; [unrolled: 1-line block ×32, first 2 shown]
.LBB61_4:
	s_clause 0x1
	s_load_dwordx8 s[16:23], s[4:5], 0x50
	s_load_dwordx8 s[0:7], s[4:5], 0x70
	s_waitcnt lgkmcnt(0)
	v_cmp_neq_f64_e64 s6, s[16:17], 0
	s_mul_i32 s5, s5, s8
	s_mul_hi_u32 s7, s4, s8
	s_mul_i32 s4, s4, s8
	s_add_i32 s5, s7, s5
	v_add_co_u32 v34, s7, s28, v1
	v_add_co_ci_u32_e64 v37, null, s29, 0, s7
	v_add_co_u32 v0, s7, s10, v0
	v_add_co_ci_u32_e64 v1, null, s11, 0, s7
	v_mul_lo_u32 v35, v37, s2
	v_mul_lo_u32 v36, v34, s3
	s_lshl_b64 s[4:5], s[4:5], 3
	v_lshlrev_b64 v[0:1], 3, v[0:1]
	s_add_u32 s0, s0, s4
	s_addc_u32 s1, s1, s5
	s_and_b32 vcc_lo, exec_lo, s6
	s_cbranch_vccnz .LBB61_8
; %bb.5:
	v_mad_u64_u32 v[38:39], null, v34, s2, 0
	v_mul_f64 v[40:41], s[14:15], v[32:33]
	v_mul_f64 v[42:43], s[14:15], v[30:31]
	;; [unrolled: 1-line block ×6, first 2 shown]
	v_add3_u32 v39, v39, v36, v35
	v_mul_f64 v[52:53], s[14:15], v[20:21]
	s_lshl_b64 s[4:5], s[2:3], 7
	v_lshlrev_b64 v[38:39], 3, v[38:39]
	v_add_co_u32 v54, vcc_lo, s0, v38
	v_add_co_ci_u32_e64 v55, null, s1, v39, vcc_lo
	v_mul_f64 v[38:39], s[14:15], v[16:17]
	v_add_co_u32 v58, vcc_lo, v54, s4
	v_add_co_ci_u32_e64 v59, null, s5, v55, vcc_lo
	v_add_co_u32 v54, vcc_lo, v54, v0
	v_add_co_ci_u32_e64 v55, null, v55, v1, vcc_lo
	;; [unrolled: 2-line block ×3, first 2 shown]
	global_store_dwordx2 v[54:55], v[40:41], off
	global_store_dwordx2 v[54:55], v[42:43], off offset:128
	global_store_dwordx2 v[54:55], v[44:45], off offset:256
	global_store_dwordx2 v[54:55], v[46:47], off offset:384
	global_store_dwordx2 v[56:57], v[48:49], off
	global_store_dwordx2 v[56:57], v[50:51], off offset:128
	global_store_dwordx2 v[56:57], v[52:53], off offset:256
	v_mul_f64 v[40:41], s[14:15], v[18:19]
	v_mul_f64 v[54:55], s[14:15], v[2:3]
	;; [unrolled: 1-line block ×7, first 2 shown]
	v_add_co_u32 v58, vcc_lo, v58, s4
	v_mul_f64 v[52:53], s[14:15], v[4:5]
	v_add_co_ci_u32_e64 v59, null, s5, v59, vcc_lo
	global_store_dwordx2 v[56:57], v[38:39], off offset:384
	v_add_co_u32 v56, vcc_lo, v58, s4
	v_add_co_ci_u32_e64 v57, null, s5, v59, vcc_lo
	v_add_co_u32 v38, vcc_lo, v58, v0
	v_add_co_ci_u32_e64 v39, null, v59, v1, vcc_lo
	;; [unrolled: 2-line block ×3, first 2 shown]
	global_store_dwordx2 v[38:39], v[40:41], off
	global_store_dwordx2 v[38:39], v[42:43], off offset:128
	global_store_dwordx2 v[38:39], v[44:45], off offset:256
	;; [unrolled: 1-line block ×3, first 2 shown]
	global_store_dwordx2 v[56:57], v[48:49], off
	global_store_dwordx2 v[56:57], v[50:51], off offset:128
	global_store_dwordx2 v[56:57], v[52:53], off offset:256
	;; [unrolled: 1-line block ×3, first 2 shown]
	s_cbranch_execnz .LBB61_7
.LBB61_6:
	v_mul_lo_u32 v39, v37, s20
	v_mul_lo_u32 v40, v34, s21
	v_mad_u64_u32 v[37:38], null, v34, s20, 0
	s_mul_i32 s5, s23, s8
	s_mul_hi_u32 s6, s22, s8
	s_mul_i32 s4, s22, s8
	s_add_i32 s5, s6, s5
	v_mad_u64_u32 v[41:42], null, v34, s2, 0
	v_add3_u32 v38, v38, v40, v39
	s_lshl_b64 s[4:5], s[4:5], 3
	s_add_u32 s4, s18, s4
	s_addc_u32 s5, s19, s5
	v_lshlrev_b64 v[37:38], 3, v[37:38]
	v_add3_u32 v42, v42, v36, v35
	s_lshl_b64 s[2:3], s[2:3], 7
	v_lshlrev_b64 v[34:35], 3, v[41:42]
	v_add_co_u32 v43, vcc_lo, s4, v37
	v_add_co_ci_u32_e64 v44, null, s5, v38, vcc_lo
	v_add_co_u32 v37, vcc_lo, v43, v0
	v_add_co_ci_u32_e64 v38, null, v44, v1, vcc_lo
	v_add_co_u32 v36, vcc_lo, s0, v34
	global_load_dwordx2 v[39:40], v[37:38], off
	s_waitcnt vmcnt(0)
	v_mul_f64 v[39:40], s[16:17], v[39:40]
	v_fma_f64 v[32:33], s[14:15], v[32:33], v[39:40]
	v_add_co_ci_u32_e64 v39, null, s1, v35, vcc_lo
	v_add_co_u32 v34, vcc_lo, v36, v0
	s_lshl_b64 s[0:1], s[20:21], 7
	v_add_co_ci_u32_e64 v35, null, v39, v1, vcc_lo
	global_store_dwordx2 v[34:35], v[32:33], off
	global_load_dwordx2 v[32:33], v[37:38], off offset:128
	s_waitcnt vmcnt(0)
	v_mul_f64 v[32:33], s[16:17], v[32:33]
	v_fma_f64 v[30:31], s[14:15], v[30:31], v[32:33]
	global_store_dwordx2 v[34:35], v[30:31], off offset:128
	global_load_dwordx2 v[30:31], v[37:38], off offset:256
	s_waitcnt vmcnt(0)
	v_mul_f64 v[30:31], s[16:17], v[30:31]
	v_fma_f64 v[26:27], s[14:15], v[26:27], v[30:31]
	v_add_co_u32 v30, vcc_lo, v43, s0
	v_add_co_ci_u32_e64 v31, null, s1, v44, vcc_lo
	global_store_dwordx2 v[34:35], v[26:27], off offset:256
	global_load_dwordx2 v[26:27], v[37:38], off offset:384
	s_waitcnt vmcnt(0)
	v_mul_f64 v[26:27], s[16:17], v[26:27]
	v_fma_f64 v[24:25], s[14:15], v[24:25], v[26:27]
	v_add_co_u32 v26, vcc_lo, v30, v0
	v_add_co_ci_u32_e64 v27, null, v31, v1, vcc_lo
	v_add_co_u32 v32, vcc_lo, v36, s2
	v_add_co_ci_u32_e64 v33, null, s3, v39, vcc_lo
	global_store_dwordx2 v[34:35], v[24:25], off offset:384
	global_load_dwordx2 v[24:25], v[26:27], off
	s_waitcnt vmcnt(0)
	v_mul_f64 v[24:25], s[16:17], v[24:25]
	v_fma_f64 v[24:25], s[14:15], v[28:29], v[24:25]
	v_add_co_u32 v28, vcc_lo, v32, v0
	v_add_co_ci_u32_e64 v29, null, v33, v1, vcc_lo
	global_store_dwordx2 v[28:29], v[24:25], off
	global_load_dwordx2 v[24:25], v[26:27], off offset:128
	s_waitcnt vmcnt(0)
	v_mul_f64 v[24:25], s[16:17], v[24:25]
	v_fma_f64 v[22:23], s[14:15], v[22:23], v[24:25]
	global_store_dwordx2 v[28:29], v[22:23], off offset:128
	global_load_dwordx2 v[22:23], v[26:27], off offset:256
	s_waitcnt vmcnt(0)
	v_mul_f64 v[22:23], s[16:17], v[22:23]
	v_fma_f64 v[20:21], s[14:15], v[20:21], v[22:23]
	v_add_co_u32 v22, vcc_lo, v30, s0
	v_add_co_ci_u32_e64 v23, null, s1, v31, vcc_lo
	global_store_dwordx2 v[28:29], v[20:21], off offset:256
	global_load_dwordx2 v[20:21], v[26:27], off offset:384
	s_waitcnt vmcnt(0)
	v_mul_f64 v[20:21], s[16:17], v[20:21]
	v_fma_f64 v[16:17], s[14:15], v[16:17], v[20:21]
	v_add_co_u32 v20, vcc_lo, v22, v0
	v_add_co_ci_u32_e64 v21, null, v23, v1, vcc_lo
	v_add_co_u32 v24, vcc_lo, v32, s2
	v_add_co_ci_u32_e64 v25, null, s3, v33, vcc_lo
	global_store_dwordx2 v[28:29], v[16:17], off offset:384
	global_load_dwordx2 v[16:17], v[20:21], off
	s_waitcnt vmcnt(0)
	v_mul_f64 v[16:17], s[16:17], v[16:17]
	v_fma_f64 v[16:17], s[14:15], v[18:19], v[16:17]
	v_add_co_u32 v18, vcc_lo, v24, v0
	v_add_co_ci_u32_e64 v19, null, v25, v1, vcc_lo
	global_store_dwordx2 v[18:19], v[16:17], off
	global_load_dwordx2 v[16:17], v[20:21], off offset:128
	s_waitcnt vmcnt(0)
	v_mul_f64 v[16:17], s[16:17], v[16:17]
	v_fma_f64 v[14:15], s[14:15], v[14:15], v[16:17]
	global_store_dwordx2 v[18:19], v[14:15], off offset:128
	global_load_dwordx2 v[14:15], v[20:21], off offset:256
	s_waitcnt vmcnt(0)
	v_mul_f64 v[14:15], s[16:17], v[14:15]
	v_fma_f64 v[12:13], s[14:15], v[12:13], v[14:15]
	global_store_dwordx2 v[18:19], v[12:13], off offset:256
	global_load_dwordx2 v[12:13], v[20:21], off offset:384
	s_waitcnt vmcnt(0)
	v_mul_f64 v[12:13], s[16:17], v[12:13]
	v_fma_f64 v[10:11], s[14:15], v[10:11], v[12:13]
	v_add_co_u32 v12, vcc_lo, v22, s0
	v_add_co_ci_u32_e64 v13, null, s1, v23, vcc_lo
	v_add_co_u32 v12, vcc_lo, v12, v0
	v_add_co_ci_u32_e64 v13, null, v13, v1, vcc_lo
	global_store_dwordx2 v[18:19], v[10:11], off offset:384
	global_load_dwordx2 v[10:11], v[12:13], off
	s_waitcnt vmcnt(0)
	v_mul_f64 v[10:11], s[16:17], v[10:11]
	v_fma_f64 v[8:9], s[14:15], v[8:9], v[10:11]
	v_add_co_u32 v10, vcc_lo, v24, s2
	v_add_co_ci_u32_e64 v11, null, s3, v25, vcc_lo
	v_add_co_u32 v0, vcc_lo, v10, v0
	v_add_co_ci_u32_e64 v1, null, v11, v1, vcc_lo
	global_store_dwordx2 v[0:1], v[8:9], off
	global_load_dwordx2 v[8:9], v[12:13], off offset:128
	s_waitcnt vmcnt(0)
	v_mul_f64 v[8:9], s[16:17], v[8:9]
	v_fma_f64 v[6:7], s[14:15], v[6:7], v[8:9]
	global_store_dwordx2 v[0:1], v[6:7], off offset:128
	global_load_dwordx2 v[6:7], v[12:13], off offset:256
	s_waitcnt vmcnt(0)
	v_mul_f64 v[6:7], s[16:17], v[6:7]
	v_fma_f64 v[4:5], s[14:15], v[4:5], v[6:7]
	global_store_dwordx2 v[0:1], v[4:5], off offset:256
	;; [unrolled: 5-line block ×3, first 2 shown]
.LBB61_7:
	s_endpgm
.LBB61_8:
	s_branch .LBB61_6
	.section	.rodata,"a",@progbits
	.p2align	6, 0x0
	.amdhsa_kernel _ZN12_GLOBAL__N_127rocblas_gemm_batched_kernelIdLi16ELi16ELi64ELi64ELi4ELi64ELi4ELi4ELi64ELc84ELc78EKdS1_dEEvlllT_PT11_llS4_llS2_PT12_llPT13_lli
		.amdhsa_group_segment_fixed_size 4096
		.amdhsa_private_segment_fixed_size 0
		.amdhsa_kernarg_size 140
		.amdhsa_user_sgpr_count 6
		.amdhsa_user_sgpr_private_segment_buffer 1
		.amdhsa_user_sgpr_dispatch_ptr 0
		.amdhsa_user_sgpr_queue_ptr 0
		.amdhsa_user_sgpr_kernarg_segment_ptr 1
		.amdhsa_user_sgpr_dispatch_id 0
		.amdhsa_user_sgpr_flat_scratch_init 0
		.amdhsa_user_sgpr_private_segment_size 0
		.amdhsa_wavefront_size32 1
		.amdhsa_uses_dynamic_stack 0
		.amdhsa_system_sgpr_private_segment_wavefront_offset 0
		.amdhsa_system_sgpr_workgroup_id_x 1
		.amdhsa_system_sgpr_workgroup_id_y 1
		.amdhsa_system_sgpr_workgroup_id_z 1
		.amdhsa_system_sgpr_workgroup_info 0
		.amdhsa_system_vgpr_workitem_id 1
		.amdhsa_next_free_vgpr 78
		.amdhsa_next_free_sgpr 30
		.amdhsa_reserve_vcc 1
		.amdhsa_reserve_flat_scratch 0
		.amdhsa_float_round_mode_32 0
		.amdhsa_float_round_mode_16_64 0
		.amdhsa_float_denorm_mode_32 3
		.amdhsa_float_denorm_mode_16_64 3
		.amdhsa_dx10_clamp 1
		.amdhsa_ieee_mode 1
		.amdhsa_fp16_overflow 0
		.amdhsa_workgroup_processor_mode 1
		.amdhsa_memory_ordered 1
		.amdhsa_forward_progress 1
		.amdhsa_shared_vgpr_count 0
		.amdhsa_exception_fp_ieee_invalid_op 0
		.amdhsa_exception_fp_denorm_src 0
		.amdhsa_exception_fp_ieee_div_zero 0
		.amdhsa_exception_fp_ieee_overflow 0
		.amdhsa_exception_fp_ieee_underflow 0
		.amdhsa_exception_fp_ieee_inexact 0
		.amdhsa_exception_int_div_zero 0
	.end_amdhsa_kernel
	.section	.text._ZN12_GLOBAL__N_127rocblas_gemm_batched_kernelIdLi16ELi16ELi64ELi64ELi4ELi64ELi4ELi4ELi64ELc84ELc78EKdS1_dEEvlllT_PT11_llS4_llS2_PT12_llPT13_lli,"axG",@progbits,_ZN12_GLOBAL__N_127rocblas_gemm_batched_kernelIdLi16ELi16ELi64ELi64ELi4ELi64ELi4ELi4ELi64ELc84ELc78EKdS1_dEEvlllT_PT11_llS4_llS2_PT12_llPT13_lli,comdat
.Lfunc_end61:
	.size	_ZN12_GLOBAL__N_127rocblas_gemm_batched_kernelIdLi16ELi16ELi64ELi64ELi4ELi64ELi4ELi4ELi64ELc84ELc78EKdS1_dEEvlllT_PT11_llS4_llS2_PT12_llPT13_lli, .Lfunc_end61-_ZN12_GLOBAL__N_127rocblas_gemm_batched_kernelIdLi16ELi16ELi64ELi64ELi4ELi64ELi4ELi4ELi64ELc84ELc78EKdS1_dEEvlllT_PT11_llS4_llS2_PT12_llPT13_lli
                                        ; -- End function
	.set _ZN12_GLOBAL__N_127rocblas_gemm_batched_kernelIdLi16ELi16ELi64ELi64ELi4ELi64ELi4ELi4ELi64ELc84ELc78EKdS1_dEEvlllT_PT11_llS4_llS2_PT12_llPT13_lli.num_vgpr, 78
	.set _ZN12_GLOBAL__N_127rocblas_gemm_batched_kernelIdLi16ELi16ELi64ELi64ELi4ELi64ELi4ELi4ELi64ELc84ELc78EKdS1_dEEvlllT_PT11_llS4_llS2_PT12_llPT13_lli.num_agpr, 0
	.set _ZN12_GLOBAL__N_127rocblas_gemm_batched_kernelIdLi16ELi16ELi64ELi64ELi4ELi64ELi4ELi4ELi64ELc84ELc78EKdS1_dEEvlllT_PT11_llS4_llS2_PT12_llPT13_lli.numbered_sgpr, 30
	.set _ZN12_GLOBAL__N_127rocblas_gemm_batched_kernelIdLi16ELi16ELi64ELi64ELi4ELi64ELi4ELi4ELi64ELc84ELc78EKdS1_dEEvlllT_PT11_llS4_llS2_PT12_llPT13_lli.num_named_barrier, 0
	.set _ZN12_GLOBAL__N_127rocblas_gemm_batched_kernelIdLi16ELi16ELi64ELi64ELi4ELi64ELi4ELi4ELi64ELc84ELc78EKdS1_dEEvlllT_PT11_llS4_llS2_PT12_llPT13_lli.private_seg_size, 0
	.set _ZN12_GLOBAL__N_127rocblas_gemm_batched_kernelIdLi16ELi16ELi64ELi64ELi4ELi64ELi4ELi4ELi64ELc84ELc78EKdS1_dEEvlllT_PT11_llS4_llS2_PT12_llPT13_lli.uses_vcc, 1
	.set _ZN12_GLOBAL__N_127rocblas_gemm_batched_kernelIdLi16ELi16ELi64ELi64ELi4ELi64ELi4ELi4ELi64ELc84ELc78EKdS1_dEEvlllT_PT11_llS4_llS2_PT12_llPT13_lli.uses_flat_scratch, 0
	.set _ZN12_GLOBAL__N_127rocblas_gemm_batched_kernelIdLi16ELi16ELi64ELi64ELi4ELi64ELi4ELi4ELi64ELc84ELc78EKdS1_dEEvlllT_PT11_llS4_llS2_PT12_llPT13_lli.has_dyn_sized_stack, 0
	.set _ZN12_GLOBAL__N_127rocblas_gemm_batched_kernelIdLi16ELi16ELi64ELi64ELi4ELi64ELi4ELi4ELi64ELc84ELc78EKdS1_dEEvlllT_PT11_llS4_llS2_PT12_llPT13_lli.has_recursion, 0
	.set _ZN12_GLOBAL__N_127rocblas_gemm_batched_kernelIdLi16ELi16ELi64ELi64ELi4ELi64ELi4ELi4ELi64ELc84ELc78EKdS1_dEEvlllT_PT11_llS4_llS2_PT12_llPT13_lli.has_indirect_call, 0
	.section	.AMDGPU.csdata,"",@progbits
; Kernel info:
; codeLenInByte = 2924
; TotalNumSgprs: 32
; NumVgprs: 78
; ScratchSize: 0
; MemoryBound: 0
; FloatMode: 240
; IeeeMode: 1
; LDSByteSize: 4096 bytes/workgroup (compile time only)
; SGPRBlocks: 0
; VGPRBlocks: 9
; NumSGPRsForWavesPerEU: 32
; NumVGPRsForWavesPerEU: 78
; Occupancy: 12
; WaveLimiterHint : 1
; COMPUTE_PGM_RSRC2:SCRATCH_EN: 0
; COMPUTE_PGM_RSRC2:USER_SGPR: 6
; COMPUTE_PGM_RSRC2:TRAP_HANDLER: 0
; COMPUTE_PGM_RSRC2:TGID_X_EN: 1
; COMPUTE_PGM_RSRC2:TGID_Y_EN: 1
; COMPUTE_PGM_RSRC2:TGID_Z_EN: 1
; COMPUTE_PGM_RSRC2:TIDIG_COMP_CNT: 1
	.section	.text._ZN12_GLOBAL__N_127rocblas_gemm_batched_kernelIdLi16ELi16ELi64ELi64ELi4ELi64ELi4ELi4ELi64ELc78ELc84EKdS1_dEEvlllT_PT11_llS4_llS2_PT12_llPT13_lli,"axG",@progbits,_ZN12_GLOBAL__N_127rocblas_gemm_batched_kernelIdLi16ELi16ELi64ELi64ELi4ELi64ELi4ELi4ELi64ELc78ELc84EKdS1_dEEvlllT_PT11_llS4_llS2_PT12_llPT13_lli,comdat
	.globl	_ZN12_GLOBAL__N_127rocblas_gemm_batched_kernelIdLi16ELi16ELi64ELi64ELi4ELi64ELi4ELi4ELi64ELc78ELc84EKdS1_dEEvlllT_PT11_llS4_llS2_PT12_llPT13_lli ; -- Begin function _ZN12_GLOBAL__N_127rocblas_gemm_batched_kernelIdLi16ELi16ELi64ELi64ELi4ELi64ELi4ELi4ELi64ELc78ELc84EKdS1_dEEvlllT_PT11_llS4_llS2_PT12_llPT13_lli
	.p2align	8
	.type	_ZN12_GLOBAL__N_127rocblas_gemm_batched_kernelIdLi16ELi16ELi64ELi64ELi4ELi64ELi4ELi4ELi64ELc78ELc84EKdS1_dEEvlllT_PT11_llS4_llS2_PT12_llPT13_lli,@function
_ZN12_GLOBAL__N_127rocblas_gemm_batched_kernelIdLi16ELi16ELi64ELi64ELi4ELi64ELi4ELi4ELi64ELc78ELc84EKdS1_dEEvlllT_PT11_llS4_llS2_PT12_llPT13_lli: ; @_ZN12_GLOBAL__N_127rocblas_gemm_batched_kernelIdLi16ELi16ELi64ELi64ELi4ELi64ELi4ELi4ELi64ELc78ELc84EKdS1_dEEvlllT_PT11_llS4_llS2_PT12_llPT13_lli
; %bb.0:
	s_load_dwordx16 s[12:27], s[4:5], 0x10
	s_mov_b32 s0, s7
	v_mov_b32_e32 v3, 0
	s_ashr_i32 s7, s6, 31
	s_ashr_i32 s1, s0, 31
	s_lshl_b64 s[10:11], s[6:7], 6
	s_lshl_b64 s[28:29], s[0:1], 6
	s_waitcnt lgkmcnt(0)
	v_cmp_lt_i64_e64 s2, s[12:13], 1
	s_and_b32 vcc_lo, exec_lo, s2
	s_cbranch_vccnz .LBB62_3
; %bb.1:
	v_lshl_add_u32 v5, v1, 4, v0
	v_and_b32_e32 v6, 3, v0
	s_mul_i32 s1, s27, s8
	s_mul_hi_u32 s2, s26, s8
	s_mul_i32 s0, s26, s8
	v_lshrrev_b32_e32 v2, 2, v5
	v_and_b32_e32 v8, 63, v5
	v_lshrrev_b32_e32 v7, 6, v5
	v_lshlrev_b32_e32 v9, 3, v6
	s_add_i32 s1, s2, s1
	v_mad_u64_u32 v[3:4], null, s24, v6, v[2:3]
	v_lshlrev_b32_e32 v10, 3, v8
	v_lshl_or_b32 v9, v2, 5, v9
	s_lshl_b64 s[0:1], s[0:1], 3
	s_mul_i32 s3, s21, s8
	s_add_u32 s0, s22, s0
	v_lshl_or_b32 v40, v7, 9, v10
	v_mad_u64_u32 v[4:5], null, s25, v6, v[4:5]
	v_mad_u64_u32 v[5:6], null, s18, v7, s[10:11]
	v_add_co_u32 v3, vcc_lo, v3, s28
	s_addc_u32 s1, s23, s1
	s_mul_hi_u32 s6, s20, s8
	v_add_co_ci_u32_e64 v4, null, s29, v4, vcc_lo
	v_mov_b32_e32 v2, v6
	s_add_i32 s3, s6, s3
	s_mul_i32 s2, s20, s8
	v_lshlrev_b64 v[3:4], 3, v[3:4]
	s_lshl_b64 s[2:3], s[2:3], 3
	v_add_nc_u32_e32 v41, 0x800, v9
	v_mov_b32_e32 v10, 0
	v_mov_b32_e32 v12, 0
	;; [unrolled: 1-line block ×3, first 2 shown]
	v_mad_u64_u32 v[6:7], null, s19, v7, v[2:3]
	v_add_co_u32 v34, vcc_lo, s0, v3
	v_add_co_ci_u32_e64 v35, null, s1, v4, vcc_lo
	v_add_co_u32 v2, vcc_lo, v5, v8
	v_add_co_ci_u32_e64 v3, null, 0, v6, vcc_lo
	s_lshl_b64 s[0:1], s[24:25], 5
	s_add_u32 s2, s16, s2
	s_addc_u32 s3, s17, s3
	v_lshlrev_b64 v[36:37], 3, v[2:3]
	v_mov_b32_e32 v2, 0
	v_mov_b32_e32 v4, 0
	;; [unrolled: 1-line block ×5, first 2 shown]
	v_add_co_u32 v36, vcc_lo, s2, v36
	v_mov_b32_e32 v16, 0
	v_mov_b32_e32 v20, 0
	;; [unrolled: 1-line block ×8, first 2 shown]
	v_lshlrev_b32_e32 v38, 3, v0
	v_lshl_add_u32 v39, v1, 5, 0x800
	v_mov_b32_e32 v3, 0
	v_mov_b32_e32 v5, 0
	;; [unrolled: 1-line block ×16, first 2 shown]
	v_add_co_ci_u32_e64 v37, null, s3, v37, vcc_lo
	s_lshl_b64 s[2:3], s[18:19], 5
	s_mov_b64 s[6:7], 0
.LBB62_2:                               ; =>This Inner Loop Header: Depth=1
	global_load_dwordx2 v[42:43], v[36:37], off
	global_load_dwordx2 v[44:45], v[34:35], off
	s_add_u32 s6, s6, 4
	s_addc_u32 s7, s7, 0
	v_add_co_u32 v34, vcc_lo, v34, s0
	v_cmp_lt_i64_e64 s9, s[6:7], s[12:13]
	v_add_co_ci_u32_e64 v35, null, s1, v35, vcc_lo
	v_add_co_u32 v36, vcc_lo, v36, s2
	v_add_co_ci_u32_e64 v37, null, s3, v37, vcc_lo
	s_and_b32 vcc_lo, exec_lo, s9
	s_waitcnt vmcnt(1)
	ds_write_b64 v40, v[42:43]
	s_waitcnt vmcnt(0)
	ds_write_b64 v41, v[44:45]
	s_waitcnt lgkmcnt(0)
	s_barrier
	buffer_gl0_inv
	ds_read_b128 v[42:45], v39
	ds_read2_b64 v[46:49], v38 offset1:16
	ds_read_b128 v[50:53], v39 offset:512
	ds_read_b128 v[54:57], v39 offset:16
	;; [unrolled: 1-line block ×3, first 2 shown]
	s_waitcnt lgkmcnt(3)
	v_fma_f64 v[74:75], v[48:49], v[42:43], v[30:31]
	s_waitcnt lgkmcnt(2)
	v_fma_f64 v[76:77], v[46:47], v[50:51], v[28:29]
	ds_read_b128 v[28:31], v39 offset:1024
	ds_read_b128 v[62:65], v39 offset:1040
	;; [unrolled: 1-line block ×4, first 2 shown]
	v_fma_f64 v[32:33], v[46:47], v[42:43], v[32:33]
	v_fma_f64 v[22:23], v[48:49], v[50:51], v[22:23]
	s_waitcnt lgkmcnt(3)
	v_fma_f64 v[18:19], v[46:47], v[28:29], v[18:19]
	v_fma_f64 v[14:15], v[48:49], v[28:29], v[14:15]
	s_waitcnt lgkmcnt(1)
	v_fma_f64 v[46:47], v[46:47], v[66:67], v[8:9]
	v_fma_f64 v[48:49], v[48:49], v[66:67], v[6:7]
	ds_read2_b64 v[6:9], v38 offset0:32 offset1:48
	s_waitcnt lgkmcnt(0)
	v_fma_f64 v[26:27], v[6:7], v[42:43], v[26:27]
	v_fma_f64 v[24:25], v[8:9], v[42:43], v[24:25]
	;; [unrolled: 1-line block ×8, first 2 shown]
	ds_read2_b64 v[2:5], v38 offset0:64 offset1:80
	ds_read2_b64 v[6:9], v38 offset0:96 offset1:112
	s_waitcnt lgkmcnt(1)
	v_fma_f64 v[32:33], v[2:3], v[44:45], v[32:33]
	v_fma_f64 v[50:51], v[4:5], v[44:45], v[74:75]
	s_waitcnt lgkmcnt(0)
	v_fma_f64 v[26:27], v[6:7], v[44:45], v[26:27]
	v_fma_f64 v[24:25], v[8:9], v[44:45], v[24:25]
	;; [unrolled: 1-line block ×10, first 2 shown]
	ds_read2_b64 v[2:5], v38 offset0:128 offset1:144
	v_fma_f64 v[20:21], v[6:7], v[52:53], v[20:21]
	v_fma_f64 v[16:17], v[8:9], v[52:53], v[16:17]
	;; [unrolled: 1-line block ×4, first 2 shown]
	s_waitcnt lgkmcnt(0)
	v_fma_f64 v[28:29], v[2:3], v[54:55], v[32:33]
	v_fma_f64 v[42:43], v[4:5], v[54:55], v[50:51]
	;; [unrolled: 1-line block ×8, first 2 shown]
	ds_read2_b64 v[2:5], v38 offset0:160 offset1:176
	s_waitcnt lgkmcnt(0)
	v_fma_f64 v[26:27], v[2:3], v[54:55], v[26:27]
	v_fma_f64 v[24:25], v[4:5], v[54:55], v[24:25]
	;; [unrolled: 1-line block ×8, first 2 shown]
	ds_read2_b64 v[2:5], v38 offset0:192 offset1:208
	s_waitcnt lgkmcnt(0)
	v_fma_f64 v[30:31], v[4:5], v[56:57], v[42:43]
	ds_read2_b64 v[42:45], v38 offset0:224 offset1:240
	v_fma_f64 v[32:33], v[2:3], v[56:57], v[28:29]
	v_fma_f64 v[28:29], v[2:3], v[60:61], v[48:49]
	;; [unrolled: 1-line block ×7, first 2 shown]
	s_waitcnt lgkmcnt(0)
	s_barrier
	buffer_gl0_inv
	v_fma_f64 v[26:27], v[42:43], v[56:57], v[26:27]
	v_fma_f64 v[24:25], v[44:45], v[56:57], v[24:25]
	;; [unrolled: 1-line block ×8, first 2 shown]
	s_cbranch_vccnz .LBB62_2
	s_branch .LBB62_4
.LBB62_3:
	v_mov_b32_e32 v32, 0
	v_mov_b32_e32 v30, 0
	v_mov_b32_e32 v26, 0
	v_mov_b32_e32 v24, 0
	v_mov_b32_e32 v28, 0
	v_mov_b32_e32 v22, 0
	v_mov_b32_e32 v20, 0
	v_mov_b32_e32 v16, 0
	v_mov_b32_e32 v18, 0
	v_mov_b32_e32 v14, 0
	v_mov_b32_e32 v12, 0
	v_mov_b32_e32 v10, 0
	v_mov_b32_e32 v8, 0
	v_mov_b32_e32 v6, 0
	v_mov_b32_e32 v4, 0
	v_mov_b32_e32 v2, 0
	v_mov_b32_e32 v33, 0
	v_mov_b32_e32 v31, 0
	v_mov_b32_e32 v27, 0
	v_mov_b32_e32 v25, 0
	v_mov_b32_e32 v29, 0
	v_mov_b32_e32 v23, 0
	v_mov_b32_e32 v21, 0
	v_mov_b32_e32 v17, 0
	v_mov_b32_e32 v19, 0
	v_mov_b32_e32 v15, 0
	v_mov_b32_e32 v13, 0
	v_mov_b32_e32 v11, 0
	v_mov_b32_e32 v9, 0
	v_mov_b32_e32 v7, 0
	v_mov_b32_e32 v5, 0
	v_mov_b32_e32 v3, 0
.LBB62_4:
	s_clause 0x1
	s_load_dwordx8 s[16:23], s[4:5], 0x50
	s_load_dwordx8 s[0:7], s[4:5], 0x70
	s_waitcnt lgkmcnt(0)
	v_cmp_neq_f64_e64 s6, s[16:17], 0
	s_mul_i32 s5, s5, s8
	s_mul_hi_u32 s7, s4, s8
	s_mul_i32 s4, s4, s8
	s_add_i32 s5, s7, s5
	v_add_co_u32 v34, s7, s28, v1
	v_add_co_ci_u32_e64 v37, null, s29, 0, s7
	v_add_co_u32 v0, s7, s10, v0
	v_add_co_ci_u32_e64 v1, null, s11, 0, s7
	v_mul_lo_u32 v35, v37, s2
	v_mul_lo_u32 v36, v34, s3
	s_lshl_b64 s[4:5], s[4:5], 3
	v_lshlrev_b64 v[0:1], 3, v[0:1]
	s_add_u32 s0, s0, s4
	s_addc_u32 s1, s1, s5
	s_and_b32 vcc_lo, exec_lo, s6
	s_cbranch_vccnz .LBB62_8
; %bb.5:
	v_mad_u64_u32 v[38:39], null, v34, s2, 0
	v_mul_f64 v[40:41], s[14:15], v[32:33]
	v_mul_f64 v[42:43], s[14:15], v[30:31]
	;; [unrolled: 1-line block ×6, first 2 shown]
	v_add3_u32 v39, v39, v36, v35
	v_mul_f64 v[52:53], s[14:15], v[20:21]
	s_lshl_b64 s[4:5], s[2:3], 7
	v_lshlrev_b64 v[38:39], 3, v[38:39]
	v_add_co_u32 v54, vcc_lo, s0, v38
	v_add_co_ci_u32_e64 v55, null, s1, v39, vcc_lo
	v_mul_f64 v[38:39], s[14:15], v[16:17]
	v_add_co_u32 v58, vcc_lo, v54, s4
	v_add_co_ci_u32_e64 v59, null, s5, v55, vcc_lo
	v_add_co_u32 v54, vcc_lo, v54, v0
	v_add_co_ci_u32_e64 v55, null, v55, v1, vcc_lo
	;; [unrolled: 2-line block ×3, first 2 shown]
	global_store_dwordx2 v[54:55], v[40:41], off
	global_store_dwordx2 v[54:55], v[42:43], off offset:128
	global_store_dwordx2 v[54:55], v[44:45], off offset:256
	;; [unrolled: 1-line block ×3, first 2 shown]
	global_store_dwordx2 v[56:57], v[48:49], off
	global_store_dwordx2 v[56:57], v[50:51], off offset:128
	global_store_dwordx2 v[56:57], v[52:53], off offset:256
	v_mul_f64 v[40:41], s[14:15], v[18:19]
	v_mul_f64 v[54:55], s[14:15], v[2:3]
	;; [unrolled: 1-line block ×7, first 2 shown]
	v_add_co_u32 v58, vcc_lo, v58, s4
	v_mul_f64 v[52:53], s[14:15], v[4:5]
	v_add_co_ci_u32_e64 v59, null, s5, v59, vcc_lo
	global_store_dwordx2 v[56:57], v[38:39], off offset:384
	v_add_co_u32 v56, vcc_lo, v58, s4
	v_add_co_ci_u32_e64 v57, null, s5, v59, vcc_lo
	v_add_co_u32 v38, vcc_lo, v58, v0
	v_add_co_ci_u32_e64 v39, null, v59, v1, vcc_lo
	;; [unrolled: 2-line block ×3, first 2 shown]
	global_store_dwordx2 v[38:39], v[40:41], off
	global_store_dwordx2 v[38:39], v[42:43], off offset:128
	global_store_dwordx2 v[38:39], v[44:45], off offset:256
	;; [unrolled: 1-line block ×3, first 2 shown]
	global_store_dwordx2 v[56:57], v[48:49], off
	global_store_dwordx2 v[56:57], v[50:51], off offset:128
	global_store_dwordx2 v[56:57], v[52:53], off offset:256
	;; [unrolled: 1-line block ×3, first 2 shown]
	s_cbranch_execnz .LBB62_7
.LBB62_6:
	v_mul_lo_u32 v39, v37, s20
	v_mul_lo_u32 v40, v34, s21
	v_mad_u64_u32 v[37:38], null, v34, s20, 0
	s_mul_i32 s5, s23, s8
	s_mul_hi_u32 s6, s22, s8
	s_mul_i32 s4, s22, s8
	s_add_i32 s5, s6, s5
	v_mad_u64_u32 v[41:42], null, v34, s2, 0
	v_add3_u32 v38, v38, v40, v39
	s_lshl_b64 s[4:5], s[4:5], 3
	s_add_u32 s4, s18, s4
	s_addc_u32 s5, s19, s5
	v_lshlrev_b64 v[37:38], 3, v[37:38]
	v_add3_u32 v42, v42, v36, v35
	s_lshl_b64 s[2:3], s[2:3], 7
	v_lshlrev_b64 v[34:35], 3, v[41:42]
	v_add_co_u32 v43, vcc_lo, s4, v37
	v_add_co_ci_u32_e64 v44, null, s5, v38, vcc_lo
	v_add_co_u32 v37, vcc_lo, v43, v0
	v_add_co_ci_u32_e64 v38, null, v44, v1, vcc_lo
	v_add_co_u32 v36, vcc_lo, s0, v34
	global_load_dwordx2 v[39:40], v[37:38], off
	s_waitcnt vmcnt(0)
	v_mul_f64 v[39:40], s[16:17], v[39:40]
	v_fma_f64 v[32:33], s[14:15], v[32:33], v[39:40]
	v_add_co_ci_u32_e64 v39, null, s1, v35, vcc_lo
	v_add_co_u32 v34, vcc_lo, v36, v0
	s_lshl_b64 s[0:1], s[20:21], 7
	v_add_co_ci_u32_e64 v35, null, v39, v1, vcc_lo
	global_store_dwordx2 v[34:35], v[32:33], off
	global_load_dwordx2 v[32:33], v[37:38], off offset:128
	s_waitcnt vmcnt(0)
	v_mul_f64 v[32:33], s[16:17], v[32:33]
	v_fma_f64 v[30:31], s[14:15], v[30:31], v[32:33]
	global_store_dwordx2 v[34:35], v[30:31], off offset:128
	global_load_dwordx2 v[30:31], v[37:38], off offset:256
	s_waitcnt vmcnt(0)
	v_mul_f64 v[30:31], s[16:17], v[30:31]
	v_fma_f64 v[26:27], s[14:15], v[26:27], v[30:31]
	v_add_co_u32 v30, vcc_lo, v43, s0
	v_add_co_ci_u32_e64 v31, null, s1, v44, vcc_lo
	global_store_dwordx2 v[34:35], v[26:27], off offset:256
	global_load_dwordx2 v[26:27], v[37:38], off offset:384
	s_waitcnt vmcnt(0)
	v_mul_f64 v[26:27], s[16:17], v[26:27]
	v_fma_f64 v[24:25], s[14:15], v[24:25], v[26:27]
	v_add_co_u32 v26, vcc_lo, v30, v0
	v_add_co_ci_u32_e64 v27, null, v31, v1, vcc_lo
	v_add_co_u32 v32, vcc_lo, v36, s2
	v_add_co_ci_u32_e64 v33, null, s3, v39, vcc_lo
	global_store_dwordx2 v[34:35], v[24:25], off offset:384
	global_load_dwordx2 v[24:25], v[26:27], off
	s_waitcnt vmcnt(0)
	v_mul_f64 v[24:25], s[16:17], v[24:25]
	v_fma_f64 v[24:25], s[14:15], v[28:29], v[24:25]
	v_add_co_u32 v28, vcc_lo, v32, v0
	v_add_co_ci_u32_e64 v29, null, v33, v1, vcc_lo
	global_store_dwordx2 v[28:29], v[24:25], off
	global_load_dwordx2 v[24:25], v[26:27], off offset:128
	s_waitcnt vmcnt(0)
	v_mul_f64 v[24:25], s[16:17], v[24:25]
	v_fma_f64 v[22:23], s[14:15], v[22:23], v[24:25]
	global_store_dwordx2 v[28:29], v[22:23], off offset:128
	global_load_dwordx2 v[22:23], v[26:27], off offset:256
	s_waitcnt vmcnt(0)
	v_mul_f64 v[22:23], s[16:17], v[22:23]
	v_fma_f64 v[20:21], s[14:15], v[20:21], v[22:23]
	v_add_co_u32 v22, vcc_lo, v30, s0
	v_add_co_ci_u32_e64 v23, null, s1, v31, vcc_lo
	global_store_dwordx2 v[28:29], v[20:21], off offset:256
	global_load_dwordx2 v[20:21], v[26:27], off offset:384
	s_waitcnt vmcnt(0)
	v_mul_f64 v[20:21], s[16:17], v[20:21]
	v_fma_f64 v[16:17], s[14:15], v[16:17], v[20:21]
	v_add_co_u32 v20, vcc_lo, v22, v0
	v_add_co_ci_u32_e64 v21, null, v23, v1, vcc_lo
	v_add_co_u32 v24, vcc_lo, v32, s2
	v_add_co_ci_u32_e64 v25, null, s3, v33, vcc_lo
	global_store_dwordx2 v[28:29], v[16:17], off offset:384
	global_load_dwordx2 v[16:17], v[20:21], off
	s_waitcnt vmcnt(0)
	v_mul_f64 v[16:17], s[16:17], v[16:17]
	v_fma_f64 v[16:17], s[14:15], v[18:19], v[16:17]
	v_add_co_u32 v18, vcc_lo, v24, v0
	v_add_co_ci_u32_e64 v19, null, v25, v1, vcc_lo
	global_store_dwordx2 v[18:19], v[16:17], off
	global_load_dwordx2 v[16:17], v[20:21], off offset:128
	s_waitcnt vmcnt(0)
	v_mul_f64 v[16:17], s[16:17], v[16:17]
	v_fma_f64 v[14:15], s[14:15], v[14:15], v[16:17]
	global_store_dwordx2 v[18:19], v[14:15], off offset:128
	global_load_dwordx2 v[14:15], v[20:21], off offset:256
	s_waitcnt vmcnt(0)
	v_mul_f64 v[14:15], s[16:17], v[14:15]
	v_fma_f64 v[12:13], s[14:15], v[12:13], v[14:15]
	global_store_dwordx2 v[18:19], v[12:13], off offset:256
	global_load_dwordx2 v[12:13], v[20:21], off offset:384
	s_waitcnt vmcnt(0)
	v_mul_f64 v[12:13], s[16:17], v[12:13]
	v_fma_f64 v[10:11], s[14:15], v[10:11], v[12:13]
	v_add_co_u32 v12, vcc_lo, v22, s0
	v_add_co_ci_u32_e64 v13, null, s1, v23, vcc_lo
	v_add_co_u32 v12, vcc_lo, v12, v0
	v_add_co_ci_u32_e64 v13, null, v13, v1, vcc_lo
	global_store_dwordx2 v[18:19], v[10:11], off offset:384
	global_load_dwordx2 v[10:11], v[12:13], off
	s_waitcnt vmcnt(0)
	v_mul_f64 v[10:11], s[16:17], v[10:11]
	v_fma_f64 v[8:9], s[14:15], v[8:9], v[10:11]
	v_add_co_u32 v10, vcc_lo, v24, s2
	v_add_co_ci_u32_e64 v11, null, s3, v25, vcc_lo
	v_add_co_u32 v0, vcc_lo, v10, v0
	v_add_co_ci_u32_e64 v1, null, v11, v1, vcc_lo
	global_store_dwordx2 v[0:1], v[8:9], off
	global_load_dwordx2 v[8:9], v[12:13], off offset:128
	s_waitcnt vmcnt(0)
	v_mul_f64 v[8:9], s[16:17], v[8:9]
	v_fma_f64 v[6:7], s[14:15], v[6:7], v[8:9]
	global_store_dwordx2 v[0:1], v[6:7], off offset:128
	global_load_dwordx2 v[6:7], v[12:13], off offset:256
	s_waitcnt vmcnt(0)
	v_mul_f64 v[6:7], s[16:17], v[6:7]
	v_fma_f64 v[4:5], s[14:15], v[4:5], v[6:7]
	global_store_dwordx2 v[0:1], v[4:5], off offset:256
	;; [unrolled: 5-line block ×3, first 2 shown]
.LBB62_7:
	s_endpgm
.LBB62_8:
	s_branch .LBB62_6
	.section	.rodata,"a",@progbits
	.p2align	6, 0x0
	.amdhsa_kernel _ZN12_GLOBAL__N_127rocblas_gemm_batched_kernelIdLi16ELi16ELi64ELi64ELi4ELi64ELi4ELi4ELi64ELc78ELc84EKdS1_dEEvlllT_PT11_llS4_llS2_PT12_llPT13_lli
		.amdhsa_group_segment_fixed_size 4096
		.amdhsa_private_segment_fixed_size 0
		.amdhsa_kernarg_size 140
		.amdhsa_user_sgpr_count 6
		.amdhsa_user_sgpr_private_segment_buffer 1
		.amdhsa_user_sgpr_dispatch_ptr 0
		.amdhsa_user_sgpr_queue_ptr 0
		.amdhsa_user_sgpr_kernarg_segment_ptr 1
		.amdhsa_user_sgpr_dispatch_id 0
		.amdhsa_user_sgpr_flat_scratch_init 0
		.amdhsa_user_sgpr_private_segment_size 0
		.amdhsa_wavefront_size32 1
		.amdhsa_uses_dynamic_stack 0
		.amdhsa_system_sgpr_private_segment_wavefront_offset 0
		.amdhsa_system_sgpr_workgroup_id_x 1
		.amdhsa_system_sgpr_workgroup_id_y 1
		.amdhsa_system_sgpr_workgroup_id_z 1
		.amdhsa_system_sgpr_workgroup_info 0
		.amdhsa_system_vgpr_workitem_id 1
		.amdhsa_next_free_vgpr 78
		.amdhsa_next_free_sgpr 30
		.amdhsa_reserve_vcc 1
		.amdhsa_reserve_flat_scratch 0
		.amdhsa_float_round_mode_32 0
		.amdhsa_float_round_mode_16_64 0
		.amdhsa_float_denorm_mode_32 3
		.amdhsa_float_denorm_mode_16_64 3
		.amdhsa_dx10_clamp 1
		.amdhsa_ieee_mode 1
		.amdhsa_fp16_overflow 0
		.amdhsa_workgroup_processor_mode 1
		.amdhsa_memory_ordered 1
		.amdhsa_forward_progress 1
		.amdhsa_shared_vgpr_count 0
		.amdhsa_exception_fp_ieee_invalid_op 0
		.amdhsa_exception_fp_denorm_src 0
		.amdhsa_exception_fp_ieee_div_zero 0
		.amdhsa_exception_fp_ieee_overflow 0
		.amdhsa_exception_fp_ieee_underflow 0
		.amdhsa_exception_fp_ieee_inexact 0
		.amdhsa_exception_int_div_zero 0
	.end_amdhsa_kernel
	.section	.text._ZN12_GLOBAL__N_127rocblas_gemm_batched_kernelIdLi16ELi16ELi64ELi64ELi4ELi64ELi4ELi4ELi64ELc78ELc84EKdS1_dEEvlllT_PT11_llS4_llS2_PT12_llPT13_lli,"axG",@progbits,_ZN12_GLOBAL__N_127rocblas_gemm_batched_kernelIdLi16ELi16ELi64ELi64ELi4ELi64ELi4ELi4ELi64ELc78ELc84EKdS1_dEEvlllT_PT11_llS4_llS2_PT12_llPT13_lli,comdat
.Lfunc_end62:
	.size	_ZN12_GLOBAL__N_127rocblas_gemm_batched_kernelIdLi16ELi16ELi64ELi64ELi4ELi64ELi4ELi4ELi64ELc78ELc84EKdS1_dEEvlllT_PT11_llS4_llS2_PT12_llPT13_lli, .Lfunc_end62-_ZN12_GLOBAL__N_127rocblas_gemm_batched_kernelIdLi16ELi16ELi64ELi64ELi4ELi64ELi4ELi4ELi64ELc78ELc84EKdS1_dEEvlllT_PT11_llS4_llS2_PT12_llPT13_lli
                                        ; -- End function
	.set _ZN12_GLOBAL__N_127rocblas_gemm_batched_kernelIdLi16ELi16ELi64ELi64ELi4ELi64ELi4ELi4ELi64ELc78ELc84EKdS1_dEEvlllT_PT11_llS4_llS2_PT12_llPT13_lli.num_vgpr, 78
	.set _ZN12_GLOBAL__N_127rocblas_gemm_batched_kernelIdLi16ELi16ELi64ELi64ELi4ELi64ELi4ELi4ELi64ELc78ELc84EKdS1_dEEvlllT_PT11_llS4_llS2_PT12_llPT13_lli.num_agpr, 0
	.set _ZN12_GLOBAL__N_127rocblas_gemm_batched_kernelIdLi16ELi16ELi64ELi64ELi4ELi64ELi4ELi4ELi64ELc78ELc84EKdS1_dEEvlllT_PT11_llS4_llS2_PT12_llPT13_lli.numbered_sgpr, 30
	.set _ZN12_GLOBAL__N_127rocblas_gemm_batched_kernelIdLi16ELi16ELi64ELi64ELi4ELi64ELi4ELi4ELi64ELc78ELc84EKdS1_dEEvlllT_PT11_llS4_llS2_PT12_llPT13_lli.num_named_barrier, 0
	.set _ZN12_GLOBAL__N_127rocblas_gemm_batched_kernelIdLi16ELi16ELi64ELi64ELi4ELi64ELi4ELi4ELi64ELc78ELc84EKdS1_dEEvlllT_PT11_llS4_llS2_PT12_llPT13_lli.private_seg_size, 0
	.set _ZN12_GLOBAL__N_127rocblas_gemm_batched_kernelIdLi16ELi16ELi64ELi64ELi4ELi64ELi4ELi4ELi64ELc78ELc84EKdS1_dEEvlllT_PT11_llS4_llS2_PT12_llPT13_lli.uses_vcc, 1
	.set _ZN12_GLOBAL__N_127rocblas_gemm_batched_kernelIdLi16ELi16ELi64ELi64ELi4ELi64ELi4ELi4ELi64ELc78ELc84EKdS1_dEEvlllT_PT11_llS4_llS2_PT12_llPT13_lli.uses_flat_scratch, 0
	.set _ZN12_GLOBAL__N_127rocblas_gemm_batched_kernelIdLi16ELi16ELi64ELi64ELi4ELi64ELi4ELi4ELi64ELc78ELc84EKdS1_dEEvlllT_PT11_llS4_llS2_PT12_llPT13_lli.has_dyn_sized_stack, 0
	.set _ZN12_GLOBAL__N_127rocblas_gemm_batched_kernelIdLi16ELi16ELi64ELi64ELi4ELi64ELi4ELi4ELi64ELc78ELc84EKdS1_dEEvlllT_PT11_llS4_llS2_PT12_llPT13_lli.has_recursion, 0
	.set _ZN12_GLOBAL__N_127rocblas_gemm_batched_kernelIdLi16ELi16ELi64ELi64ELi4ELi64ELi4ELi4ELi64ELc78ELc84EKdS1_dEEvlllT_PT11_llS4_llS2_PT12_llPT13_lli.has_indirect_call, 0
	.section	.AMDGPU.csdata,"",@progbits
; Kernel info:
; codeLenInByte = 2856
; TotalNumSgprs: 32
; NumVgprs: 78
; ScratchSize: 0
; MemoryBound: 0
; FloatMode: 240
; IeeeMode: 1
; LDSByteSize: 4096 bytes/workgroup (compile time only)
; SGPRBlocks: 0
; VGPRBlocks: 9
; NumSGPRsForWavesPerEU: 32
; NumVGPRsForWavesPerEU: 78
; Occupancy: 12
; WaveLimiterHint : 1
; COMPUTE_PGM_RSRC2:SCRATCH_EN: 0
; COMPUTE_PGM_RSRC2:USER_SGPR: 6
; COMPUTE_PGM_RSRC2:TRAP_HANDLER: 0
; COMPUTE_PGM_RSRC2:TGID_X_EN: 1
; COMPUTE_PGM_RSRC2:TGID_Y_EN: 1
; COMPUTE_PGM_RSRC2:TGID_Z_EN: 1
; COMPUTE_PGM_RSRC2:TIDIG_COMP_CNT: 1
	.section	.text._ZN12_GLOBAL__N_127rocblas_gemm_batched_kernelIdLi16ELi16ELi64ELi64ELi4ELi64ELi4ELi4ELi64ELc84ELc84EKdS1_dEEvlllT_PT11_llS4_llS2_PT12_llPT13_lli,"axG",@progbits,_ZN12_GLOBAL__N_127rocblas_gemm_batched_kernelIdLi16ELi16ELi64ELi64ELi4ELi64ELi4ELi4ELi64ELc84ELc84EKdS1_dEEvlllT_PT11_llS4_llS2_PT12_llPT13_lli,comdat
	.globl	_ZN12_GLOBAL__N_127rocblas_gemm_batched_kernelIdLi16ELi16ELi64ELi64ELi4ELi64ELi4ELi4ELi64ELc84ELc84EKdS1_dEEvlllT_PT11_llS4_llS2_PT12_llPT13_lli ; -- Begin function _ZN12_GLOBAL__N_127rocblas_gemm_batched_kernelIdLi16ELi16ELi64ELi64ELi4ELi64ELi4ELi4ELi64ELc84ELc84EKdS1_dEEvlllT_PT11_llS4_llS2_PT12_llPT13_lli
	.p2align	8
	.type	_ZN12_GLOBAL__N_127rocblas_gemm_batched_kernelIdLi16ELi16ELi64ELi64ELi4ELi64ELi4ELi4ELi64ELc84ELc84EKdS1_dEEvlllT_PT11_llS4_llS2_PT12_llPT13_lli,@function
_ZN12_GLOBAL__N_127rocblas_gemm_batched_kernelIdLi16ELi16ELi64ELi64ELi4ELi64ELi4ELi4ELi64ELc84ELc84EKdS1_dEEvlllT_PT11_llS4_llS2_PT12_llPT13_lli: ; @_ZN12_GLOBAL__N_127rocblas_gemm_batched_kernelIdLi16ELi16ELi64ELi64ELi4ELi64ELi4ELi4ELi64ELc84ELc84EKdS1_dEEvlllT_PT11_llS4_llS2_PT12_llPT13_lli
; %bb.0:
	s_load_dwordx16 s[12:27], s[4:5], 0x10
	s_mov_b32 s0, s7
	v_mov_b32_e32 v3, 0
	s_ashr_i32 s7, s6, 31
	s_ashr_i32 s1, s0, 31
	s_lshl_b64 s[10:11], s[6:7], 6
	s_lshl_b64 s[28:29], s[0:1], 6
	s_waitcnt lgkmcnt(0)
	v_cmp_lt_i64_e64 s2, s[12:13], 1
	s_and_b32 vcc_lo, exec_lo, s2
	s_cbranch_vccnz .LBB63_3
; %bb.1:
	v_lshl_add_u32 v5, v1, 4, v0
	v_and_b32_e32 v6, 3, v0
	s_mul_i32 s0, s27, s8
	s_mul_hi_u32 s1, s26, s8
	v_mov_b32_e32 v12, 0
	v_lshrrev_b32_e32 v2, 2, v5
	v_and_b32_e32 v7, 63, v5
	v_lshlrev_b32_e32 v8, 3, v6
	s_add_i32 s1, s1, s0
	v_lshrrev_b32_e32 v9, 6, v5
	v_mad_u64_u32 v[3:4], null, s24, v6, v[2:3]
	v_lshlrev_b32_e32 v5, 3, v7
	v_add_co_u32 v7, s0, s10, v7
	v_lshl_or_b32 v8, v2, 5, v8
	v_add_co_ci_u32_e64 v10, null, s11, 0, s0
	v_mov_b32_e32 v2, v4
	v_lshl_or_b32 v39, v9, 9, v5
	v_add_nc_u32_e32 v40, 0x800, v8
	v_mul_lo_u32 v8, s19, v7
	v_mul_lo_u32 v10, s18, v10
	v_mad_u64_u32 v[4:5], null, s25, v6, v[2:3]
	v_mad_u64_u32 v[5:6], null, s18, v7, 0
	s_mul_i32 s0, s26, s8
	v_add_co_u32 v2, vcc_lo, v3, s28
	s_lshl_b64 s[0:1], s[0:1], 3
	v_add_co_ci_u32_e64 v3, null, s29, v4, vcc_lo
	v_add3_u32 v6, v6, v10, v8
	s_add_u32 s2, s22, s0
	s_addc_u32 s3, s23, s1
	s_mul_i32 s0, s21, s8
	s_mul_hi_u32 s1, s20, s8
	v_lshlrev_b64 v[4:5], 3, v[5:6]
	s_add_i32 s1, s1, s0
	s_mul_i32 s0, s20, s8
	v_lshlrev_b64 v[2:3], 3, v[2:3]
	s_lshl_b64 s[0:1], s[0:1], 3
	v_lshlrev_b32_e32 v6, 3, v9
	v_add_co_u32 v4, vcc_lo, v4, s0
	v_add_co_ci_u32_e64 v5, null, s1, v5, vcc_lo
	v_add_co_u32 v34, vcc_lo, s2, v2
	v_add_co_ci_u32_e64 v35, null, s3, v3, vcc_lo
	;; [unrolled: 2-line block ×3, first 2 shown]
	v_mov_b32_e32 v2, 0
	v_add_co_u32 v36, vcc_lo, s16, v36
	v_mov_b32_e32 v4, 0
	v_mov_b32_e32 v6, 0
	;; [unrolled: 1-line block ×14, first 2 shown]
	v_lshlrev_b32_e32 v38, 3, v0
	v_lshl_add_u32 v41, v1, 5, 0x800
	v_mov_b32_e32 v3, 0
	v_mov_b32_e32 v5, 0
	v_mov_b32_e32 v7, 0
	v_mov_b32_e32 v9, 0
	v_mov_b32_e32 v11, 0
	v_mov_b32_e32 v13, 0
	v_mov_b32_e32 v15, 0
	v_mov_b32_e32 v19, 0
	v_mov_b32_e32 v17, 0
	v_mov_b32_e32 v21, 0
	v_mov_b32_e32 v23, 0
	v_mov_b32_e32 v29, 0
	v_mov_b32_e32 v25, 0
	v_mov_b32_e32 v27, 0
	v_mov_b32_e32 v31, 0
	v_mov_b32_e32 v33, 0
	v_add_co_ci_u32_e64 v37, null, s17, v37, vcc_lo
	s_lshl_b64 s[0:1], s[24:25], 5
	s_mov_b64 s[2:3], 0
.LBB63_2:                               ; =>This Inner Loop Header: Depth=1
	global_load_dwordx2 v[42:43], v[36:37], off
	global_load_dwordx2 v[44:45], v[34:35], off
	s_add_u32 s2, s2, 4
	s_addc_u32 s3, s3, 0
	v_add_co_u32 v34, vcc_lo, v34, s0
	v_cmp_lt_i64_e64 s6, s[2:3], s[12:13]
	v_add_co_ci_u32_e64 v35, null, s1, v35, vcc_lo
	v_add_co_u32 v36, vcc_lo, v36, 32
	v_add_co_ci_u32_e64 v37, null, 0, v37, vcc_lo
	s_and_b32 vcc_lo, exec_lo, s6
	s_waitcnt vmcnt(1)
	ds_write_b64 v39, v[42:43]
	s_waitcnt vmcnt(0)
	ds_write_b64 v40, v[44:45]
	s_waitcnt lgkmcnt(0)
	s_barrier
	buffer_gl0_inv
	ds_read_b128 v[42:45], v41
	ds_read2_b64 v[46:49], v38 offset1:16
	ds_read_b128 v[50:53], v41 offset:512
	ds_read_b128 v[54:57], v41 offset:16
	;; [unrolled: 1-line block ×3, first 2 shown]
	s_waitcnt lgkmcnt(3)
	v_fma_f64 v[74:75], v[48:49], v[42:43], v[30:31]
	s_waitcnt lgkmcnt(2)
	v_fma_f64 v[76:77], v[46:47], v[50:51], v[28:29]
	ds_read_b128 v[28:31], v41 offset:1024
	ds_read_b128 v[62:65], v41 offset:1040
	;; [unrolled: 1-line block ×4, first 2 shown]
	v_fma_f64 v[32:33], v[46:47], v[42:43], v[32:33]
	v_fma_f64 v[22:23], v[48:49], v[50:51], v[22:23]
	s_waitcnt lgkmcnt(3)
	v_fma_f64 v[18:19], v[46:47], v[28:29], v[18:19]
	v_fma_f64 v[14:15], v[48:49], v[28:29], v[14:15]
	s_waitcnt lgkmcnt(1)
	v_fma_f64 v[46:47], v[46:47], v[66:67], v[8:9]
	v_fma_f64 v[48:49], v[48:49], v[66:67], v[6:7]
	ds_read2_b64 v[6:9], v38 offset0:32 offset1:48
	s_waitcnt lgkmcnt(0)
	v_fma_f64 v[26:27], v[6:7], v[42:43], v[26:27]
	v_fma_f64 v[24:25], v[8:9], v[42:43], v[24:25]
	;; [unrolled: 1-line block ×8, first 2 shown]
	ds_read2_b64 v[2:5], v38 offset0:64 offset1:80
	ds_read2_b64 v[6:9], v38 offset0:96 offset1:112
	s_waitcnt lgkmcnt(1)
	v_fma_f64 v[32:33], v[2:3], v[44:45], v[32:33]
	v_fma_f64 v[50:51], v[4:5], v[44:45], v[74:75]
	s_waitcnt lgkmcnt(0)
	v_fma_f64 v[26:27], v[6:7], v[44:45], v[26:27]
	v_fma_f64 v[24:25], v[8:9], v[44:45], v[24:25]
	;; [unrolled: 1-line block ×10, first 2 shown]
	ds_read2_b64 v[2:5], v38 offset0:128 offset1:144
	v_fma_f64 v[20:21], v[6:7], v[52:53], v[20:21]
	v_fma_f64 v[16:17], v[8:9], v[52:53], v[16:17]
	;; [unrolled: 1-line block ×4, first 2 shown]
	s_waitcnt lgkmcnt(0)
	v_fma_f64 v[28:29], v[2:3], v[54:55], v[32:33]
	v_fma_f64 v[42:43], v[4:5], v[54:55], v[50:51]
	v_fma_f64 v[48:49], v[2:3], v[58:59], v[44:45]
	v_fma_f64 v[22:23], v[4:5], v[58:59], v[22:23]
	v_fma_f64 v[18:19], v[2:3], v[62:63], v[18:19]
	v_fma_f64 v[14:15], v[4:5], v[62:63], v[14:15]
	v_fma_f64 v[50:51], v[2:3], v[70:71], v[30:31]
	v_fma_f64 v[46:47], v[4:5], v[70:71], v[46:47]
	ds_read2_b64 v[2:5], v38 offset0:160 offset1:176
	s_waitcnt lgkmcnt(0)
	v_fma_f64 v[26:27], v[2:3], v[54:55], v[26:27]
	v_fma_f64 v[24:25], v[4:5], v[54:55], v[24:25]
	;; [unrolled: 1-line block ×8, first 2 shown]
	ds_read2_b64 v[2:5], v38 offset0:192 offset1:208
	s_waitcnt lgkmcnt(0)
	v_fma_f64 v[30:31], v[4:5], v[56:57], v[42:43]
	ds_read2_b64 v[42:45], v38 offset0:224 offset1:240
	v_fma_f64 v[32:33], v[2:3], v[56:57], v[28:29]
	v_fma_f64 v[28:29], v[2:3], v[60:61], v[48:49]
	;; [unrolled: 1-line block ×7, first 2 shown]
	s_waitcnt lgkmcnt(0)
	s_barrier
	buffer_gl0_inv
	v_fma_f64 v[26:27], v[42:43], v[56:57], v[26:27]
	v_fma_f64 v[24:25], v[44:45], v[56:57], v[24:25]
	;; [unrolled: 1-line block ×8, first 2 shown]
	s_cbranch_vccnz .LBB63_2
	s_branch .LBB63_4
.LBB63_3:
	v_mov_b32_e32 v32, 0
	v_mov_b32_e32 v30, 0
	;; [unrolled: 1-line block ×32, first 2 shown]
.LBB63_4:
	s_clause 0x1
	s_load_dwordx8 s[16:23], s[4:5], 0x50
	s_load_dwordx8 s[0:7], s[4:5], 0x70
	s_waitcnt lgkmcnt(0)
	v_cmp_neq_f64_e64 s6, s[16:17], 0
	s_mul_i32 s5, s5, s8
	s_mul_hi_u32 s7, s4, s8
	s_mul_i32 s4, s4, s8
	s_add_i32 s5, s7, s5
	v_add_co_u32 v34, s7, s28, v1
	v_add_co_ci_u32_e64 v37, null, s29, 0, s7
	v_add_co_u32 v0, s7, s10, v0
	v_add_co_ci_u32_e64 v1, null, s11, 0, s7
	v_mul_lo_u32 v35, v37, s2
	v_mul_lo_u32 v36, v34, s3
	s_lshl_b64 s[4:5], s[4:5], 3
	v_lshlrev_b64 v[0:1], 3, v[0:1]
	s_add_u32 s0, s0, s4
	s_addc_u32 s1, s1, s5
	s_and_b32 vcc_lo, exec_lo, s6
	s_cbranch_vccnz .LBB63_8
; %bb.5:
	v_mad_u64_u32 v[38:39], null, v34, s2, 0
	v_mul_f64 v[40:41], s[14:15], v[32:33]
	v_mul_f64 v[42:43], s[14:15], v[30:31]
	;; [unrolled: 1-line block ×6, first 2 shown]
	v_add3_u32 v39, v39, v36, v35
	v_mul_f64 v[52:53], s[14:15], v[20:21]
	s_lshl_b64 s[4:5], s[2:3], 7
	v_lshlrev_b64 v[38:39], 3, v[38:39]
	v_add_co_u32 v54, vcc_lo, s0, v38
	v_add_co_ci_u32_e64 v55, null, s1, v39, vcc_lo
	v_mul_f64 v[38:39], s[14:15], v[16:17]
	v_add_co_u32 v58, vcc_lo, v54, s4
	v_add_co_ci_u32_e64 v59, null, s5, v55, vcc_lo
	v_add_co_u32 v54, vcc_lo, v54, v0
	v_add_co_ci_u32_e64 v55, null, v55, v1, vcc_lo
	;; [unrolled: 2-line block ×3, first 2 shown]
	global_store_dwordx2 v[54:55], v[40:41], off
	global_store_dwordx2 v[54:55], v[42:43], off offset:128
	global_store_dwordx2 v[54:55], v[44:45], off offset:256
	;; [unrolled: 1-line block ×3, first 2 shown]
	global_store_dwordx2 v[56:57], v[48:49], off
	global_store_dwordx2 v[56:57], v[50:51], off offset:128
	global_store_dwordx2 v[56:57], v[52:53], off offset:256
	v_mul_f64 v[40:41], s[14:15], v[18:19]
	v_mul_f64 v[54:55], s[14:15], v[2:3]
	;; [unrolled: 1-line block ×7, first 2 shown]
	v_add_co_u32 v58, vcc_lo, v58, s4
	v_mul_f64 v[52:53], s[14:15], v[4:5]
	v_add_co_ci_u32_e64 v59, null, s5, v59, vcc_lo
	global_store_dwordx2 v[56:57], v[38:39], off offset:384
	v_add_co_u32 v56, vcc_lo, v58, s4
	v_add_co_ci_u32_e64 v57, null, s5, v59, vcc_lo
	v_add_co_u32 v38, vcc_lo, v58, v0
	v_add_co_ci_u32_e64 v39, null, v59, v1, vcc_lo
	v_add_co_u32 v56, vcc_lo, v56, v0
	v_add_co_ci_u32_e64 v57, null, v57, v1, vcc_lo
	global_store_dwordx2 v[38:39], v[40:41], off
	global_store_dwordx2 v[38:39], v[42:43], off offset:128
	global_store_dwordx2 v[38:39], v[44:45], off offset:256
	;; [unrolled: 1-line block ×3, first 2 shown]
	global_store_dwordx2 v[56:57], v[48:49], off
	global_store_dwordx2 v[56:57], v[50:51], off offset:128
	global_store_dwordx2 v[56:57], v[52:53], off offset:256
	;; [unrolled: 1-line block ×3, first 2 shown]
	s_cbranch_execnz .LBB63_7
.LBB63_6:
	v_mul_lo_u32 v39, v37, s20
	v_mul_lo_u32 v40, v34, s21
	v_mad_u64_u32 v[37:38], null, v34, s20, 0
	s_mul_i32 s5, s23, s8
	s_mul_hi_u32 s6, s22, s8
	s_mul_i32 s4, s22, s8
	s_add_i32 s5, s6, s5
	v_mad_u64_u32 v[41:42], null, v34, s2, 0
	v_add3_u32 v38, v38, v40, v39
	s_lshl_b64 s[4:5], s[4:5], 3
	s_add_u32 s4, s18, s4
	s_addc_u32 s5, s19, s5
	v_lshlrev_b64 v[37:38], 3, v[37:38]
	v_add3_u32 v42, v42, v36, v35
	s_lshl_b64 s[2:3], s[2:3], 7
	v_lshlrev_b64 v[34:35], 3, v[41:42]
	v_add_co_u32 v43, vcc_lo, s4, v37
	v_add_co_ci_u32_e64 v44, null, s5, v38, vcc_lo
	v_add_co_u32 v37, vcc_lo, v43, v0
	v_add_co_ci_u32_e64 v38, null, v44, v1, vcc_lo
	v_add_co_u32 v36, vcc_lo, s0, v34
	global_load_dwordx2 v[39:40], v[37:38], off
	s_waitcnt vmcnt(0)
	v_mul_f64 v[39:40], s[16:17], v[39:40]
	v_fma_f64 v[32:33], s[14:15], v[32:33], v[39:40]
	v_add_co_ci_u32_e64 v39, null, s1, v35, vcc_lo
	v_add_co_u32 v34, vcc_lo, v36, v0
	s_lshl_b64 s[0:1], s[20:21], 7
	v_add_co_ci_u32_e64 v35, null, v39, v1, vcc_lo
	global_store_dwordx2 v[34:35], v[32:33], off
	global_load_dwordx2 v[32:33], v[37:38], off offset:128
	s_waitcnt vmcnt(0)
	v_mul_f64 v[32:33], s[16:17], v[32:33]
	v_fma_f64 v[30:31], s[14:15], v[30:31], v[32:33]
	global_store_dwordx2 v[34:35], v[30:31], off offset:128
	global_load_dwordx2 v[30:31], v[37:38], off offset:256
	s_waitcnt vmcnt(0)
	v_mul_f64 v[30:31], s[16:17], v[30:31]
	v_fma_f64 v[26:27], s[14:15], v[26:27], v[30:31]
	v_add_co_u32 v30, vcc_lo, v43, s0
	v_add_co_ci_u32_e64 v31, null, s1, v44, vcc_lo
	global_store_dwordx2 v[34:35], v[26:27], off offset:256
	global_load_dwordx2 v[26:27], v[37:38], off offset:384
	s_waitcnt vmcnt(0)
	v_mul_f64 v[26:27], s[16:17], v[26:27]
	v_fma_f64 v[24:25], s[14:15], v[24:25], v[26:27]
	v_add_co_u32 v26, vcc_lo, v30, v0
	v_add_co_ci_u32_e64 v27, null, v31, v1, vcc_lo
	v_add_co_u32 v32, vcc_lo, v36, s2
	v_add_co_ci_u32_e64 v33, null, s3, v39, vcc_lo
	global_store_dwordx2 v[34:35], v[24:25], off offset:384
	global_load_dwordx2 v[24:25], v[26:27], off
	s_waitcnt vmcnt(0)
	v_mul_f64 v[24:25], s[16:17], v[24:25]
	v_fma_f64 v[24:25], s[14:15], v[28:29], v[24:25]
	v_add_co_u32 v28, vcc_lo, v32, v0
	v_add_co_ci_u32_e64 v29, null, v33, v1, vcc_lo
	global_store_dwordx2 v[28:29], v[24:25], off
	global_load_dwordx2 v[24:25], v[26:27], off offset:128
	s_waitcnt vmcnt(0)
	v_mul_f64 v[24:25], s[16:17], v[24:25]
	v_fma_f64 v[22:23], s[14:15], v[22:23], v[24:25]
	global_store_dwordx2 v[28:29], v[22:23], off offset:128
	global_load_dwordx2 v[22:23], v[26:27], off offset:256
	s_waitcnt vmcnt(0)
	v_mul_f64 v[22:23], s[16:17], v[22:23]
	v_fma_f64 v[20:21], s[14:15], v[20:21], v[22:23]
	v_add_co_u32 v22, vcc_lo, v30, s0
	v_add_co_ci_u32_e64 v23, null, s1, v31, vcc_lo
	global_store_dwordx2 v[28:29], v[20:21], off offset:256
	global_load_dwordx2 v[20:21], v[26:27], off offset:384
	s_waitcnt vmcnt(0)
	v_mul_f64 v[20:21], s[16:17], v[20:21]
	v_fma_f64 v[16:17], s[14:15], v[16:17], v[20:21]
	v_add_co_u32 v20, vcc_lo, v22, v0
	v_add_co_ci_u32_e64 v21, null, v23, v1, vcc_lo
	v_add_co_u32 v24, vcc_lo, v32, s2
	v_add_co_ci_u32_e64 v25, null, s3, v33, vcc_lo
	global_store_dwordx2 v[28:29], v[16:17], off offset:384
	global_load_dwordx2 v[16:17], v[20:21], off
	s_waitcnt vmcnt(0)
	v_mul_f64 v[16:17], s[16:17], v[16:17]
	v_fma_f64 v[16:17], s[14:15], v[18:19], v[16:17]
	v_add_co_u32 v18, vcc_lo, v24, v0
	v_add_co_ci_u32_e64 v19, null, v25, v1, vcc_lo
	global_store_dwordx2 v[18:19], v[16:17], off
	global_load_dwordx2 v[16:17], v[20:21], off offset:128
	s_waitcnt vmcnt(0)
	v_mul_f64 v[16:17], s[16:17], v[16:17]
	v_fma_f64 v[14:15], s[14:15], v[14:15], v[16:17]
	global_store_dwordx2 v[18:19], v[14:15], off offset:128
	global_load_dwordx2 v[14:15], v[20:21], off offset:256
	s_waitcnt vmcnt(0)
	v_mul_f64 v[14:15], s[16:17], v[14:15]
	v_fma_f64 v[12:13], s[14:15], v[12:13], v[14:15]
	global_store_dwordx2 v[18:19], v[12:13], off offset:256
	global_load_dwordx2 v[12:13], v[20:21], off offset:384
	s_waitcnt vmcnt(0)
	v_mul_f64 v[12:13], s[16:17], v[12:13]
	v_fma_f64 v[10:11], s[14:15], v[10:11], v[12:13]
	v_add_co_u32 v12, vcc_lo, v22, s0
	v_add_co_ci_u32_e64 v13, null, s1, v23, vcc_lo
	v_add_co_u32 v12, vcc_lo, v12, v0
	v_add_co_ci_u32_e64 v13, null, v13, v1, vcc_lo
	global_store_dwordx2 v[18:19], v[10:11], off offset:384
	global_load_dwordx2 v[10:11], v[12:13], off
	s_waitcnt vmcnt(0)
	v_mul_f64 v[10:11], s[16:17], v[10:11]
	v_fma_f64 v[8:9], s[14:15], v[8:9], v[10:11]
	v_add_co_u32 v10, vcc_lo, v24, s2
	v_add_co_ci_u32_e64 v11, null, s3, v25, vcc_lo
	v_add_co_u32 v0, vcc_lo, v10, v0
	v_add_co_ci_u32_e64 v1, null, v11, v1, vcc_lo
	global_store_dwordx2 v[0:1], v[8:9], off
	global_load_dwordx2 v[8:9], v[12:13], off offset:128
	s_waitcnt vmcnt(0)
	v_mul_f64 v[8:9], s[16:17], v[8:9]
	v_fma_f64 v[6:7], s[14:15], v[6:7], v[8:9]
	global_store_dwordx2 v[0:1], v[6:7], off offset:128
	global_load_dwordx2 v[6:7], v[12:13], off offset:256
	s_waitcnt vmcnt(0)
	v_mul_f64 v[6:7], s[16:17], v[6:7]
	v_fma_f64 v[4:5], s[14:15], v[4:5], v[6:7]
	global_store_dwordx2 v[0:1], v[4:5], off offset:256
	;; [unrolled: 5-line block ×3, first 2 shown]
.LBB63_7:
	s_endpgm
.LBB63_8:
	s_branch .LBB63_6
	.section	.rodata,"a",@progbits
	.p2align	6, 0x0
	.amdhsa_kernel _ZN12_GLOBAL__N_127rocblas_gemm_batched_kernelIdLi16ELi16ELi64ELi64ELi4ELi64ELi4ELi4ELi64ELc84ELc84EKdS1_dEEvlllT_PT11_llS4_llS2_PT12_llPT13_lli
		.amdhsa_group_segment_fixed_size 4096
		.amdhsa_private_segment_fixed_size 0
		.amdhsa_kernarg_size 140
		.amdhsa_user_sgpr_count 6
		.amdhsa_user_sgpr_private_segment_buffer 1
		.amdhsa_user_sgpr_dispatch_ptr 0
		.amdhsa_user_sgpr_queue_ptr 0
		.amdhsa_user_sgpr_kernarg_segment_ptr 1
		.amdhsa_user_sgpr_dispatch_id 0
		.amdhsa_user_sgpr_flat_scratch_init 0
		.amdhsa_user_sgpr_private_segment_size 0
		.amdhsa_wavefront_size32 1
		.amdhsa_uses_dynamic_stack 0
		.amdhsa_system_sgpr_private_segment_wavefront_offset 0
		.amdhsa_system_sgpr_workgroup_id_x 1
		.amdhsa_system_sgpr_workgroup_id_y 1
		.amdhsa_system_sgpr_workgroup_id_z 1
		.amdhsa_system_sgpr_workgroup_info 0
		.amdhsa_system_vgpr_workitem_id 1
		.amdhsa_next_free_vgpr 78
		.amdhsa_next_free_sgpr 30
		.amdhsa_reserve_vcc 1
		.amdhsa_reserve_flat_scratch 0
		.amdhsa_float_round_mode_32 0
		.amdhsa_float_round_mode_16_64 0
		.amdhsa_float_denorm_mode_32 3
		.amdhsa_float_denorm_mode_16_64 3
		.amdhsa_dx10_clamp 1
		.amdhsa_ieee_mode 1
		.amdhsa_fp16_overflow 0
		.amdhsa_workgroup_processor_mode 1
		.amdhsa_memory_ordered 1
		.amdhsa_forward_progress 1
		.amdhsa_shared_vgpr_count 0
		.amdhsa_exception_fp_ieee_invalid_op 0
		.amdhsa_exception_fp_denorm_src 0
		.amdhsa_exception_fp_ieee_div_zero 0
		.amdhsa_exception_fp_ieee_overflow 0
		.amdhsa_exception_fp_ieee_underflow 0
		.amdhsa_exception_fp_ieee_inexact 0
		.amdhsa_exception_int_div_zero 0
	.end_amdhsa_kernel
	.section	.text._ZN12_GLOBAL__N_127rocblas_gemm_batched_kernelIdLi16ELi16ELi64ELi64ELi4ELi64ELi4ELi4ELi64ELc84ELc84EKdS1_dEEvlllT_PT11_llS4_llS2_PT12_llPT13_lli,"axG",@progbits,_ZN12_GLOBAL__N_127rocblas_gemm_batched_kernelIdLi16ELi16ELi64ELi64ELi4ELi64ELi4ELi4ELi64ELc84ELc84EKdS1_dEEvlllT_PT11_llS4_llS2_PT12_llPT13_lli,comdat
.Lfunc_end63:
	.size	_ZN12_GLOBAL__N_127rocblas_gemm_batched_kernelIdLi16ELi16ELi64ELi64ELi4ELi64ELi4ELi4ELi64ELc84ELc84EKdS1_dEEvlllT_PT11_llS4_llS2_PT12_llPT13_lli, .Lfunc_end63-_ZN12_GLOBAL__N_127rocblas_gemm_batched_kernelIdLi16ELi16ELi64ELi64ELi4ELi64ELi4ELi4ELi64ELc84ELc84EKdS1_dEEvlllT_PT11_llS4_llS2_PT12_llPT13_lli
                                        ; -- End function
	.set _ZN12_GLOBAL__N_127rocblas_gemm_batched_kernelIdLi16ELi16ELi64ELi64ELi4ELi64ELi4ELi4ELi64ELc84ELc84EKdS1_dEEvlllT_PT11_llS4_llS2_PT12_llPT13_lli.num_vgpr, 78
	.set _ZN12_GLOBAL__N_127rocblas_gemm_batched_kernelIdLi16ELi16ELi64ELi64ELi4ELi64ELi4ELi4ELi64ELc84ELc84EKdS1_dEEvlllT_PT11_llS4_llS2_PT12_llPT13_lli.num_agpr, 0
	.set _ZN12_GLOBAL__N_127rocblas_gemm_batched_kernelIdLi16ELi16ELi64ELi64ELi4ELi64ELi4ELi4ELi64ELc84ELc84EKdS1_dEEvlllT_PT11_llS4_llS2_PT12_llPT13_lli.numbered_sgpr, 30
	.set _ZN12_GLOBAL__N_127rocblas_gemm_batched_kernelIdLi16ELi16ELi64ELi64ELi4ELi64ELi4ELi4ELi64ELc84ELc84EKdS1_dEEvlllT_PT11_llS4_llS2_PT12_llPT13_lli.num_named_barrier, 0
	.set _ZN12_GLOBAL__N_127rocblas_gemm_batched_kernelIdLi16ELi16ELi64ELi64ELi4ELi64ELi4ELi4ELi64ELc84ELc84EKdS1_dEEvlllT_PT11_llS4_llS2_PT12_llPT13_lli.private_seg_size, 0
	.set _ZN12_GLOBAL__N_127rocblas_gemm_batched_kernelIdLi16ELi16ELi64ELi64ELi4ELi64ELi4ELi4ELi64ELc84ELc84EKdS1_dEEvlllT_PT11_llS4_llS2_PT12_llPT13_lli.uses_vcc, 1
	.set _ZN12_GLOBAL__N_127rocblas_gemm_batched_kernelIdLi16ELi16ELi64ELi64ELi4ELi64ELi4ELi4ELi64ELc84ELc84EKdS1_dEEvlllT_PT11_llS4_llS2_PT12_llPT13_lli.uses_flat_scratch, 0
	.set _ZN12_GLOBAL__N_127rocblas_gemm_batched_kernelIdLi16ELi16ELi64ELi64ELi4ELi64ELi4ELi4ELi64ELc84ELc84EKdS1_dEEvlllT_PT11_llS4_llS2_PT12_llPT13_lli.has_dyn_sized_stack, 0
	.set _ZN12_GLOBAL__N_127rocblas_gemm_batched_kernelIdLi16ELi16ELi64ELi64ELi4ELi64ELi4ELi4ELi64ELc84ELc84EKdS1_dEEvlllT_PT11_llS4_llS2_PT12_llPT13_lli.has_recursion, 0
	.set _ZN12_GLOBAL__N_127rocblas_gemm_batched_kernelIdLi16ELi16ELi64ELi64ELi4ELi64ELi4ELi4ELi64ELc84ELc84EKdS1_dEEvlllT_PT11_llS4_llS2_PT12_llPT13_lli.has_indirect_call, 0
	.section	.AMDGPU.csdata,"",@progbits
; Kernel info:
; codeLenInByte = 2896
; TotalNumSgprs: 32
; NumVgprs: 78
; ScratchSize: 0
; MemoryBound: 0
; FloatMode: 240
; IeeeMode: 1
; LDSByteSize: 4096 bytes/workgroup (compile time only)
; SGPRBlocks: 0
; VGPRBlocks: 9
; NumSGPRsForWavesPerEU: 32
; NumVGPRsForWavesPerEU: 78
; Occupancy: 12
; WaveLimiterHint : 1
; COMPUTE_PGM_RSRC2:SCRATCH_EN: 0
; COMPUTE_PGM_RSRC2:USER_SGPR: 6
; COMPUTE_PGM_RSRC2:TRAP_HANDLER: 0
; COMPUTE_PGM_RSRC2:TGID_X_EN: 1
; COMPUTE_PGM_RSRC2:TGID_Y_EN: 1
; COMPUTE_PGM_RSRC2:TGID_Z_EN: 1
; COMPUTE_PGM_RSRC2:TIDIG_COMP_CNT: 1
	.section	.text._ZN12_GLOBAL__N_127rocblas_gemm_batched_kernelIdLi16ELi16ELi64ELi64ELi4ELi64ELi4ELi4ELi64ELc67ELc67EKdS1_dEEvlllT_PT11_llS4_llS2_PT12_llPT13_lli,"axG",@progbits,_ZN12_GLOBAL__N_127rocblas_gemm_batched_kernelIdLi16ELi16ELi64ELi64ELi4ELi64ELi4ELi4ELi64ELc67ELc67EKdS1_dEEvlllT_PT11_llS4_llS2_PT12_llPT13_lli,comdat
	.globl	_ZN12_GLOBAL__N_127rocblas_gemm_batched_kernelIdLi16ELi16ELi64ELi64ELi4ELi64ELi4ELi4ELi64ELc67ELc67EKdS1_dEEvlllT_PT11_llS4_llS2_PT12_llPT13_lli ; -- Begin function _ZN12_GLOBAL__N_127rocblas_gemm_batched_kernelIdLi16ELi16ELi64ELi64ELi4ELi64ELi4ELi4ELi64ELc67ELc67EKdS1_dEEvlllT_PT11_llS4_llS2_PT12_llPT13_lli
	.p2align	8
	.type	_ZN12_GLOBAL__N_127rocblas_gemm_batched_kernelIdLi16ELi16ELi64ELi64ELi4ELi64ELi4ELi4ELi64ELc67ELc67EKdS1_dEEvlllT_PT11_llS4_llS2_PT12_llPT13_lli,@function
_ZN12_GLOBAL__N_127rocblas_gemm_batched_kernelIdLi16ELi16ELi64ELi64ELi4ELi64ELi4ELi4ELi64ELc67ELc67EKdS1_dEEvlllT_PT11_llS4_llS2_PT12_llPT13_lli: ; @_ZN12_GLOBAL__N_127rocblas_gemm_batched_kernelIdLi16ELi16ELi64ELi64ELi4ELi64ELi4ELi4ELi64ELc67ELc67EKdS1_dEEvlllT_PT11_llS4_llS2_PT12_llPT13_lli
; %bb.0:
	s_load_dwordx16 s[12:27], s[4:5], 0x10
	s_mov_b32 s0, s7
	v_mov_b32_e32 v3, 0
	s_ashr_i32 s7, s6, 31
	s_ashr_i32 s1, s0, 31
	s_lshl_b64 s[10:11], s[6:7], 6
	s_lshl_b64 s[28:29], s[0:1], 6
	s_waitcnt lgkmcnt(0)
	v_cmp_lt_i64_e64 s2, s[12:13], 1
	s_and_b32 vcc_lo, exec_lo, s2
	s_cbranch_vccnz .LBB64_3
; %bb.1:
	v_lshl_add_u32 v5, v1, 4, v0
	v_and_b32_e32 v6, 3, v0
	s_mul_i32 s0, s27, s8
	s_mul_hi_u32 s1, s26, s8
	v_mov_b32_e32 v12, 0
	v_lshrrev_b32_e32 v2, 2, v5
	v_and_b32_e32 v7, 63, v5
	v_lshlrev_b32_e32 v8, 3, v6
	s_add_i32 s1, s1, s0
	v_lshrrev_b32_e32 v9, 6, v5
	v_mad_u64_u32 v[3:4], null, s24, v6, v[2:3]
	v_lshlrev_b32_e32 v5, 3, v7
	v_add_co_u32 v7, s0, s10, v7
	v_lshl_or_b32 v8, v2, 5, v8
	v_add_co_ci_u32_e64 v10, null, s11, 0, s0
	v_mov_b32_e32 v2, v4
	v_lshl_or_b32 v39, v9, 9, v5
	v_add_nc_u32_e32 v40, 0x800, v8
	v_mul_lo_u32 v8, s19, v7
	v_mul_lo_u32 v10, s18, v10
	v_mad_u64_u32 v[4:5], null, s25, v6, v[2:3]
	v_mad_u64_u32 v[5:6], null, s18, v7, 0
	s_mul_i32 s0, s26, s8
	v_add_co_u32 v2, vcc_lo, v3, s28
	s_lshl_b64 s[0:1], s[0:1], 3
	v_add_co_ci_u32_e64 v3, null, s29, v4, vcc_lo
	v_add3_u32 v6, v6, v10, v8
	s_add_u32 s2, s22, s0
	s_addc_u32 s3, s23, s1
	s_mul_i32 s0, s21, s8
	s_mul_hi_u32 s1, s20, s8
	v_lshlrev_b64 v[4:5], 3, v[5:6]
	s_add_i32 s1, s1, s0
	s_mul_i32 s0, s20, s8
	v_lshlrev_b64 v[2:3], 3, v[2:3]
	s_lshl_b64 s[0:1], s[0:1], 3
	v_lshlrev_b32_e32 v6, 3, v9
	v_add_co_u32 v4, vcc_lo, v4, s0
	v_add_co_ci_u32_e64 v5, null, s1, v5, vcc_lo
	v_add_co_u32 v34, vcc_lo, s2, v2
	v_add_co_ci_u32_e64 v35, null, s3, v3, vcc_lo
	;; [unrolled: 2-line block ×3, first 2 shown]
	v_mov_b32_e32 v2, 0
	v_add_co_u32 v36, vcc_lo, s16, v36
	v_mov_b32_e32 v4, 0
	v_mov_b32_e32 v6, 0
	;; [unrolled: 1-line block ×14, first 2 shown]
	v_lshlrev_b32_e32 v38, 3, v0
	v_lshl_add_u32 v41, v1, 5, 0x800
	v_mov_b32_e32 v3, 0
	v_mov_b32_e32 v5, 0
	;; [unrolled: 1-line block ×16, first 2 shown]
	v_add_co_ci_u32_e64 v37, null, s17, v37, vcc_lo
	s_lshl_b64 s[0:1], s[24:25], 5
	s_mov_b64 s[2:3], 0
.LBB64_2:                               ; =>This Inner Loop Header: Depth=1
	global_load_dwordx2 v[42:43], v[36:37], off
	global_load_dwordx2 v[44:45], v[34:35], off
	s_add_u32 s2, s2, 4
	s_addc_u32 s3, s3, 0
	v_add_co_u32 v34, vcc_lo, v34, s0
	v_cmp_lt_i64_e64 s6, s[2:3], s[12:13]
	v_add_co_ci_u32_e64 v35, null, s1, v35, vcc_lo
	v_add_co_u32 v36, vcc_lo, v36, 32
	v_add_co_ci_u32_e64 v37, null, 0, v37, vcc_lo
	s_and_b32 vcc_lo, exec_lo, s6
	s_waitcnt vmcnt(1)
	ds_write_b64 v39, v[42:43]
	s_waitcnt vmcnt(0)
	ds_write_b64 v40, v[44:45]
	s_waitcnt lgkmcnt(0)
	s_barrier
	buffer_gl0_inv
	ds_read_b128 v[42:45], v41
	ds_read2_b64 v[46:49], v38 offset1:16
	ds_read_b128 v[50:53], v41 offset:512
	ds_read_b128 v[54:57], v41 offset:16
	;; [unrolled: 1-line block ×3, first 2 shown]
	s_waitcnt lgkmcnt(3)
	v_fma_f64 v[74:75], v[48:49], v[42:43], v[30:31]
	s_waitcnt lgkmcnt(2)
	v_fma_f64 v[76:77], v[46:47], v[50:51], v[28:29]
	ds_read_b128 v[28:31], v41 offset:1024
	ds_read_b128 v[62:65], v41 offset:1040
	;; [unrolled: 1-line block ×4, first 2 shown]
	v_fma_f64 v[32:33], v[46:47], v[42:43], v[32:33]
	v_fma_f64 v[22:23], v[48:49], v[50:51], v[22:23]
	s_waitcnt lgkmcnt(3)
	v_fma_f64 v[18:19], v[46:47], v[28:29], v[18:19]
	v_fma_f64 v[14:15], v[48:49], v[28:29], v[14:15]
	s_waitcnt lgkmcnt(1)
	v_fma_f64 v[46:47], v[46:47], v[66:67], v[8:9]
	v_fma_f64 v[48:49], v[48:49], v[66:67], v[6:7]
	ds_read2_b64 v[6:9], v38 offset0:32 offset1:48
	s_waitcnt lgkmcnt(0)
	v_fma_f64 v[26:27], v[6:7], v[42:43], v[26:27]
	v_fma_f64 v[24:25], v[8:9], v[42:43], v[24:25]
	;; [unrolled: 1-line block ×8, first 2 shown]
	ds_read2_b64 v[2:5], v38 offset0:64 offset1:80
	ds_read2_b64 v[6:9], v38 offset0:96 offset1:112
	s_waitcnt lgkmcnt(1)
	v_fma_f64 v[32:33], v[2:3], v[44:45], v[32:33]
	v_fma_f64 v[50:51], v[4:5], v[44:45], v[74:75]
	s_waitcnt lgkmcnt(0)
	v_fma_f64 v[26:27], v[6:7], v[44:45], v[26:27]
	v_fma_f64 v[24:25], v[8:9], v[44:45], v[24:25]
	;; [unrolled: 1-line block ×10, first 2 shown]
	ds_read2_b64 v[2:5], v38 offset0:128 offset1:144
	v_fma_f64 v[20:21], v[6:7], v[52:53], v[20:21]
	v_fma_f64 v[16:17], v[8:9], v[52:53], v[16:17]
	;; [unrolled: 1-line block ×4, first 2 shown]
	s_waitcnt lgkmcnt(0)
	v_fma_f64 v[28:29], v[2:3], v[54:55], v[32:33]
	v_fma_f64 v[42:43], v[4:5], v[54:55], v[50:51]
	;; [unrolled: 1-line block ×8, first 2 shown]
	ds_read2_b64 v[2:5], v38 offset0:160 offset1:176
	s_waitcnt lgkmcnt(0)
	v_fma_f64 v[26:27], v[2:3], v[54:55], v[26:27]
	v_fma_f64 v[24:25], v[4:5], v[54:55], v[24:25]
	;; [unrolled: 1-line block ×8, first 2 shown]
	ds_read2_b64 v[2:5], v38 offset0:192 offset1:208
	s_waitcnt lgkmcnt(0)
	v_fma_f64 v[30:31], v[4:5], v[56:57], v[42:43]
	ds_read2_b64 v[42:45], v38 offset0:224 offset1:240
	v_fma_f64 v[32:33], v[2:3], v[56:57], v[28:29]
	v_fma_f64 v[28:29], v[2:3], v[60:61], v[48:49]
	;; [unrolled: 1-line block ×7, first 2 shown]
	s_waitcnt lgkmcnt(0)
	s_barrier
	buffer_gl0_inv
	v_fma_f64 v[26:27], v[42:43], v[56:57], v[26:27]
	v_fma_f64 v[24:25], v[44:45], v[56:57], v[24:25]
	;; [unrolled: 1-line block ×8, first 2 shown]
	s_cbranch_vccnz .LBB64_2
	s_branch .LBB64_4
.LBB64_3:
	v_mov_b32_e32 v32, 0
	v_mov_b32_e32 v30, 0
	;; [unrolled: 1-line block ×32, first 2 shown]
.LBB64_4:
	s_clause 0x1
	s_load_dwordx8 s[16:23], s[4:5], 0x50
	s_load_dwordx8 s[0:7], s[4:5], 0x70
	s_waitcnt lgkmcnt(0)
	v_cmp_neq_f64_e64 s6, s[16:17], 0
	s_mul_i32 s5, s5, s8
	s_mul_hi_u32 s7, s4, s8
	s_mul_i32 s4, s4, s8
	s_add_i32 s5, s7, s5
	v_add_co_u32 v34, s7, s28, v1
	v_add_co_ci_u32_e64 v37, null, s29, 0, s7
	v_add_co_u32 v0, s7, s10, v0
	v_add_co_ci_u32_e64 v1, null, s11, 0, s7
	v_mul_lo_u32 v35, v37, s2
	v_mul_lo_u32 v36, v34, s3
	s_lshl_b64 s[4:5], s[4:5], 3
	v_lshlrev_b64 v[0:1], 3, v[0:1]
	s_add_u32 s0, s0, s4
	s_addc_u32 s1, s1, s5
	s_and_b32 vcc_lo, exec_lo, s6
	s_cbranch_vccnz .LBB64_8
; %bb.5:
	v_mad_u64_u32 v[38:39], null, v34, s2, 0
	v_mul_f64 v[40:41], s[14:15], v[32:33]
	v_mul_f64 v[42:43], s[14:15], v[30:31]
	v_mul_f64 v[44:45], s[14:15], v[26:27]
	v_mul_f64 v[46:47], s[14:15], v[24:25]
	v_mul_f64 v[48:49], s[14:15], v[28:29]
	v_mul_f64 v[50:51], s[14:15], v[22:23]
	v_add3_u32 v39, v39, v36, v35
	v_mul_f64 v[52:53], s[14:15], v[20:21]
	s_lshl_b64 s[4:5], s[2:3], 7
	v_lshlrev_b64 v[38:39], 3, v[38:39]
	v_add_co_u32 v54, vcc_lo, s0, v38
	v_add_co_ci_u32_e64 v55, null, s1, v39, vcc_lo
	v_mul_f64 v[38:39], s[14:15], v[16:17]
	v_add_co_u32 v58, vcc_lo, v54, s4
	v_add_co_ci_u32_e64 v59, null, s5, v55, vcc_lo
	v_add_co_u32 v54, vcc_lo, v54, v0
	v_add_co_ci_u32_e64 v55, null, v55, v1, vcc_lo
	;; [unrolled: 2-line block ×3, first 2 shown]
	global_store_dwordx2 v[54:55], v[40:41], off
	global_store_dwordx2 v[54:55], v[42:43], off offset:128
	global_store_dwordx2 v[54:55], v[44:45], off offset:256
	;; [unrolled: 1-line block ×3, first 2 shown]
	global_store_dwordx2 v[56:57], v[48:49], off
	global_store_dwordx2 v[56:57], v[50:51], off offset:128
	global_store_dwordx2 v[56:57], v[52:53], off offset:256
	v_mul_f64 v[40:41], s[14:15], v[18:19]
	v_mul_f64 v[54:55], s[14:15], v[2:3]
	;; [unrolled: 1-line block ×7, first 2 shown]
	v_add_co_u32 v58, vcc_lo, v58, s4
	v_mul_f64 v[52:53], s[14:15], v[4:5]
	v_add_co_ci_u32_e64 v59, null, s5, v59, vcc_lo
	global_store_dwordx2 v[56:57], v[38:39], off offset:384
	v_add_co_u32 v56, vcc_lo, v58, s4
	v_add_co_ci_u32_e64 v57, null, s5, v59, vcc_lo
	v_add_co_u32 v38, vcc_lo, v58, v0
	v_add_co_ci_u32_e64 v39, null, v59, v1, vcc_lo
	;; [unrolled: 2-line block ×3, first 2 shown]
	global_store_dwordx2 v[38:39], v[40:41], off
	global_store_dwordx2 v[38:39], v[42:43], off offset:128
	global_store_dwordx2 v[38:39], v[44:45], off offset:256
	;; [unrolled: 1-line block ×3, first 2 shown]
	global_store_dwordx2 v[56:57], v[48:49], off
	global_store_dwordx2 v[56:57], v[50:51], off offset:128
	global_store_dwordx2 v[56:57], v[52:53], off offset:256
	global_store_dwordx2 v[56:57], v[54:55], off offset:384
	s_cbranch_execnz .LBB64_7
.LBB64_6:
	v_mul_lo_u32 v39, v37, s20
	v_mul_lo_u32 v40, v34, s21
	v_mad_u64_u32 v[37:38], null, v34, s20, 0
	s_mul_i32 s5, s23, s8
	s_mul_hi_u32 s6, s22, s8
	s_mul_i32 s4, s22, s8
	s_add_i32 s5, s6, s5
	v_mad_u64_u32 v[41:42], null, v34, s2, 0
	v_add3_u32 v38, v38, v40, v39
	s_lshl_b64 s[4:5], s[4:5], 3
	s_add_u32 s4, s18, s4
	s_addc_u32 s5, s19, s5
	v_lshlrev_b64 v[37:38], 3, v[37:38]
	v_add3_u32 v42, v42, v36, v35
	s_lshl_b64 s[2:3], s[2:3], 7
	v_lshlrev_b64 v[34:35], 3, v[41:42]
	v_add_co_u32 v43, vcc_lo, s4, v37
	v_add_co_ci_u32_e64 v44, null, s5, v38, vcc_lo
	v_add_co_u32 v37, vcc_lo, v43, v0
	v_add_co_ci_u32_e64 v38, null, v44, v1, vcc_lo
	v_add_co_u32 v36, vcc_lo, s0, v34
	global_load_dwordx2 v[39:40], v[37:38], off
	s_waitcnt vmcnt(0)
	v_mul_f64 v[39:40], s[16:17], v[39:40]
	v_fma_f64 v[32:33], s[14:15], v[32:33], v[39:40]
	v_add_co_ci_u32_e64 v39, null, s1, v35, vcc_lo
	v_add_co_u32 v34, vcc_lo, v36, v0
	s_lshl_b64 s[0:1], s[20:21], 7
	v_add_co_ci_u32_e64 v35, null, v39, v1, vcc_lo
	global_store_dwordx2 v[34:35], v[32:33], off
	global_load_dwordx2 v[32:33], v[37:38], off offset:128
	s_waitcnt vmcnt(0)
	v_mul_f64 v[32:33], s[16:17], v[32:33]
	v_fma_f64 v[30:31], s[14:15], v[30:31], v[32:33]
	global_store_dwordx2 v[34:35], v[30:31], off offset:128
	global_load_dwordx2 v[30:31], v[37:38], off offset:256
	s_waitcnt vmcnt(0)
	v_mul_f64 v[30:31], s[16:17], v[30:31]
	v_fma_f64 v[26:27], s[14:15], v[26:27], v[30:31]
	v_add_co_u32 v30, vcc_lo, v43, s0
	v_add_co_ci_u32_e64 v31, null, s1, v44, vcc_lo
	global_store_dwordx2 v[34:35], v[26:27], off offset:256
	global_load_dwordx2 v[26:27], v[37:38], off offset:384
	s_waitcnt vmcnt(0)
	v_mul_f64 v[26:27], s[16:17], v[26:27]
	v_fma_f64 v[24:25], s[14:15], v[24:25], v[26:27]
	v_add_co_u32 v26, vcc_lo, v30, v0
	v_add_co_ci_u32_e64 v27, null, v31, v1, vcc_lo
	v_add_co_u32 v32, vcc_lo, v36, s2
	v_add_co_ci_u32_e64 v33, null, s3, v39, vcc_lo
	global_store_dwordx2 v[34:35], v[24:25], off offset:384
	global_load_dwordx2 v[24:25], v[26:27], off
	s_waitcnt vmcnt(0)
	v_mul_f64 v[24:25], s[16:17], v[24:25]
	v_fma_f64 v[24:25], s[14:15], v[28:29], v[24:25]
	v_add_co_u32 v28, vcc_lo, v32, v0
	v_add_co_ci_u32_e64 v29, null, v33, v1, vcc_lo
	global_store_dwordx2 v[28:29], v[24:25], off
	global_load_dwordx2 v[24:25], v[26:27], off offset:128
	s_waitcnt vmcnt(0)
	v_mul_f64 v[24:25], s[16:17], v[24:25]
	v_fma_f64 v[22:23], s[14:15], v[22:23], v[24:25]
	global_store_dwordx2 v[28:29], v[22:23], off offset:128
	global_load_dwordx2 v[22:23], v[26:27], off offset:256
	s_waitcnt vmcnt(0)
	v_mul_f64 v[22:23], s[16:17], v[22:23]
	v_fma_f64 v[20:21], s[14:15], v[20:21], v[22:23]
	v_add_co_u32 v22, vcc_lo, v30, s0
	v_add_co_ci_u32_e64 v23, null, s1, v31, vcc_lo
	global_store_dwordx2 v[28:29], v[20:21], off offset:256
	global_load_dwordx2 v[20:21], v[26:27], off offset:384
	s_waitcnt vmcnt(0)
	v_mul_f64 v[20:21], s[16:17], v[20:21]
	v_fma_f64 v[16:17], s[14:15], v[16:17], v[20:21]
	v_add_co_u32 v20, vcc_lo, v22, v0
	v_add_co_ci_u32_e64 v21, null, v23, v1, vcc_lo
	v_add_co_u32 v24, vcc_lo, v32, s2
	v_add_co_ci_u32_e64 v25, null, s3, v33, vcc_lo
	global_store_dwordx2 v[28:29], v[16:17], off offset:384
	global_load_dwordx2 v[16:17], v[20:21], off
	s_waitcnt vmcnt(0)
	v_mul_f64 v[16:17], s[16:17], v[16:17]
	v_fma_f64 v[16:17], s[14:15], v[18:19], v[16:17]
	v_add_co_u32 v18, vcc_lo, v24, v0
	v_add_co_ci_u32_e64 v19, null, v25, v1, vcc_lo
	global_store_dwordx2 v[18:19], v[16:17], off
	global_load_dwordx2 v[16:17], v[20:21], off offset:128
	s_waitcnt vmcnt(0)
	v_mul_f64 v[16:17], s[16:17], v[16:17]
	v_fma_f64 v[14:15], s[14:15], v[14:15], v[16:17]
	global_store_dwordx2 v[18:19], v[14:15], off offset:128
	global_load_dwordx2 v[14:15], v[20:21], off offset:256
	s_waitcnt vmcnt(0)
	v_mul_f64 v[14:15], s[16:17], v[14:15]
	v_fma_f64 v[12:13], s[14:15], v[12:13], v[14:15]
	global_store_dwordx2 v[18:19], v[12:13], off offset:256
	global_load_dwordx2 v[12:13], v[20:21], off offset:384
	s_waitcnt vmcnt(0)
	v_mul_f64 v[12:13], s[16:17], v[12:13]
	v_fma_f64 v[10:11], s[14:15], v[10:11], v[12:13]
	v_add_co_u32 v12, vcc_lo, v22, s0
	v_add_co_ci_u32_e64 v13, null, s1, v23, vcc_lo
	v_add_co_u32 v12, vcc_lo, v12, v0
	v_add_co_ci_u32_e64 v13, null, v13, v1, vcc_lo
	global_store_dwordx2 v[18:19], v[10:11], off offset:384
	global_load_dwordx2 v[10:11], v[12:13], off
	s_waitcnt vmcnt(0)
	v_mul_f64 v[10:11], s[16:17], v[10:11]
	v_fma_f64 v[8:9], s[14:15], v[8:9], v[10:11]
	v_add_co_u32 v10, vcc_lo, v24, s2
	v_add_co_ci_u32_e64 v11, null, s3, v25, vcc_lo
	v_add_co_u32 v0, vcc_lo, v10, v0
	v_add_co_ci_u32_e64 v1, null, v11, v1, vcc_lo
	global_store_dwordx2 v[0:1], v[8:9], off
	global_load_dwordx2 v[8:9], v[12:13], off offset:128
	s_waitcnt vmcnt(0)
	v_mul_f64 v[8:9], s[16:17], v[8:9]
	v_fma_f64 v[6:7], s[14:15], v[6:7], v[8:9]
	global_store_dwordx2 v[0:1], v[6:7], off offset:128
	global_load_dwordx2 v[6:7], v[12:13], off offset:256
	s_waitcnt vmcnt(0)
	v_mul_f64 v[6:7], s[16:17], v[6:7]
	v_fma_f64 v[4:5], s[14:15], v[4:5], v[6:7]
	global_store_dwordx2 v[0:1], v[4:5], off offset:256
	;; [unrolled: 5-line block ×3, first 2 shown]
.LBB64_7:
	s_endpgm
.LBB64_8:
	s_branch .LBB64_6
	.section	.rodata,"a",@progbits
	.p2align	6, 0x0
	.amdhsa_kernel _ZN12_GLOBAL__N_127rocblas_gemm_batched_kernelIdLi16ELi16ELi64ELi64ELi4ELi64ELi4ELi4ELi64ELc67ELc67EKdS1_dEEvlllT_PT11_llS4_llS2_PT12_llPT13_lli
		.amdhsa_group_segment_fixed_size 4096
		.amdhsa_private_segment_fixed_size 0
		.amdhsa_kernarg_size 140
		.amdhsa_user_sgpr_count 6
		.amdhsa_user_sgpr_private_segment_buffer 1
		.amdhsa_user_sgpr_dispatch_ptr 0
		.amdhsa_user_sgpr_queue_ptr 0
		.amdhsa_user_sgpr_kernarg_segment_ptr 1
		.amdhsa_user_sgpr_dispatch_id 0
		.amdhsa_user_sgpr_flat_scratch_init 0
		.amdhsa_user_sgpr_private_segment_size 0
		.amdhsa_wavefront_size32 1
		.amdhsa_uses_dynamic_stack 0
		.amdhsa_system_sgpr_private_segment_wavefront_offset 0
		.amdhsa_system_sgpr_workgroup_id_x 1
		.amdhsa_system_sgpr_workgroup_id_y 1
		.amdhsa_system_sgpr_workgroup_id_z 1
		.amdhsa_system_sgpr_workgroup_info 0
		.amdhsa_system_vgpr_workitem_id 1
		.amdhsa_next_free_vgpr 78
		.amdhsa_next_free_sgpr 30
		.amdhsa_reserve_vcc 1
		.amdhsa_reserve_flat_scratch 0
		.amdhsa_float_round_mode_32 0
		.amdhsa_float_round_mode_16_64 0
		.amdhsa_float_denorm_mode_32 3
		.amdhsa_float_denorm_mode_16_64 3
		.amdhsa_dx10_clamp 1
		.amdhsa_ieee_mode 1
		.amdhsa_fp16_overflow 0
		.amdhsa_workgroup_processor_mode 1
		.amdhsa_memory_ordered 1
		.amdhsa_forward_progress 1
		.amdhsa_shared_vgpr_count 0
		.amdhsa_exception_fp_ieee_invalid_op 0
		.amdhsa_exception_fp_denorm_src 0
		.amdhsa_exception_fp_ieee_div_zero 0
		.amdhsa_exception_fp_ieee_overflow 0
		.amdhsa_exception_fp_ieee_underflow 0
		.amdhsa_exception_fp_ieee_inexact 0
		.amdhsa_exception_int_div_zero 0
	.end_amdhsa_kernel
	.section	.text._ZN12_GLOBAL__N_127rocblas_gemm_batched_kernelIdLi16ELi16ELi64ELi64ELi4ELi64ELi4ELi4ELi64ELc67ELc67EKdS1_dEEvlllT_PT11_llS4_llS2_PT12_llPT13_lli,"axG",@progbits,_ZN12_GLOBAL__N_127rocblas_gemm_batched_kernelIdLi16ELi16ELi64ELi64ELi4ELi64ELi4ELi4ELi64ELc67ELc67EKdS1_dEEvlllT_PT11_llS4_llS2_PT12_llPT13_lli,comdat
.Lfunc_end64:
	.size	_ZN12_GLOBAL__N_127rocblas_gemm_batched_kernelIdLi16ELi16ELi64ELi64ELi4ELi64ELi4ELi4ELi64ELc67ELc67EKdS1_dEEvlllT_PT11_llS4_llS2_PT12_llPT13_lli, .Lfunc_end64-_ZN12_GLOBAL__N_127rocblas_gemm_batched_kernelIdLi16ELi16ELi64ELi64ELi4ELi64ELi4ELi4ELi64ELc67ELc67EKdS1_dEEvlllT_PT11_llS4_llS2_PT12_llPT13_lli
                                        ; -- End function
	.set _ZN12_GLOBAL__N_127rocblas_gemm_batched_kernelIdLi16ELi16ELi64ELi64ELi4ELi64ELi4ELi4ELi64ELc67ELc67EKdS1_dEEvlllT_PT11_llS4_llS2_PT12_llPT13_lli.num_vgpr, 78
	.set _ZN12_GLOBAL__N_127rocblas_gemm_batched_kernelIdLi16ELi16ELi64ELi64ELi4ELi64ELi4ELi4ELi64ELc67ELc67EKdS1_dEEvlllT_PT11_llS4_llS2_PT12_llPT13_lli.num_agpr, 0
	.set _ZN12_GLOBAL__N_127rocblas_gemm_batched_kernelIdLi16ELi16ELi64ELi64ELi4ELi64ELi4ELi4ELi64ELc67ELc67EKdS1_dEEvlllT_PT11_llS4_llS2_PT12_llPT13_lli.numbered_sgpr, 30
	.set _ZN12_GLOBAL__N_127rocblas_gemm_batched_kernelIdLi16ELi16ELi64ELi64ELi4ELi64ELi4ELi4ELi64ELc67ELc67EKdS1_dEEvlllT_PT11_llS4_llS2_PT12_llPT13_lli.num_named_barrier, 0
	.set _ZN12_GLOBAL__N_127rocblas_gemm_batched_kernelIdLi16ELi16ELi64ELi64ELi4ELi64ELi4ELi4ELi64ELc67ELc67EKdS1_dEEvlllT_PT11_llS4_llS2_PT12_llPT13_lli.private_seg_size, 0
	.set _ZN12_GLOBAL__N_127rocblas_gemm_batched_kernelIdLi16ELi16ELi64ELi64ELi4ELi64ELi4ELi4ELi64ELc67ELc67EKdS1_dEEvlllT_PT11_llS4_llS2_PT12_llPT13_lli.uses_vcc, 1
	.set _ZN12_GLOBAL__N_127rocblas_gemm_batched_kernelIdLi16ELi16ELi64ELi64ELi4ELi64ELi4ELi4ELi64ELc67ELc67EKdS1_dEEvlllT_PT11_llS4_llS2_PT12_llPT13_lli.uses_flat_scratch, 0
	.set _ZN12_GLOBAL__N_127rocblas_gemm_batched_kernelIdLi16ELi16ELi64ELi64ELi4ELi64ELi4ELi4ELi64ELc67ELc67EKdS1_dEEvlllT_PT11_llS4_llS2_PT12_llPT13_lli.has_dyn_sized_stack, 0
	.set _ZN12_GLOBAL__N_127rocblas_gemm_batched_kernelIdLi16ELi16ELi64ELi64ELi4ELi64ELi4ELi4ELi64ELc67ELc67EKdS1_dEEvlllT_PT11_llS4_llS2_PT12_llPT13_lli.has_recursion, 0
	.set _ZN12_GLOBAL__N_127rocblas_gemm_batched_kernelIdLi16ELi16ELi64ELi64ELi4ELi64ELi4ELi4ELi64ELc67ELc67EKdS1_dEEvlllT_PT11_llS4_llS2_PT12_llPT13_lli.has_indirect_call, 0
	.section	.AMDGPU.csdata,"",@progbits
; Kernel info:
; codeLenInByte = 2896
; TotalNumSgprs: 32
; NumVgprs: 78
; ScratchSize: 0
; MemoryBound: 0
; FloatMode: 240
; IeeeMode: 1
; LDSByteSize: 4096 bytes/workgroup (compile time only)
; SGPRBlocks: 0
; VGPRBlocks: 9
; NumSGPRsForWavesPerEU: 32
; NumVGPRsForWavesPerEU: 78
; Occupancy: 12
; WaveLimiterHint : 1
; COMPUTE_PGM_RSRC2:SCRATCH_EN: 0
; COMPUTE_PGM_RSRC2:USER_SGPR: 6
; COMPUTE_PGM_RSRC2:TRAP_HANDLER: 0
; COMPUTE_PGM_RSRC2:TGID_X_EN: 1
; COMPUTE_PGM_RSRC2:TGID_Y_EN: 1
; COMPUTE_PGM_RSRC2:TGID_Z_EN: 1
; COMPUTE_PGM_RSRC2:TIDIG_COMP_CNT: 1
	.section	.text._ZN12_GLOBAL__N_127rocblas_gemm_batched_kernelIdLi16ELi16ELi64ELi64ELi4ELi64ELi4ELi4ELi64ELc67ELc78EKdS1_dEEvlllT_PT11_llS4_llS2_PT12_llPT13_lli,"axG",@progbits,_ZN12_GLOBAL__N_127rocblas_gemm_batched_kernelIdLi16ELi16ELi64ELi64ELi4ELi64ELi4ELi4ELi64ELc67ELc78EKdS1_dEEvlllT_PT11_llS4_llS2_PT12_llPT13_lli,comdat
	.globl	_ZN12_GLOBAL__N_127rocblas_gemm_batched_kernelIdLi16ELi16ELi64ELi64ELi4ELi64ELi4ELi4ELi64ELc67ELc78EKdS1_dEEvlllT_PT11_llS4_llS2_PT12_llPT13_lli ; -- Begin function _ZN12_GLOBAL__N_127rocblas_gemm_batched_kernelIdLi16ELi16ELi64ELi64ELi4ELi64ELi4ELi4ELi64ELc67ELc78EKdS1_dEEvlllT_PT11_llS4_llS2_PT12_llPT13_lli
	.p2align	8
	.type	_ZN12_GLOBAL__N_127rocblas_gemm_batched_kernelIdLi16ELi16ELi64ELi64ELi4ELi64ELi4ELi4ELi64ELc67ELc78EKdS1_dEEvlllT_PT11_llS4_llS2_PT12_llPT13_lli,@function
_ZN12_GLOBAL__N_127rocblas_gemm_batched_kernelIdLi16ELi16ELi64ELi64ELi4ELi64ELi4ELi4ELi64ELc67ELc78EKdS1_dEEvlllT_PT11_llS4_llS2_PT12_llPT13_lli: ; @_ZN12_GLOBAL__N_127rocblas_gemm_batched_kernelIdLi16ELi16ELi64ELi64ELi4ELi64ELi4ELi4ELi64ELc67ELc78EKdS1_dEEvlllT_PT11_llS4_llS2_PT12_llPT13_lli
; %bb.0:
	s_load_dwordx16 s[12:27], s[4:5], 0x10
	s_mov_b32 s0, s7
	s_ashr_i32 s7, s6, 31
	s_ashr_i32 s1, s0, 31
	s_lshl_b64 s[10:11], s[6:7], 6
	s_lshl_b64 s[28:29], s[0:1], 6
	s_waitcnt lgkmcnt(0)
	v_cmp_lt_i64_e64 s2, s[12:13], 1
	s_and_b32 vcc_lo, exec_lo, s2
	s_cbranch_vccnz .LBB65_3
; %bb.1:
	v_lshl_add_u32 v2, v1, 4, v0
	v_and_b32_e32 v3, 3, v0
	s_mul_hi_u32 s1, s26, s8
	v_mov_b32_e32 v12, 0
	v_mov_b32_e32 v14, 0
	v_lshrrev_b32_e32 v4, 2, v2
	v_and_b32_e32 v5, 63, v2
	v_lshlrev_b32_e32 v9, 3, v3
	v_lshrrev_b32_e32 v8, 6, v2
	v_mov_b32_e32 v18, 0
	v_add_co_u32 v6, s0, v4, s28
	v_add_co_ci_u32_e64 v7, null, 0, s29, s0
	v_lshlrev_b32_e32 v10, 3, v5
	v_mul_lo_u32 v11, s25, v6
	v_mad_u64_u32 v[2:3], null, s24, v6, 0
	v_mul_lo_u32 v7, s24, v7
	v_add_co_u32 v5, s0, s10, v5
	v_lshl_or_b32 v4, v4, 5, v9
	v_add_co_ci_u32_e64 v6, null, s11, 0, s0
	s_mul_i32 s0, s27, s8
	v_lshl_or_b32 v39, v8, 9, v10
	v_add_nc_u32_e32 v40, 0x800, v4
	v_add3_u32 v3, v3, v7, v11
	v_mul_lo_u32 v7, s19, v5
	v_mul_lo_u32 v6, s18, v6
	v_mad_u64_u32 v[4:5], null, s18, v5, 0
	v_lshlrev_b64 v[2:3], 3, v[2:3]
	s_add_i32 s1, s1, s0
	s_mul_i32 s0, s26, s8
	v_mov_b32_e32 v10, 0
	s_lshl_b64 s[0:1], s[0:1], 3
	v_mov_b32_e32 v16, 0
	v_add3_u32 v5, v5, v6, v7
	v_add_co_u32 v6, vcc_lo, v2, s0
	v_add_co_ci_u32_e64 v7, null, s1, v3, vcc_lo
	s_mul_i32 s0, s21, s8
	s_mul_hi_u32 s1, s20, s8
	v_lshlrev_b64 v[2:3], 3, v[4:5]
	s_add_i32 s1, s1, s0
	s_mul_i32 s0, s20, s8
	v_add_co_u32 v4, vcc_lo, v6, v9
	s_lshl_b64 s[0:1], s[0:1], 3
	v_add_co_ci_u32_e64 v5, null, 0, v7, vcc_lo
	v_add_co_u32 v2, vcc_lo, v2, s0
	v_lshlrev_b32_e32 v6, 3, v8
	v_add_co_ci_u32_e64 v3, null, s1, v3, vcc_lo
	v_add_co_u32 v34, vcc_lo, s22, v4
	v_add_co_ci_u32_e64 v35, null, s23, v5, vcc_lo
	v_add_co_u32 v36, vcc_lo, v2, v6
	v_add_co_ci_u32_e64 v37, null, 0, v3, vcc_lo
	v_mov_b32_e32 v2, 0
	v_add_co_u32 v36, vcc_lo, s16, v36
	v_mov_b32_e32 v4, 0
	v_mov_b32_e32 v6, 0
	;; [unrolled: 1-line block ×10, first 2 shown]
	v_lshlrev_b32_e32 v38, 3, v0
	v_lshl_add_u32 v41, v1, 5, 0x800
	v_mov_b32_e32 v3, 0
	v_mov_b32_e32 v5, 0
	;; [unrolled: 1-line block ×16, first 2 shown]
	v_add_co_ci_u32_e64 v37, null, s17, v37, vcc_lo
	s_mov_b64 s[0:1], 0
.LBB65_2:                               ; =>This Inner Loop Header: Depth=1
	global_load_dwordx2 v[42:43], v[36:37], off
	global_load_dwordx2 v[44:45], v[34:35], off
	s_add_u32 s0, s0, 4
	s_addc_u32 s1, s1, 0
	v_add_co_u32 v34, vcc_lo, v34, 32
	v_cmp_lt_i64_e64 s2, s[0:1], s[12:13]
	v_add_co_ci_u32_e64 v35, null, 0, v35, vcc_lo
	v_add_co_u32 v36, vcc_lo, v36, 32
	v_add_co_ci_u32_e64 v37, null, 0, v37, vcc_lo
	s_and_b32 vcc_lo, exec_lo, s2
	s_waitcnt vmcnt(1)
	ds_write_b64 v39, v[42:43]
	s_waitcnt vmcnt(0)
	ds_write_b64 v40, v[44:45]
	s_waitcnt lgkmcnt(0)
	s_barrier
	buffer_gl0_inv
	ds_read_b128 v[42:45], v41
	ds_read2_b64 v[46:49], v38 offset1:16
	ds_read_b128 v[50:53], v41 offset:512
	ds_read_b128 v[54:57], v41 offset:16
	;; [unrolled: 1-line block ×3, first 2 shown]
	s_waitcnt lgkmcnt(3)
	v_fma_f64 v[74:75], v[48:49], v[42:43], v[30:31]
	s_waitcnt lgkmcnt(2)
	v_fma_f64 v[76:77], v[46:47], v[50:51], v[28:29]
	ds_read_b128 v[28:31], v41 offset:1024
	ds_read_b128 v[62:65], v41 offset:1040
	;; [unrolled: 1-line block ×4, first 2 shown]
	v_fma_f64 v[32:33], v[46:47], v[42:43], v[32:33]
	v_fma_f64 v[22:23], v[48:49], v[50:51], v[22:23]
	s_waitcnt lgkmcnt(3)
	v_fma_f64 v[18:19], v[46:47], v[28:29], v[18:19]
	v_fma_f64 v[14:15], v[48:49], v[28:29], v[14:15]
	s_waitcnt lgkmcnt(1)
	v_fma_f64 v[46:47], v[46:47], v[66:67], v[8:9]
	v_fma_f64 v[48:49], v[48:49], v[66:67], v[6:7]
	ds_read2_b64 v[6:9], v38 offset0:32 offset1:48
	s_waitcnt lgkmcnt(0)
	v_fma_f64 v[26:27], v[6:7], v[42:43], v[26:27]
	v_fma_f64 v[24:25], v[8:9], v[42:43], v[24:25]
	;; [unrolled: 1-line block ×8, first 2 shown]
	ds_read2_b64 v[2:5], v38 offset0:64 offset1:80
	ds_read2_b64 v[6:9], v38 offset0:96 offset1:112
	s_waitcnt lgkmcnt(1)
	v_fma_f64 v[32:33], v[2:3], v[44:45], v[32:33]
	v_fma_f64 v[50:51], v[4:5], v[44:45], v[74:75]
	s_waitcnt lgkmcnt(0)
	v_fma_f64 v[26:27], v[6:7], v[44:45], v[26:27]
	v_fma_f64 v[24:25], v[8:9], v[44:45], v[24:25]
	;; [unrolled: 1-line block ×10, first 2 shown]
	ds_read2_b64 v[2:5], v38 offset0:128 offset1:144
	v_fma_f64 v[20:21], v[6:7], v[52:53], v[20:21]
	v_fma_f64 v[16:17], v[8:9], v[52:53], v[16:17]
	;; [unrolled: 1-line block ×4, first 2 shown]
	s_waitcnt lgkmcnt(0)
	v_fma_f64 v[28:29], v[2:3], v[54:55], v[32:33]
	v_fma_f64 v[42:43], v[4:5], v[54:55], v[50:51]
	;; [unrolled: 1-line block ×8, first 2 shown]
	ds_read2_b64 v[2:5], v38 offset0:160 offset1:176
	s_waitcnt lgkmcnt(0)
	v_fma_f64 v[26:27], v[2:3], v[54:55], v[26:27]
	v_fma_f64 v[24:25], v[4:5], v[54:55], v[24:25]
	;; [unrolled: 1-line block ×8, first 2 shown]
	ds_read2_b64 v[2:5], v38 offset0:192 offset1:208
	s_waitcnt lgkmcnt(0)
	v_fma_f64 v[30:31], v[4:5], v[56:57], v[42:43]
	ds_read2_b64 v[42:45], v38 offset0:224 offset1:240
	v_fma_f64 v[32:33], v[2:3], v[56:57], v[28:29]
	v_fma_f64 v[28:29], v[2:3], v[60:61], v[48:49]
	;; [unrolled: 1-line block ×7, first 2 shown]
	s_waitcnt lgkmcnt(0)
	s_barrier
	buffer_gl0_inv
	v_fma_f64 v[26:27], v[42:43], v[56:57], v[26:27]
	v_fma_f64 v[24:25], v[44:45], v[56:57], v[24:25]
	;; [unrolled: 1-line block ×8, first 2 shown]
	s_cbranch_vccnz .LBB65_2
	s_branch .LBB65_4
.LBB65_3:
	v_mov_b32_e32 v32, 0
	v_mov_b32_e32 v30, 0
	;; [unrolled: 1-line block ×32, first 2 shown]
.LBB65_4:
	s_clause 0x1
	s_load_dwordx8 s[16:23], s[4:5], 0x50
	s_load_dwordx8 s[0:7], s[4:5], 0x70
	s_waitcnt lgkmcnt(0)
	v_cmp_neq_f64_e64 s6, s[16:17], 0
	s_mul_i32 s5, s5, s8
	s_mul_hi_u32 s7, s4, s8
	s_mul_i32 s4, s4, s8
	s_add_i32 s5, s7, s5
	v_add_co_u32 v34, s7, s28, v1
	v_add_co_ci_u32_e64 v37, null, s29, 0, s7
	v_add_co_u32 v0, s7, s10, v0
	v_add_co_ci_u32_e64 v1, null, s11, 0, s7
	v_mul_lo_u32 v35, v37, s2
	v_mul_lo_u32 v36, v34, s3
	s_lshl_b64 s[4:5], s[4:5], 3
	v_lshlrev_b64 v[0:1], 3, v[0:1]
	s_add_u32 s0, s0, s4
	s_addc_u32 s1, s1, s5
	s_and_b32 vcc_lo, exec_lo, s6
	s_cbranch_vccnz .LBB65_8
; %bb.5:
	v_mad_u64_u32 v[38:39], null, v34, s2, 0
	v_mul_f64 v[40:41], s[14:15], v[32:33]
	v_mul_f64 v[42:43], s[14:15], v[30:31]
	v_mul_f64 v[44:45], s[14:15], v[26:27]
	v_mul_f64 v[46:47], s[14:15], v[24:25]
	v_mul_f64 v[48:49], s[14:15], v[28:29]
	v_mul_f64 v[50:51], s[14:15], v[22:23]
	v_add3_u32 v39, v39, v36, v35
	v_mul_f64 v[52:53], s[14:15], v[20:21]
	s_lshl_b64 s[4:5], s[2:3], 7
	v_lshlrev_b64 v[38:39], 3, v[38:39]
	v_add_co_u32 v54, vcc_lo, s0, v38
	v_add_co_ci_u32_e64 v55, null, s1, v39, vcc_lo
	v_mul_f64 v[38:39], s[14:15], v[16:17]
	v_add_co_u32 v58, vcc_lo, v54, s4
	v_add_co_ci_u32_e64 v59, null, s5, v55, vcc_lo
	v_add_co_u32 v54, vcc_lo, v54, v0
	v_add_co_ci_u32_e64 v55, null, v55, v1, vcc_lo
	;; [unrolled: 2-line block ×3, first 2 shown]
	global_store_dwordx2 v[54:55], v[40:41], off
	global_store_dwordx2 v[54:55], v[42:43], off offset:128
	global_store_dwordx2 v[54:55], v[44:45], off offset:256
	global_store_dwordx2 v[54:55], v[46:47], off offset:384
	global_store_dwordx2 v[56:57], v[48:49], off
	global_store_dwordx2 v[56:57], v[50:51], off offset:128
	global_store_dwordx2 v[56:57], v[52:53], off offset:256
	v_mul_f64 v[40:41], s[14:15], v[18:19]
	v_mul_f64 v[54:55], s[14:15], v[2:3]
	;; [unrolled: 1-line block ×7, first 2 shown]
	v_add_co_u32 v58, vcc_lo, v58, s4
	v_mul_f64 v[52:53], s[14:15], v[4:5]
	v_add_co_ci_u32_e64 v59, null, s5, v59, vcc_lo
	global_store_dwordx2 v[56:57], v[38:39], off offset:384
	v_add_co_u32 v56, vcc_lo, v58, s4
	v_add_co_ci_u32_e64 v57, null, s5, v59, vcc_lo
	v_add_co_u32 v38, vcc_lo, v58, v0
	v_add_co_ci_u32_e64 v39, null, v59, v1, vcc_lo
	;; [unrolled: 2-line block ×3, first 2 shown]
	global_store_dwordx2 v[38:39], v[40:41], off
	global_store_dwordx2 v[38:39], v[42:43], off offset:128
	global_store_dwordx2 v[38:39], v[44:45], off offset:256
	;; [unrolled: 1-line block ×3, first 2 shown]
	global_store_dwordx2 v[56:57], v[48:49], off
	global_store_dwordx2 v[56:57], v[50:51], off offset:128
	global_store_dwordx2 v[56:57], v[52:53], off offset:256
	;; [unrolled: 1-line block ×3, first 2 shown]
	s_cbranch_execnz .LBB65_7
.LBB65_6:
	v_mul_lo_u32 v39, v37, s20
	v_mul_lo_u32 v40, v34, s21
	v_mad_u64_u32 v[37:38], null, v34, s20, 0
	s_mul_i32 s5, s23, s8
	s_mul_hi_u32 s6, s22, s8
	s_mul_i32 s4, s22, s8
	s_add_i32 s5, s6, s5
	v_mad_u64_u32 v[41:42], null, v34, s2, 0
	v_add3_u32 v38, v38, v40, v39
	s_lshl_b64 s[4:5], s[4:5], 3
	s_add_u32 s4, s18, s4
	s_addc_u32 s5, s19, s5
	v_lshlrev_b64 v[37:38], 3, v[37:38]
	v_add3_u32 v42, v42, v36, v35
	s_lshl_b64 s[2:3], s[2:3], 7
	v_lshlrev_b64 v[34:35], 3, v[41:42]
	v_add_co_u32 v43, vcc_lo, s4, v37
	v_add_co_ci_u32_e64 v44, null, s5, v38, vcc_lo
	v_add_co_u32 v37, vcc_lo, v43, v0
	v_add_co_ci_u32_e64 v38, null, v44, v1, vcc_lo
	v_add_co_u32 v36, vcc_lo, s0, v34
	global_load_dwordx2 v[39:40], v[37:38], off
	s_waitcnt vmcnt(0)
	v_mul_f64 v[39:40], s[16:17], v[39:40]
	v_fma_f64 v[32:33], s[14:15], v[32:33], v[39:40]
	v_add_co_ci_u32_e64 v39, null, s1, v35, vcc_lo
	v_add_co_u32 v34, vcc_lo, v36, v0
	s_lshl_b64 s[0:1], s[20:21], 7
	v_add_co_ci_u32_e64 v35, null, v39, v1, vcc_lo
	global_store_dwordx2 v[34:35], v[32:33], off
	global_load_dwordx2 v[32:33], v[37:38], off offset:128
	s_waitcnt vmcnt(0)
	v_mul_f64 v[32:33], s[16:17], v[32:33]
	v_fma_f64 v[30:31], s[14:15], v[30:31], v[32:33]
	global_store_dwordx2 v[34:35], v[30:31], off offset:128
	global_load_dwordx2 v[30:31], v[37:38], off offset:256
	s_waitcnt vmcnt(0)
	v_mul_f64 v[30:31], s[16:17], v[30:31]
	v_fma_f64 v[26:27], s[14:15], v[26:27], v[30:31]
	v_add_co_u32 v30, vcc_lo, v43, s0
	v_add_co_ci_u32_e64 v31, null, s1, v44, vcc_lo
	global_store_dwordx2 v[34:35], v[26:27], off offset:256
	global_load_dwordx2 v[26:27], v[37:38], off offset:384
	s_waitcnt vmcnt(0)
	v_mul_f64 v[26:27], s[16:17], v[26:27]
	v_fma_f64 v[24:25], s[14:15], v[24:25], v[26:27]
	v_add_co_u32 v26, vcc_lo, v30, v0
	v_add_co_ci_u32_e64 v27, null, v31, v1, vcc_lo
	v_add_co_u32 v32, vcc_lo, v36, s2
	v_add_co_ci_u32_e64 v33, null, s3, v39, vcc_lo
	global_store_dwordx2 v[34:35], v[24:25], off offset:384
	global_load_dwordx2 v[24:25], v[26:27], off
	s_waitcnt vmcnt(0)
	v_mul_f64 v[24:25], s[16:17], v[24:25]
	v_fma_f64 v[24:25], s[14:15], v[28:29], v[24:25]
	v_add_co_u32 v28, vcc_lo, v32, v0
	v_add_co_ci_u32_e64 v29, null, v33, v1, vcc_lo
	global_store_dwordx2 v[28:29], v[24:25], off
	global_load_dwordx2 v[24:25], v[26:27], off offset:128
	s_waitcnt vmcnt(0)
	v_mul_f64 v[24:25], s[16:17], v[24:25]
	v_fma_f64 v[22:23], s[14:15], v[22:23], v[24:25]
	global_store_dwordx2 v[28:29], v[22:23], off offset:128
	global_load_dwordx2 v[22:23], v[26:27], off offset:256
	s_waitcnt vmcnt(0)
	v_mul_f64 v[22:23], s[16:17], v[22:23]
	v_fma_f64 v[20:21], s[14:15], v[20:21], v[22:23]
	v_add_co_u32 v22, vcc_lo, v30, s0
	v_add_co_ci_u32_e64 v23, null, s1, v31, vcc_lo
	global_store_dwordx2 v[28:29], v[20:21], off offset:256
	global_load_dwordx2 v[20:21], v[26:27], off offset:384
	s_waitcnt vmcnt(0)
	v_mul_f64 v[20:21], s[16:17], v[20:21]
	v_fma_f64 v[16:17], s[14:15], v[16:17], v[20:21]
	v_add_co_u32 v20, vcc_lo, v22, v0
	v_add_co_ci_u32_e64 v21, null, v23, v1, vcc_lo
	v_add_co_u32 v24, vcc_lo, v32, s2
	v_add_co_ci_u32_e64 v25, null, s3, v33, vcc_lo
	global_store_dwordx2 v[28:29], v[16:17], off offset:384
	global_load_dwordx2 v[16:17], v[20:21], off
	s_waitcnt vmcnt(0)
	v_mul_f64 v[16:17], s[16:17], v[16:17]
	v_fma_f64 v[16:17], s[14:15], v[18:19], v[16:17]
	v_add_co_u32 v18, vcc_lo, v24, v0
	v_add_co_ci_u32_e64 v19, null, v25, v1, vcc_lo
	global_store_dwordx2 v[18:19], v[16:17], off
	global_load_dwordx2 v[16:17], v[20:21], off offset:128
	s_waitcnt vmcnt(0)
	v_mul_f64 v[16:17], s[16:17], v[16:17]
	v_fma_f64 v[14:15], s[14:15], v[14:15], v[16:17]
	global_store_dwordx2 v[18:19], v[14:15], off offset:128
	global_load_dwordx2 v[14:15], v[20:21], off offset:256
	s_waitcnt vmcnt(0)
	v_mul_f64 v[14:15], s[16:17], v[14:15]
	v_fma_f64 v[12:13], s[14:15], v[12:13], v[14:15]
	global_store_dwordx2 v[18:19], v[12:13], off offset:256
	global_load_dwordx2 v[12:13], v[20:21], off offset:384
	s_waitcnt vmcnt(0)
	v_mul_f64 v[12:13], s[16:17], v[12:13]
	v_fma_f64 v[10:11], s[14:15], v[10:11], v[12:13]
	v_add_co_u32 v12, vcc_lo, v22, s0
	v_add_co_ci_u32_e64 v13, null, s1, v23, vcc_lo
	v_add_co_u32 v12, vcc_lo, v12, v0
	v_add_co_ci_u32_e64 v13, null, v13, v1, vcc_lo
	global_store_dwordx2 v[18:19], v[10:11], off offset:384
	global_load_dwordx2 v[10:11], v[12:13], off
	s_waitcnt vmcnt(0)
	v_mul_f64 v[10:11], s[16:17], v[10:11]
	v_fma_f64 v[8:9], s[14:15], v[8:9], v[10:11]
	v_add_co_u32 v10, vcc_lo, v24, s2
	v_add_co_ci_u32_e64 v11, null, s3, v25, vcc_lo
	v_add_co_u32 v0, vcc_lo, v10, v0
	v_add_co_ci_u32_e64 v1, null, v11, v1, vcc_lo
	global_store_dwordx2 v[0:1], v[8:9], off
	global_load_dwordx2 v[8:9], v[12:13], off offset:128
	s_waitcnt vmcnt(0)
	v_mul_f64 v[8:9], s[16:17], v[8:9]
	v_fma_f64 v[6:7], s[14:15], v[6:7], v[8:9]
	global_store_dwordx2 v[0:1], v[6:7], off offset:128
	global_load_dwordx2 v[6:7], v[12:13], off offset:256
	s_waitcnt vmcnt(0)
	v_mul_f64 v[6:7], s[16:17], v[6:7]
	v_fma_f64 v[4:5], s[14:15], v[4:5], v[6:7]
	global_store_dwordx2 v[0:1], v[4:5], off offset:256
	;; [unrolled: 5-line block ×3, first 2 shown]
.LBB65_7:
	s_endpgm
.LBB65_8:
	s_branch .LBB65_6
	.section	.rodata,"a",@progbits
	.p2align	6, 0x0
	.amdhsa_kernel _ZN12_GLOBAL__N_127rocblas_gemm_batched_kernelIdLi16ELi16ELi64ELi64ELi4ELi64ELi4ELi4ELi64ELc67ELc78EKdS1_dEEvlllT_PT11_llS4_llS2_PT12_llPT13_lli
		.amdhsa_group_segment_fixed_size 4096
		.amdhsa_private_segment_fixed_size 0
		.amdhsa_kernarg_size 140
		.amdhsa_user_sgpr_count 6
		.amdhsa_user_sgpr_private_segment_buffer 1
		.amdhsa_user_sgpr_dispatch_ptr 0
		.amdhsa_user_sgpr_queue_ptr 0
		.amdhsa_user_sgpr_kernarg_segment_ptr 1
		.amdhsa_user_sgpr_dispatch_id 0
		.amdhsa_user_sgpr_flat_scratch_init 0
		.amdhsa_user_sgpr_private_segment_size 0
		.amdhsa_wavefront_size32 1
		.amdhsa_uses_dynamic_stack 0
		.amdhsa_system_sgpr_private_segment_wavefront_offset 0
		.amdhsa_system_sgpr_workgroup_id_x 1
		.amdhsa_system_sgpr_workgroup_id_y 1
		.amdhsa_system_sgpr_workgroup_id_z 1
		.amdhsa_system_sgpr_workgroup_info 0
		.amdhsa_system_vgpr_workitem_id 1
		.amdhsa_next_free_vgpr 78
		.amdhsa_next_free_sgpr 30
		.amdhsa_reserve_vcc 1
		.amdhsa_reserve_flat_scratch 0
		.amdhsa_float_round_mode_32 0
		.amdhsa_float_round_mode_16_64 0
		.amdhsa_float_denorm_mode_32 3
		.amdhsa_float_denorm_mode_16_64 3
		.amdhsa_dx10_clamp 1
		.amdhsa_ieee_mode 1
		.amdhsa_fp16_overflow 0
		.amdhsa_workgroup_processor_mode 1
		.amdhsa_memory_ordered 1
		.amdhsa_forward_progress 1
		.amdhsa_shared_vgpr_count 0
		.amdhsa_exception_fp_ieee_invalid_op 0
		.amdhsa_exception_fp_denorm_src 0
		.amdhsa_exception_fp_ieee_div_zero 0
		.amdhsa_exception_fp_ieee_overflow 0
		.amdhsa_exception_fp_ieee_underflow 0
		.amdhsa_exception_fp_ieee_inexact 0
		.amdhsa_exception_int_div_zero 0
	.end_amdhsa_kernel
	.section	.text._ZN12_GLOBAL__N_127rocblas_gemm_batched_kernelIdLi16ELi16ELi64ELi64ELi4ELi64ELi4ELi4ELi64ELc67ELc78EKdS1_dEEvlllT_PT11_llS4_llS2_PT12_llPT13_lli,"axG",@progbits,_ZN12_GLOBAL__N_127rocblas_gemm_batched_kernelIdLi16ELi16ELi64ELi64ELi4ELi64ELi4ELi4ELi64ELc67ELc78EKdS1_dEEvlllT_PT11_llS4_llS2_PT12_llPT13_lli,comdat
.Lfunc_end65:
	.size	_ZN12_GLOBAL__N_127rocblas_gemm_batched_kernelIdLi16ELi16ELi64ELi64ELi4ELi64ELi4ELi4ELi64ELc67ELc78EKdS1_dEEvlllT_PT11_llS4_llS2_PT12_llPT13_lli, .Lfunc_end65-_ZN12_GLOBAL__N_127rocblas_gemm_batched_kernelIdLi16ELi16ELi64ELi64ELi4ELi64ELi4ELi4ELi64ELc67ELc78EKdS1_dEEvlllT_PT11_llS4_llS2_PT12_llPT13_lli
                                        ; -- End function
	.set _ZN12_GLOBAL__N_127rocblas_gemm_batched_kernelIdLi16ELi16ELi64ELi64ELi4ELi64ELi4ELi4ELi64ELc67ELc78EKdS1_dEEvlllT_PT11_llS4_llS2_PT12_llPT13_lli.num_vgpr, 78
	.set _ZN12_GLOBAL__N_127rocblas_gemm_batched_kernelIdLi16ELi16ELi64ELi64ELi4ELi64ELi4ELi4ELi64ELc67ELc78EKdS1_dEEvlllT_PT11_llS4_llS2_PT12_llPT13_lli.num_agpr, 0
	.set _ZN12_GLOBAL__N_127rocblas_gemm_batched_kernelIdLi16ELi16ELi64ELi64ELi4ELi64ELi4ELi4ELi64ELc67ELc78EKdS1_dEEvlllT_PT11_llS4_llS2_PT12_llPT13_lli.numbered_sgpr, 30
	.set _ZN12_GLOBAL__N_127rocblas_gemm_batched_kernelIdLi16ELi16ELi64ELi64ELi4ELi64ELi4ELi4ELi64ELc67ELc78EKdS1_dEEvlllT_PT11_llS4_llS2_PT12_llPT13_lli.num_named_barrier, 0
	.set _ZN12_GLOBAL__N_127rocblas_gemm_batched_kernelIdLi16ELi16ELi64ELi64ELi4ELi64ELi4ELi4ELi64ELc67ELc78EKdS1_dEEvlllT_PT11_llS4_llS2_PT12_llPT13_lli.private_seg_size, 0
	.set _ZN12_GLOBAL__N_127rocblas_gemm_batched_kernelIdLi16ELi16ELi64ELi64ELi4ELi64ELi4ELi4ELi64ELc67ELc78EKdS1_dEEvlllT_PT11_llS4_llS2_PT12_llPT13_lli.uses_vcc, 1
	.set _ZN12_GLOBAL__N_127rocblas_gemm_batched_kernelIdLi16ELi16ELi64ELi64ELi4ELi64ELi4ELi4ELi64ELc67ELc78EKdS1_dEEvlllT_PT11_llS4_llS2_PT12_llPT13_lli.uses_flat_scratch, 0
	.set _ZN12_GLOBAL__N_127rocblas_gemm_batched_kernelIdLi16ELi16ELi64ELi64ELi4ELi64ELi4ELi4ELi64ELc67ELc78EKdS1_dEEvlllT_PT11_llS4_llS2_PT12_llPT13_lli.has_dyn_sized_stack, 0
	.set _ZN12_GLOBAL__N_127rocblas_gemm_batched_kernelIdLi16ELi16ELi64ELi64ELi4ELi64ELi4ELi4ELi64ELc67ELc78EKdS1_dEEvlllT_PT11_llS4_llS2_PT12_llPT13_lli.has_recursion, 0
	.set _ZN12_GLOBAL__N_127rocblas_gemm_batched_kernelIdLi16ELi16ELi64ELi64ELi4ELi64ELi4ELi4ELi64ELc67ELc78EKdS1_dEEvlllT_PT11_llS4_llS2_PT12_llPT13_lli.has_indirect_call, 0
	.section	.AMDGPU.csdata,"",@progbits
; Kernel info:
; codeLenInByte = 2924
; TotalNumSgprs: 32
; NumVgprs: 78
; ScratchSize: 0
; MemoryBound: 0
; FloatMode: 240
; IeeeMode: 1
; LDSByteSize: 4096 bytes/workgroup (compile time only)
; SGPRBlocks: 0
; VGPRBlocks: 9
; NumSGPRsForWavesPerEU: 32
; NumVGPRsForWavesPerEU: 78
; Occupancy: 12
; WaveLimiterHint : 1
; COMPUTE_PGM_RSRC2:SCRATCH_EN: 0
; COMPUTE_PGM_RSRC2:USER_SGPR: 6
; COMPUTE_PGM_RSRC2:TRAP_HANDLER: 0
; COMPUTE_PGM_RSRC2:TGID_X_EN: 1
; COMPUTE_PGM_RSRC2:TGID_Y_EN: 1
; COMPUTE_PGM_RSRC2:TGID_Z_EN: 1
; COMPUTE_PGM_RSRC2:TIDIG_COMP_CNT: 1
	.section	.text._ZN12_GLOBAL__N_127rocblas_gemm_batched_kernelIdLi16ELi16ELi64ELi64ELi4ELi64ELi4ELi4ELi64ELc67ELc84EKdS1_dEEvlllT_PT11_llS4_llS2_PT12_llPT13_lli,"axG",@progbits,_ZN12_GLOBAL__N_127rocblas_gemm_batched_kernelIdLi16ELi16ELi64ELi64ELi4ELi64ELi4ELi4ELi64ELc67ELc84EKdS1_dEEvlllT_PT11_llS4_llS2_PT12_llPT13_lli,comdat
	.globl	_ZN12_GLOBAL__N_127rocblas_gemm_batched_kernelIdLi16ELi16ELi64ELi64ELi4ELi64ELi4ELi4ELi64ELc67ELc84EKdS1_dEEvlllT_PT11_llS4_llS2_PT12_llPT13_lli ; -- Begin function _ZN12_GLOBAL__N_127rocblas_gemm_batched_kernelIdLi16ELi16ELi64ELi64ELi4ELi64ELi4ELi4ELi64ELc67ELc84EKdS1_dEEvlllT_PT11_llS4_llS2_PT12_llPT13_lli
	.p2align	8
	.type	_ZN12_GLOBAL__N_127rocblas_gemm_batched_kernelIdLi16ELi16ELi64ELi64ELi4ELi64ELi4ELi4ELi64ELc67ELc84EKdS1_dEEvlllT_PT11_llS4_llS2_PT12_llPT13_lli,@function
_ZN12_GLOBAL__N_127rocblas_gemm_batched_kernelIdLi16ELi16ELi64ELi64ELi4ELi64ELi4ELi4ELi64ELc67ELc84EKdS1_dEEvlllT_PT11_llS4_llS2_PT12_llPT13_lli: ; @_ZN12_GLOBAL__N_127rocblas_gemm_batched_kernelIdLi16ELi16ELi64ELi64ELi4ELi64ELi4ELi4ELi64ELc67ELc84EKdS1_dEEvlllT_PT11_llS4_llS2_PT12_llPT13_lli
; %bb.0:
	s_load_dwordx16 s[12:27], s[4:5], 0x10
	s_mov_b32 s0, s7
	v_mov_b32_e32 v3, 0
	s_ashr_i32 s7, s6, 31
	s_ashr_i32 s1, s0, 31
	s_lshl_b64 s[10:11], s[6:7], 6
	s_lshl_b64 s[28:29], s[0:1], 6
	s_waitcnt lgkmcnt(0)
	v_cmp_lt_i64_e64 s2, s[12:13], 1
	s_and_b32 vcc_lo, exec_lo, s2
	s_cbranch_vccnz .LBB66_3
; %bb.1:
	v_lshl_add_u32 v5, v1, 4, v0
	v_and_b32_e32 v6, 3, v0
	s_mul_i32 s0, s27, s8
	s_mul_hi_u32 s1, s26, s8
	v_mov_b32_e32 v12, 0
	v_lshrrev_b32_e32 v2, 2, v5
	v_and_b32_e32 v7, 63, v5
	v_lshlrev_b32_e32 v8, 3, v6
	s_add_i32 s1, s1, s0
	v_lshrrev_b32_e32 v9, 6, v5
	v_mad_u64_u32 v[3:4], null, s24, v6, v[2:3]
	v_lshlrev_b32_e32 v5, 3, v7
	v_add_co_u32 v7, s0, s10, v7
	v_lshl_or_b32 v8, v2, 5, v8
	v_add_co_ci_u32_e64 v10, null, s11, 0, s0
	v_mov_b32_e32 v2, v4
	v_lshl_or_b32 v39, v9, 9, v5
	v_add_nc_u32_e32 v40, 0x800, v8
	v_mul_lo_u32 v8, s19, v7
	v_mul_lo_u32 v10, s18, v10
	v_mad_u64_u32 v[4:5], null, s25, v6, v[2:3]
	v_mad_u64_u32 v[5:6], null, s18, v7, 0
	s_mul_i32 s0, s26, s8
	v_add_co_u32 v2, vcc_lo, v3, s28
	s_lshl_b64 s[0:1], s[0:1], 3
	v_add_co_ci_u32_e64 v3, null, s29, v4, vcc_lo
	v_add3_u32 v6, v6, v10, v8
	s_add_u32 s2, s22, s0
	s_addc_u32 s3, s23, s1
	s_mul_i32 s0, s21, s8
	s_mul_hi_u32 s1, s20, s8
	v_lshlrev_b64 v[4:5], 3, v[5:6]
	s_add_i32 s1, s1, s0
	s_mul_i32 s0, s20, s8
	v_lshlrev_b64 v[2:3], 3, v[2:3]
	s_lshl_b64 s[0:1], s[0:1], 3
	v_lshlrev_b32_e32 v6, 3, v9
	v_add_co_u32 v4, vcc_lo, v4, s0
	v_add_co_ci_u32_e64 v5, null, s1, v5, vcc_lo
	v_add_co_u32 v34, vcc_lo, s2, v2
	v_add_co_ci_u32_e64 v35, null, s3, v3, vcc_lo
	;; [unrolled: 2-line block ×3, first 2 shown]
	v_mov_b32_e32 v2, 0
	v_add_co_u32 v36, vcc_lo, s16, v36
	v_mov_b32_e32 v4, 0
	v_mov_b32_e32 v6, 0
	v_mov_b32_e32 v8, 0
	v_mov_b32_e32 v10, 0
	v_mov_b32_e32 v14, 0
	v_mov_b32_e32 v18, 0
	v_mov_b32_e32 v16, 0
	v_mov_b32_e32 v20, 0
	v_mov_b32_e32 v22, 0
	v_mov_b32_e32 v28, 0
	v_mov_b32_e32 v24, 0
	v_mov_b32_e32 v26, 0
	v_mov_b32_e32 v30, 0
	v_mov_b32_e32 v32, 0
	v_lshlrev_b32_e32 v38, 3, v0
	v_lshl_add_u32 v41, v1, 5, 0x800
	v_mov_b32_e32 v3, 0
	v_mov_b32_e32 v5, 0
	;; [unrolled: 1-line block ×16, first 2 shown]
	v_add_co_ci_u32_e64 v37, null, s17, v37, vcc_lo
	s_lshl_b64 s[0:1], s[24:25], 5
	s_mov_b64 s[2:3], 0
.LBB66_2:                               ; =>This Inner Loop Header: Depth=1
	global_load_dwordx2 v[42:43], v[36:37], off
	global_load_dwordx2 v[44:45], v[34:35], off
	s_add_u32 s2, s2, 4
	s_addc_u32 s3, s3, 0
	v_add_co_u32 v34, vcc_lo, v34, s0
	v_cmp_lt_i64_e64 s6, s[2:3], s[12:13]
	v_add_co_ci_u32_e64 v35, null, s1, v35, vcc_lo
	v_add_co_u32 v36, vcc_lo, v36, 32
	v_add_co_ci_u32_e64 v37, null, 0, v37, vcc_lo
	s_and_b32 vcc_lo, exec_lo, s6
	s_waitcnt vmcnt(1)
	ds_write_b64 v39, v[42:43]
	s_waitcnt vmcnt(0)
	ds_write_b64 v40, v[44:45]
	s_waitcnt lgkmcnt(0)
	s_barrier
	buffer_gl0_inv
	ds_read_b128 v[42:45], v41
	ds_read2_b64 v[46:49], v38 offset1:16
	ds_read_b128 v[50:53], v41 offset:512
	ds_read_b128 v[54:57], v41 offset:16
	;; [unrolled: 1-line block ×3, first 2 shown]
	s_waitcnt lgkmcnt(3)
	v_fma_f64 v[74:75], v[48:49], v[42:43], v[30:31]
	s_waitcnt lgkmcnt(2)
	v_fma_f64 v[76:77], v[46:47], v[50:51], v[28:29]
	ds_read_b128 v[28:31], v41 offset:1024
	ds_read_b128 v[62:65], v41 offset:1040
	;; [unrolled: 1-line block ×4, first 2 shown]
	v_fma_f64 v[32:33], v[46:47], v[42:43], v[32:33]
	v_fma_f64 v[22:23], v[48:49], v[50:51], v[22:23]
	s_waitcnt lgkmcnt(3)
	v_fma_f64 v[18:19], v[46:47], v[28:29], v[18:19]
	v_fma_f64 v[14:15], v[48:49], v[28:29], v[14:15]
	s_waitcnt lgkmcnt(1)
	v_fma_f64 v[46:47], v[46:47], v[66:67], v[8:9]
	v_fma_f64 v[48:49], v[48:49], v[66:67], v[6:7]
	ds_read2_b64 v[6:9], v38 offset0:32 offset1:48
	s_waitcnt lgkmcnt(0)
	v_fma_f64 v[26:27], v[6:7], v[42:43], v[26:27]
	v_fma_f64 v[24:25], v[8:9], v[42:43], v[24:25]
	;; [unrolled: 1-line block ×8, first 2 shown]
	ds_read2_b64 v[2:5], v38 offset0:64 offset1:80
	ds_read2_b64 v[6:9], v38 offset0:96 offset1:112
	s_waitcnt lgkmcnt(1)
	v_fma_f64 v[32:33], v[2:3], v[44:45], v[32:33]
	v_fma_f64 v[50:51], v[4:5], v[44:45], v[74:75]
	s_waitcnt lgkmcnt(0)
	v_fma_f64 v[26:27], v[6:7], v[44:45], v[26:27]
	v_fma_f64 v[24:25], v[8:9], v[44:45], v[24:25]
	;; [unrolled: 1-line block ×10, first 2 shown]
	ds_read2_b64 v[2:5], v38 offset0:128 offset1:144
	v_fma_f64 v[20:21], v[6:7], v[52:53], v[20:21]
	v_fma_f64 v[16:17], v[8:9], v[52:53], v[16:17]
	;; [unrolled: 1-line block ×4, first 2 shown]
	s_waitcnt lgkmcnt(0)
	v_fma_f64 v[28:29], v[2:3], v[54:55], v[32:33]
	v_fma_f64 v[42:43], v[4:5], v[54:55], v[50:51]
	v_fma_f64 v[48:49], v[2:3], v[58:59], v[44:45]
	v_fma_f64 v[22:23], v[4:5], v[58:59], v[22:23]
	v_fma_f64 v[18:19], v[2:3], v[62:63], v[18:19]
	v_fma_f64 v[14:15], v[4:5], v[62:63], v[14:15]
	v_fma_f64 v[50:51], v[2:3], v[70:71], v[30:31]
	v_fma_f64 v[46:47], v[4:5], v[70:71], v[46:47]
	ds_read2_b64 v[2:5], v38 offset0:160 offset1:176
	s_waitcnt lgkmcnt(0)
	v_fma_f64 v[26:27], v[2:3], v[54:55], v[26:27]
	v_fma_f64 v[24:25], v[4:5], v[54:55], v[24:25]
	;; [unrolled: 1-line block ×8, first 2 shown]
	ds_read2_b64 v[2:5], v38 offset0:192 offset1:208
	s_waitcnt lgkmcnt(0)
	v_fma_f64 v[30:31], v[4:5], v[56:57], v[42:43]
	ds_read2_b64 v[42:45], v38 offset0:224 offset1:240
	v_fma_f64 v[32:33], v[2:3], v[56:57], v[28:29]
	v_fma_f64 v[28:29], v[2:3], v[60:61], v[48:49]
	;; [unrolled: 1-line block ×7, first 2 shown]
	s_waitcnt lgkmcnt(0)
	s_barrier
	buffer_gl0_inv
	v_fma_f64 v[26:27], v[42:43], v[56:57], v[26:27]
	v_fma_f64 v[24:25], v[44:45], v[56:57], v[24:25]
	v_fma_f64 v[20:21], v[42:43], v[60:61], v[20:21]
	v_fma_f64 v[16:17], v[44:45], v[60:61], v[16:17]
	v_fma_f64 v[12:13], v[42:43], v[64:65], v[12:13]
	v_fma_f64 v[10:11], v[44:45], v[64:65], v[10:11]
	v_fma_f64 v[4:5], v[42:43], v[72:73], v[52:53]
	v_fma_f64 v[2:3], v[44:45], v[72:73], v[54:55]
	s_cbranch_vccnz .LBB66_2
	s_branch .LBB66_4
.LBB66_3:
	v_mov_b32_e32 v32, 0
	v_mov_b32_e32 v30, 0
	;; [unrolled: 1-line block ×32, first 2 shown]
.LBB66_4:
	s_clause 0x1
	s_load_dwordx8 s[16:23], s[4:5], 0x50
	s_load_dwordx8 s[0:7], s[4:5], 0x70
	s_waitcnt lgkmcnt(0)
	v_cmp_neq_f64_e64 s6, s[16:17], 0
	s_mul_i32 s5, s5, s8
	s_mul_hi_u32 s7, s4, s8
	s_mul_i32 s4, s4, s8
	s_add_i32 s5, s7, s5
	v_add_co_u32 v34, s7, s28, v1
	v_add_co_ci_u32_e64 v37, null, s29, 0, s7
	v_add_co_u32 v0, s7, s10, v0
	v_add_co_ci_u32_e64 v1, null, s11, 0, s7
	v_mul_lo_u32 v35, v37, s2
	v_mul_lo_u32 v36, v34, s3
	s_lshl_b64 s[4:5], s[4:5], 3
	v_lshlrev_b64 v[0:1], 3, v[0:1]
	s_add_u32 s0, s0, s4
	s_addc_u32 s1, s1, s5
	s_and_b32 vcc_lo, exec_lo, s6
	s_cbranch_vccnz .LBB66_8
; %bb.5:
	v_mad_u64_u32 v[38:39], null, v34, s2, 0
	v_mul_f64 v[40:41], s[14:15], v[32:33]
	v_mul_f64 v[42:43], s[14:15], v[30:31]
	;; [unrolled: 1-line block ×6, first 2 shown]
	v_add3_u32 v39, v39, v36, v35
	v_mul_f64 v[52:53], s[14:15], v[20:21]
	s_lshl_b64 s[4:5], s[2:3], 7
	v_lshlrev_b64 v[38:39], 3, v[38:39]
	v_add_co_u32 v54, vcc_lo, s0, v38
	v_add_co_ci_u32_e64 v55, null, s1, v39, vcc_lo
	v_mul_f64 v[38:39], s[14:15], v[16:17]
	v_add_co_u32 v58, vcc_lo, v54, s4
	v_add_co_ci_u32_e64 v59, null, s5, v55, vcc_lo
	v_add_co_u32 v54, vcc_lo, v54, v0
	v_add_co_ci_u32_e64 v55, null, v55, v1, vcc_lo
	;; [unrolled: 2-line block ×3, first 2 shown]
	global_store_dwordx2 v[54:55], v[40:41], off
	global_store_dwordx2 v[54:55], v[42:43], off offset:128
	global_store_dwordx2 v[54:55], v[44:45], off offset:256
	;; [unrolled: 1-line block ×3, first 2 shown]
	global_store_dwordx2 v[56:57], v[48:49], off
	global_store_dwordx2 v[56:57], v[50:51], off offset:128
	global_store_dwordx2 v[56:57], v[52:53], off offset:256
	v_mul_f64 v[40:41], s[14:15], v[18:19]
	v_mul_f64 v[54:55], s[14:15], v[2:3]
	;; [unrolled: 1-line block ×7, first 2 shown]
	v_add_co_u32 v58, vcc_lo, v58, s4
	v_mul_f64 v[52:53], s[14:15], v[4:5]
	v_add_co_ci_u32_e64 v59, null, s5, v59, vcc_lo
	global_store_dwordx2 v[56:57], v[38:39], off offset:384
	v_add_co_u32 v56, vcc_lo, v58, s4
	v_add_co_ci_u32_e64 v57, null, s5, v59, vcc_lo
	v_add_co_u32 v38, vcc_lo, v58, v0
	v_add_co_ci_u32_e64 v39, null, v59, v1, vcc_lo
	;; [unrolled: 2-line block ×3, first 2 shown]
	global_store_dwordx2 v[38:39], v[40:41], off
	global_store_dwordx2 v[38:39], v[42:43], off offset:128
	global_store_dwordx2 v[38:39], v[44:45], off offset:256
	;; [unrolled: 1-line block ×3, first 2 shown]
	global_store_dwordx2 v[56:57], v[48:49], off
	global_store_dwordx2 v[56:57], v[50:51], off offset:128
	global_store_dwordx2 v[56:57], v[52:53], off offset:256
	;; [unrolled: 1-line block ×3, first 2 shown]
	s_cbranch_execnz .LBB66_7
.LBB66_6:
	v_mul_lo_u32 v39, v37, s20
	v_mul_lo_u32 v40, v34, s21
	v_mad_u64_u32 v[37:38], null, v34, s20, 0
	s_mul_i32 s5, s23, s8
	s_mul_hi_u32 s6, s22, s8
	s_mul_i32 s4, s22, s8
	s_add_i32 s5, s6, s5
	v_mad_u64_u32 v[41:42], null, v34, s2, 0
	v_add3_u32 v38, v38, v40, v39
	s_lshl_b64 s[4:5], s[4:5], 3
	s_add_u32 s4, s18, s4
	s_addc_u32 s5, s19, s5
	v_lshlrev_b64 v[37:38], 3, v[37:38]
	v_add3_u32 v42, v42, v36, v35
	s_lshl_b64 s[2:3], s[2:3], 7
	v_lshlrev_b64 v[34:35], 3, v[41:42]
	v_add_co_u32 v43, vcc_lo, s4, v37
	v_add_co_ci_u32_e64 v44, null, s5, v38, vcc_lo
	v_add_co_u32 v37, vcc_lo, v43, v0
	v_add_co_ci_u32_e64 v38, null, v44, v1, vcc_lo
	v_add_co_u32 v36, vcc_lo, s0, v34
	global_load_dwordx2 v[39:40], v[37:38], off
	s_waitcnt vmcnt(0)
	v_mul_f64 v[39:40], s[16:17], v[39:40]
	v_fma_f64 v[32:33], s[14:15], v[32:33], v[39:40]
	v_add_co_ci_u32_e64 v39, null, s1, v35, vcc_lo
	v_add_co_u32 v34, vcc_lo, v36, v0
	s_lshl_b64 s[0:1], s[20:21], 7
	v_add_co_ci_u32_e64 v35, null, v39, v1, vcc_lo
	global_store_dwordx2 v[34:35], v[32:33], off
	global_load_dwordx2 v[32:33], v[37:38], off offset:128
	s_waitcnt vmcnt(0)
	v_mul_f64 v[32:33], s[16:17], v[32:33]
	v_fma_f64 v[30:31], s[14:15], v[30:31], v[32:33]
	global_store_dwordx2 v[34:35], v[30:31], off offset:128
	global_load_dwordx2 v[30:31], v[37:38], off offset:256
	s_waitcnt vmcnt(0)
	v_mul_f64 v[30:31], s[16:17], v[30:31]
	v_fma_f64 v[26:27], s[14:15], v[26:27], v[30:31]
	v_add_co_u32 v30, vcc_lo, v43, s0
	v_add_co_ci_u32_e64 v31, null, s1, v44, vcc_lo
	global_store_dwordx2 v[34:35], v[26:27], off offset:256
	global_load_dwordx2 v[26:27], v[37:38], off offset:384
	s_waitcnt vmcnt(0)
	v_mul_f64 v[26:27], s[16:17], v[26:27]
	v_fma_f64 v[24:25], s[14:15], v[24:25], v[26:27]
	v_add_co_u32 v26, vcc_lo, v30, v0
	v_add_co_ci_u32_e64 v27, null, v31, v1, vcc_lo
	v_add_co_u32 v32, vcc_lo, v36, s2
	v_add_co_ci_u32_e64 v33, null, s3, v39, vcc_lo
	global_store_dwordx2 v[34:35], v[24:25], off offset:384
	global_load_dwordx2 v[24:25], v[26:27], off
	s_waitcnt vmcnt(0)
	v_mul_f64 v[24:25], s[16:17], v[24:25]
	v_fma_f64 v[24:25], s[14:15], v[28:29], v[24:25]
	v_add_co_u32 v28, vcc_lo, v32, v0
	v_add_co_ci_u32_e64 v29, null, v33, v1, vcc_lo
	global_store_dwordx2 v[28:29], v[24:25], off
	global_load_dwordx2 v[24:25], v[26:27], off offset:128
	s_waitcnt vmcnt(0)
	v_mul_f64 v[24:25], s[16:17], v[24:25]
	v_fma_f64 v[22:23], s[14:15], v[22:23], v[24:25]
	global_store_dwordx2 v[28:29], v[22:23], off offset:128
	global_load_dwordx2 v[22:23], v[26:27], off offset:256
	s_waitcnt vmcnt(0)
	v_mul_f64 v[22:23], s[16:17], v[22:23]
	v_fma_f64 v[20:21], s[14:15], v[20:21], v[22:23]
	v_add_co_u32 v22, vcc_lo, v30, s0
	v_add_co_ci_u32_e64 v23, null, s1, v31, vcc_lo
	global_store_dwordx2 v[28:29], v[20:21], off offset:256
	global_load_dwordx2 v[20:21], v[26:27], off offset:384
	s_waitcnt vmcnt(0)
	v_mul_f64 v[20:21], s[16:17], v[20:21]
	v_fma_f64 v[16:17], s[14:15], v[16:17], v[20:21]
	v_add_co_u32 v20, vcc_lo, v22, v0
	v_add_co_ci_u32_e64 v21, null, v23, v1, vcc_lo
	v_add_co_u32 v24, vcc_lo, v32, s2
	v_add_co_ci_u32_e64 v25, null, s3, v33, vcc_lo
	global_store_dwordx2 v[28:29], v[16:17], off offset:384
	global_load_dwordx2 v[16:17], v[20:21], off
	s_waitcnt vmcnt(0)
	v_mul_f64 v[16:17], s[16:17], v[16:17]
	v_fma_f64 v[16:17], s[14:15], v[18:19], v[16:17]
	v_add_co_u32 v18, vcc_lo, v24, v0
	v_add_co_ci_u32_e64 v19, null, v25, v1, vcc_lo
	global_store_dwordx2 v[18:19], v[16:17], off
	global_load_dwordx2 v[16:17], v[20:21], off offset:128
	s_waitcnt vmcnt(0)
	v_mul_f64 v[16:17], s[16:17], v[16:17]
	v_fma_f64 v[14:15], s[14:15], v[14:15], v[16:17]
	global_store_dwordx2 v[18:19], v[14:15], off offset:128
	global_load_dwordx2 v[14:15], v[20:21], off offset:256
	s_waitcnt vmcnt(0)
	v_mul_f64 v[14:15], s[16:17], v[14:15]
	v_fma_f64 v[12:13], s[14:15], v[12:13], v[14:15]
	global_store_dwordx2 v[18:19], v[12:13], off offset:256
	global_load_dwordx2 v[12:13], v[20:21], off offset:384
	s_waitcnt vmcnt(0)
	v_mul_f64 v[12:13], s[16:17], v[12:13]
	v_fma_f64 v[10:11], s[14:15], v[10:11], v[12:13]
	v_add_co_u32 v12, vcc_lo, v22, s0
	v_add_co_ci_u32_e64 v13, null, s1, v23, vcc_lo
	v_add_co_u32 v12, vcc_lo, v12, v0
	v_add_co_ci_u32_e64 v13, null, v13, v1, vcc_lo
	global_store_dwordx2 v[18:19], v[10:11], off offset:384
	global_load_dwordx2 v[10:11], v[12:13], off
	s_waitcnt vmcnt(0)
	v_mul_f64 v[10:11], s[16:17], v[10:11]
	v_fma_f64 v[8:9], s[14:15], v[8:9], v[10:11]
	v_add_co_u32 v10, vcc_lo, v24, s2
	v_add_co_ci_u32_e64 v11, null, s3, v25, vcc_lo
	v_add_co_u32 v0, vcc_lo, v10, v0
	v_add_co_ci_u32_e64 v1, null, v11, v1, vcc_lo
	global_store_dwordx2 v[0:1], v[8:9], off
	global_load_dwordx2 v[8:9], v[12:13], off offset:128
	s_waitcnt vmcnt(0)
	v_mul_f64 v[8:9], s[16:17], v[8:9]
	v_fma_f64 v[6:7], s[14:15], v[6:7], v[8:9]
	global_store_dwordx2 v[0:1], v[6:7], off offset:128
	global_load_dwordx2 v[6:7], v[12:13], off offset:256
	s_waitcnt vmcnt(0)
	v_mul_f64 v[6:7], s[16:17], v[6:7]
	v_fma_f64 v[4:5], s[14:15], v[4:5], v[6:7]
	global_store_dwordx2 v[0:1], v[4:5], off offset:256
	global_load_dwordx2 v[4:5], v[12:13], off offset:384
	s_waitcnt vmcnt(0)
	v_mul_f64 v[4:5], s[16:17], v[4:5]
	v_fma_f64 v[2:3], s[14:15], v[2:3], v[4:5]
	global_store_dwordx2 v[0:1], v[2:3], off offset:384
.LBB66_7:
	s_endpgm
.LBB66_8:
	s_branch .LBB66_6
	.section	.rodata,"a",@progbits
	.p2align	6, 0x0
	.amdhsa_kernel _ZN12_GLOBAL__N_127rocblas_gemm_batched_kernelIdLi16ELi16ELi64ELi64ELi4ELi64ELi4ELi4ELi64ELc67ELc84EKdS1_dEEvlllT_PT11_llS4_llS2_PT12_llPT13_lli
		.amdhsa_group_segment_fixed_size 4096
		.amdhsa_private_segment_fixed_size 0
		.amdhsa_kernarg_size 140
		.amdhsa_user_sgpr_count 6
		.amdhsa_user_sgpr_private_segment_buffer 1
		.amdhsa_user_sgpr_dispatch_ptr 0
		.amdhsa_user_sgpr_queue_ptr 0
		.amdhsa_user_sgpr_kernarg_segment_ptr 1
		.amdhsa_user_sgpr_dispatch_id 0
		.amdhsa_user_sgpr_flat_scratch_init 0
		.amdhsa_user_sgpr_private_segment_size 0
		.amdhsa_wavefront_size32 1
		.amdhsa_uses_dynamic_stack 0
		.amdhsa_system_sgpr_private_segment_wavefront_offset 0
		.amdhsa_system_sgpr_workgroup_id_x 1
		.amdhsa_system_sgpr_workgroup_id_y 1
		.amdhsa_system_sgpr_workgroup_id_z 1
		.amdhsa_system_sgpr_workgroup_info 0
		.amdhsa_system_vgpr_workitem_id 1
		.amdhsa_next_free_vgpr 78
		.amdhsa_next_free_sgpr 30
		.amdhsa_reserve_vcc 1
		.amdhsa_reserve_flat_scratch 0
		.amdhsa_float_round_mode_32 0
		.amdhsa_float_round_mode_16_64 0
		.amdhsa_float_denorm_mode_32 3
		.amdhsa_float_denorm_mode_16_64 3
		.amdhsa_dx10_clamp 1
		.amdhsa_ieee_mode 1
		.amdhsa_fp16_overflow 0
		.amdhsa_workgroup_processor_mode 1
		.amdhsa_memory_ordered 1
		.amdhsa_forward_progress 1
		.amdhsa_shared_vgpr_count 0
		.amdhsa_exception_fp_ieee_invalid_op 0
		.amdhsa_exception_fp_denorm_src 0
		.amdhsa_exception_fp_ieee_div_zero 0
		.amdhsa_exception_fp_ieee_overflow 0
		.amdhsa_exception_fp_ieee_underflow 0
		.amdhsa_exception_fp_ieee_inexact 0
		.amdhsa_exception_int_div_zero 0
	.end_amdhsa_kernel
	.section	.text._ZN12_GLOBAL__N_127rocblas_gemm_batched_kernelIdLi16ELi16ELi64ELi64ELi4ELi64ELi4ELi4ELi64ELc67ELc84EKdS1_dEEvlllT_PT11_llS4_llS2_PT12_llPT13_lli,"axG",@progbits,_ZN12_GLOBAL__N_127rocblas_gemm_batched_kernelIdLi16ELi16ELi64ELi64ELi4ELi64ELi4ELi4ELi64ELc67ELc84EKdS1_dEEvlllT_PT11_llS4_llS2_PT12_llPT13_lli,comdat
.Lfunc_end66:
	.size	_ZN12_GLOBAL__N_127rocblas_gemm_batched_kernelIdLi16ELi16ELi64ELi64ELi4ELi64ELi4ELi4ELi64ELc67ELc84EKdS1_dEEvlllT_PT11_llS4_llS2_PT12_llPT13_lli, .Lfunc_end66-_ZN12_GLOBAL__N_127rocblas_gemm_batched_kernelIdLi16ELi16ELi64ELi64ELi4ELi64ELi4ELi4ELi64ELc67ELc84EKdS1_dEEvlllT_PT11_llS4_llS2_PT12_llPT13_lli
                                        ; -- End function
	.set _ZN12_GLOBAL__N_127rocblas_gemm_batched_kernelIdLi16ELi16ELi64ELi64ELi4ELi64ELi4ELi4ELi64ELc67ELc84EKdS1_dEEvlllT_PT11_llS4_llS2_PT12_llPT13_lli.num_vgpr, 78
	.set _ZN12_GLOBAL__N_127rocblas_gemm_batched_kernelIdLi16ELi16ELi64ELi64ELi4ELi64ELi4ELi4ELi64ELc67ELc84EKdS1_dEEvlllT_PT11_llS4_llS2_PT12_llPT13_lli.num_agpr, 0
	.set _ZN12_GLOBAL__N_127rocblas_gemm_batched_kernelIdLi16ELi16ELi64ELi64ELi4ELi64ELi4ELi4ELi64ELc67ELc84EKdS1_dEEvlllT_PT11_llS4_llS2_PT12_llPT13_lli.numbered_sgpr, 30
	.set _ZN12_GLOBAL__N_127rocblas_gemm_batched_kernelIdLi16ELi16ELi64ELi64ELi4ELi64ELi4ELi4ELi64ELc67ELc84EKdS1_dEEvlllT_PT11_llS4_llS2_PT12_llPT13_lli.num_named_barrier, 0
	.set _ZN12_GLOBAL__N_127rocblas_gemm_batched_kernelIdLi16ELi16ELi64ELi64ELi4ELi64ELi4ELi4ELi64ELc67ELc84EKdS1_dEEvlllT_PT11_llS4_llS2_PT12_llPT13_lli.private_seg_size, 0
	.set _ZN12_GLOBAL__N_127rocblas_gemm_batched_kernelIdLi16ELi16ELi64ELi64ELi4ELi64ELi4ELi4ELi64ELc67ELc84EKdS1_dEEvlllT_PT11_llS4_llS2_PT12_llPT13_lli.uses_vcc, 1
	.set _ZN12_GLOBAL__N_127rocblas_gemm_batched_kernelIdLi16ELi16ELi64ELi64ELi4ELi64ELi4ELi4ELi64ELc67ELc84EKdS1_dEEvlllT_PT11_llS4_llS2_PT12_llPT13_lli.uses_flat_scratch, 0
	.set _ZN12_GLOBAL__N_127rocblas_gemm_batched_kernelIdLi16ELi16ELi64ELi64ELi4ELi64ELi4ELi4ELi64ELc67ELc84EKdS1_dEEvlllT_PT11_llS4_llS2_PT12_llPT13_lli.has_dyn_sized_stack, 0
	.set _ZN12_GLOBAL__N_127rocblas_gemm_batched_kernelIdLi16ELi16ELi64ELi64ELi4ELi64ELi4ELi4ELi64ELc67ELc84EKdS1_dEEvlllT_PT11_llS4_llS2_PT12_llPT13_lli.has_recursion, 0
	.set _ZN12_GLOBAL__N_127rocblas_gemm_batched_kernelIdLi16ELi16ELi64ELi64ELi4ELi64ELi4ELi4ELi64ELc67ELc84EKdS1_dEEvlllT_PT11_llS4_llS2_PT12_llPT13_lli.has_indirect_call, 0
	.section	.AMDGPU.csdata,"",@progbits
; Kernel info:
; codeLenInByte = 2896
; TotalNumSgprs: 32
; NumVgprs: 78
; ScratchSize: 0
; MemoryBound: 0
; FloatMode: 240
; IeeeMode: 1
; LDSByteSize: 4096 bytes/workgroup (compile time only)
; SGPRBlocks: 0
; VGPRBlocks: 9
; NumSGPRsForWavesPerEU: 32
; NumVGPRsForWavesPerEU: 78
; Occupancy: 12
; WaveLimiterHint : 1
; COMPUTE_PGM_RSRC2:SCRATCH_EN: 0
; COMPUTE_PGM_RSRC2:USER_SGPR: 6
; COMPUTE_PGM_RSRC2:TRAP_HANDLER: 0
; COMPUTE_PGM_RSRC2:TGID_X_EN: 1
; COMPUTE_PGM_RSRC2:TGID_Y_EN: 1
; COMPUTE_PGM_RSRC2:TGID_Z_EN: 1
; COMPUTE_PGM_RSRC2:TIDIG_COMP_CNT: 1
	.section	.text._ZN12_GLOBAL__N_127rocblas_gemm_batched_kernelIdLi16ELi16ELi64ELi64ELi4ELi64ELi4ELi4ELi64ELc78ELc67EKdS1_dEEvlllT_PT11_llS4_llS2_PT12_llPT13_lli,"axG",@progbits,_ZN12_GLOBAL__N_127rocblas_gemm_batched_kernelIdLi16ELi16ELi64ELi64ELi4ELi64ELi4ELi4ELi64ELc78ELc67EKdS1_dEEvlllT_PT11_llS4_llS2_PT12_llPT13_lli,comdat
	.globl	_ZN12_GLOBAL__N_127rocblas_gemm_batched_kernelIdLi16ELi16ELi64ELi64ELi4ELi64ELi4ELi4ELi64ELc78ELc67EKdS1_dEEvlllT_PT11_llS4_llS2_PT12_llPT13_lli ; -- Begin function _ZN12_GLOBAL__N_127rocblas_gemm_batched_kernelIdLi16ELi16ELi64ELi64ELi4ELi64ELi4ELi4ELi64ELc78ELc67EKdS1_dEEvlllT_PT11_llS4_llS2_PT12_llPT13_lli
	.p2align	8
	.type	_ZN12_GLOBAL__N_127rocblas_gemm_batched_kernelIdLi16ELi16ELi64ELi64ELi4ELi64ELi4ELi4ELi64ELc78ELc67EKdS1_dEEvlllT_PT11_llS4_llS2_PT12_llPT13_lli,@function
_ZN12_GLOBAL__N_127rocblas_gemm_batched_kernelIdLi16ELi16ELi64ELi64ELi4ELi64ELi4ELi4ELi64ELc78ELc67EKdS1_dEEvlllT_PT11_llS4_llS2_PT12_llPT13_lli: ; @_ZN12_GLOBAL__N_127rocblas_gemm_batched_kernelIdLi16ELi16ELi64ELi64ELi4ELi64ELi4ELi4ELi64ELc78ELc67EKdS1_dEEvlllT_PT11_llS4_llS2_PT12_llPT13_lli
; %bb.0:
	s_load_dwordx16 s[12:27], s[4:5], 0x10
	s_mov_b32 s0, s7
	v_mov_b32_e32 v3, 0
	s_ashr_i32 s7, s6, 31
	s_ashr_i32 s1, s0, 31
	s_lshl_b64 s[10:11], s[6:7], 6
	s_lshl_b64 s[28:29], s[0:1], 6
	s_waitcnt lgkmcnt(0)
	v_cmp_lt_i64_e64 s2, s[12:13], 1
	s_and_b32 vcc_lo, exec_lo, s2
	s_cbranch_vccnz .LBB67_3
; %bb.1:
	v_lshl_add_u32 v5, v1, 4, v0
	v_and_b32_e32 v6, 3, v0
	s_mul_i32 s1, s27, s8
	s_mul_hi_u32 s2, s26, s8
	s_mul_i32 s0, s26, s8
	v_lshrrev_b32_e32 v2, 2, v5
	v_and_b32_e32 v8, 63, v5
	v_lshrrev_b32_e32 v7, 6, v5
	v_lshlrev_b32_e32 v9, 3, v6
	s_add_i32 s1, s2, s1
	v_mad_u64_u32 v[3:4], null, s24, v6, v[2:3]
	v_lshlrev_b32_e32 v10, 3, v8
	v_lshl_or_b32 v9, v2, 5, v9
	s_lshl_b64 s[0:1], s[0:1], 3
	s_mul_i32 s3, s21, s8
	s_add_u32 s0, s22, s0
	v_lshl_or_b32 v40, v7, 9, v10
	v_mad_u64_u32 v[4:5], null, s25, v6, v[4:5]
	v_mad_u64_u32 v[5:6], null, s18, v7, s[10:11]
	v_add_co_u32 v3, vcc_lo, v3, s28
	s_addc_u32 s1, s23, s1
	s_mul_hi_u32 s6, s20, s8
	v_add_co_ci_u32_e64 v4, null, s29, v4, vcc_lo
	v_mov_b32_e32 v2, v6
	s_add_i32 s3, s6, s3
	s_mul_i32 s2, s20, s8
	v_lshlrev_b64 v[3:4], 3, v[3:4]
	s_lshl_b64 s[2:3], s[2:3], 3
	v_add_nc_u32_e32 v41, 0x800, v9
	v_mov_b32_e32 v10, 0
	v_mov_b32_e32 v12, 0
	;; [unrolled: 1-line block ×3, first 2 shown]
	v_mad_u64_u32 v[6:7], null, s19, v7, v[2:3]
	v_add_co_u32 v34, vcc_lo, s0, v3
	v_add_co_ci_u32_e64 v35, null, s1, v4, vcc_lo
	v_add_co_u32 v2, vcc_lo, v5, v8
	v_add_co_ci_u32_e64 v3, null, 0, v6, vcc_lo
	s_lshl_b64 s[0:1], s[24:25], 5
	s_add_u32 s2, s16, s2
	s_addc_u32 s3, s17, s3
	v_lshlrev_b64 v[36:37], 3, v[2:3]
	v_mov_b32_e32 v2, 0
	v_mov_b32_e32 v4, 0
	;; [unrolled: 1-line block ×5, first 2 shown]
	v_add_co_u32 v36, vcc_lo, s2, v36
	v_mov_b32_e32 v16, 0
	v_mov_b32_e32 v20, 0
	v_mov_b32_e32 v22, 0
	v_mov_b32_e32 v28, 0
	v_mov_b32_e32 v24, 0
	v_mov_b32_e32 v26, 0
	v_mov_b32_e32 v30, 0
	v_mov_b32_e32 v32, 0
	v_lshlrev_b32_e32 v38, 3, v0
	v_lshl_add_u32 v39, v1, 5, 0x800
	v_mov_b32_e32 v3, 0
	v_mov_b32_e32 v5, 0
	;; [unrolled: 1-line block ×16, first 2 shown]
	v_add_co_ci_u32_e64 v37, null, s3, v37, vcc_lo
	s_lshl_b64 s[2:3], s[18:19], 5
	s_mov_b64 s[6:7], 0
.LBB67_2:                               ; =>This Inner Loop Header: Depth=1
	global_load_dwordx2 v[42:43], v[36:37], off
	global_load_dwordx2 v[44:45], v[34:35], off
	s_add_u32 s6, s6, 4
	s_addc_u32 s7, s7, 0
	v_add_co_u32 v34, vcc_lo, v34, s0
	v_cmp_lt_i64_e64 s9, s[6:7], s[12:13]
	v_add_co_ci_u32_e64 v35, null, s1, v35, vcc_lo
	v_add_co_u32 v36, vcc_lo, v36, s2
	v_add_co_ci_u32_e64 v37, null, s3, v37, vcc_lo
	s_and_b32 vcc_lo, exec_lo, s9
	s_waitcnt vmcnt(1)
	ds_write_b64 v40, v[42:43]
	s_waitcnt vmcnt(0)
	ds_write_b64 v41, v[44:45]
	s_waitcnt lgkmcnt(0)
	s_barrier
	buffer_gl0_inv
	ds_read_b128 v[42:45], v39
	ds_read2_b64 v[46:49], v38 offset1:16
	ds_read_b128 v[50:53], v39 offset:512
	ds_read_b128 v[54:57], v39 offset:16
	;; [unrolled: 1-line block ×3, first 2 shown]
	s_waitcnt lgkmcnt(3)
	v_fma_f64 v[74:75], v[48:49], v[42:43], v[30:31]
	s_waitcnt lgkmcnt(2)
	v_fma_f64 v[76:77], v[46:47], v[50:51], v[28:29]
	ds_read_b128 v[28:31], v39 offset:1024
	ds_read_b128 v[62:65], v39 offset:1040
	ds_read_b128 v[66:69], v39 offset:1536
	ds_read_b128 v[70:73], v39 offset:1552
	v_fma_f64 v[32:33], v[46:47], v[42:43], v[32:33]
	v_fma_f64 v[22:23], v[48:49], v[50:51], v[22:23]
	s_waitcnt lgkmcnt(3)
	v_fma_f64 v[18:19], v[46:47], v[28:29], v[18:19]
	v_fma_f64 v[14:15], v[48:49], v[28:29], v[14:15]
	s_waitcnt lgkmcnt(1)
	v_fma_f64 v[46:47], v[46:47], v[66:67], v[8:9]
	v_fma_f64 v[48:49], v[48:49], v[66:67], v[6:7]
	ds_read2_b64 v[6:9], v38 offset0:32 offset1:48
	s_waitcnt lgkmcnt(0)
	v_fma_f64 v[26:27], v[6:7], v[42:43], v[26:27]
	v_fma_f64 v[24:25], v[8:9], v[42:43], v[24:25]
	;; [unrolled: 1-line block ×8, first 2 shown]
	ds_read2_b64 v[2:5], v38 offset0:64 offset1:80
	ds_read2_b64 v[6:9], v38 offset0:96 offset1:112
	s_waitcnt lgkmcnt(1)
	v_fma_f64 v[32:33], v[2:3], v[44:45], v[32:33]
	v_fma_f64 v[50:51], v[4:5], v[44:45], v[74:75]
	s_waitcnt lgkmcnt(0)
	v_fma_f64 v[26:27], v[6:7], v[44:45], v[26:27]
	v_fma_f64 v[24:25], v[8:9], v[44:45], v[24:25]
	;; [unrolled: 1-line block ×10, first 2 shown]
	ds_read2_b64 v[2:5], v38 offset0:128 offset1:144
	v_fma_f64 v[20:21], v[6:7], v[52:53], v[20:21]
	v_fma_f64 v[16:17], v[8:9], v[52:53], v[16:17]
	;; [unrolled: 1-line block ×4, first 2 shown]
	s_waitcnt lgkmcnt(0)
	v_fma_f64 v[28:29], v[2:3], v[54:55], v[32:33]
	v_fma_f64 v[42:43], v[4:5], v[54:55], v[50:51]
	;; [unrolled: 1-line block ×8, first 2 shown]
	ds_read2_b64 v[2:5], v38 offset0:160 offset1:176
	s_waitcnt lgkmcnt(0)
	v_fma_f64 v[26:27], v[2:3], v[54:55], v[26:27]
	v_fma_f64 v[24:25], v[4:5], v[54:55], v[24:25]
	v_fma_f64 v[20:21], v[2:3], v[58:59], v[20:21]
	v_fma_f64 v[16:17], v[4:5], v[58:59], v[16:17]
	v_fma_f64 v[12:13], v[2:3], v[62:63], v[12:13]
	v_fma_f64 v[10:11], v[4:5], v[62:63], v[10:11]
	v_fma_f64 v[52:53], v[2:3], v[70:71], v[6:7]
	v_fma_f64 v[54:55], v[4:5], v[70:71], v[8:9]
	ds_read2_b64 v[2:5], v38 offset0:192 offset1:208
	s_waitcnt lgkmcnt(0)
	v_fma_f64 v[30:31], v[4:5], v[56:57], v[42:43]
	ds_read2_b64 v[42:45], v38 offset0:224 offset1:240
	v_fma_f64 v[32:33], v[2:3], v[56:57], v[28:29]
	v_fma_f64 v[28:29], v[2:3], v[60:61], v[48:49]
	;; [unrolled: 1-line block ×7, first 2 shown]
	s_waitcnt lgkmcnt(0)
	s_barrier
	buffer_gl0_inv
	v_fma_f64 v[26:27], v[42:43], v[56:57], v[26:27]
	v_fma_f64 v[24:25], v[44:45], v[56:57], v[24:25]
	;; [unrolled: 1-line block ×8, first 2 shown]
	s_cbranch_vccnz .LBB67_2
	s_branch .LBB67_4
.LBB67_3:
	v_mov_b32_e32 v32, 0
	v_mov_b32_e32 v30, 0
	;; [unrolled: 1-line block ×32, first 2 shown]
.LBB67_4:
	s_clause 0x1
	s_load_dwordx8 s[16:23], s[4:5], 0x50
	s_load_dwordx8 s[0:7], s[4:5], 0x70
	s_waitcnt lgkmcnt(0)
	v_cmp_neq_f64_e64 s6, s[16:17], 0
	s_mul_i32 s5, s5, s8
	s_mul_hi_u32 s7, s4, s8
	s_mul_i32 s4, s4, s8
	s_add_i32 s5, s7, s5
	v_add_co_u32 v34, s7, s28, v1
	v_add_co_ci_u32_e64 v37, null, s29, 0, s7
	v_add_co_u32 v0, s7, s10, v0
	v_add_co_ci_u32_e64 v1, null, s11, 0, s7
	v_mul_lo_u32 v35, v37, s2
	v_mul_lo_u32 v36, v34, s3
	s_lshl_b64 s[4:5], s[4:5], 3
	v_lshlrev_b64 v[0:1], 3, v[0:1]
	s_add_u32 s0, s0, s4
	s_addc_u32 s1, s1, s5
	s_and_b32 vcc_lo, exec_lo, s6
	s_cbranch_vccnz .LBB67_8
; %bb.5:
	v_mad_u64_u32 v[38:39], null, v34, s2, 0
	v_mul_f64 v[40:41], s[14:15], v[32:33]
	v_mul_f64 v[42:43], s[14:15], v[30:31]
	;; [unrolled: 1-line block ×6, first 2 shown]
	v_add3_u32 v39, v39, v36, v35
	v_mul_f64 v[52:53], s[14:15], v[20:21]
	s_lshl_b64 s[4:5], s[2:3], 7
	v_lshlrev_b64 v[38:39], 3, v[38:39]
	v_add_co_u32 v54, vcc_lo, s0, v38
	v_add_co_ci_u32_e64 v55, null, s1, v39, vcc_lo
	v_mul_f64 v[38:39], s[14:15], v[16:17]
	v_add_co_u32 v58, vcc_lo, v54, s4
	v_add_co_ci_u32_e64 v59, null, s5, v55, vcc_lo
	v_add_co_u32 v54, vcc_lo, v54, v0
	v_add_co_ci_u32_e64 v55, null, v55, v1, vcc_lo
	;; [unrolled: 2-line block ×3, first 2 shown]
	global_store_dwordx2 v[54:55], v[40:41], off
	global_store_dwordx2 v[54:55], v[42:43], off offset:128
	global_store_dwordx2 v[54:55], v[44:45], off offset:256
	;; [unrolled: 1-line block ×3, first 2 shown]
	global_store_dwordx2 v[56:57], v[48:49], off
	global_store_dwordx2 v[56:57], v[50:51], off offset:128
	global_store_dwordx2 v[56:57], v[52:53], off offset:256
	v_mul_f64 v[40:41], s[14:15], v[18:19]
	v_mul_f64 v[54:55], s[14:15], v[2:3]
	;; [unrolled: 1-line block ×7, first 2 shown]
	v_add_co_u32 v58, vcc_lo, v58, s4
	v_mul_f64 v[52:53], s[14:15], v[4:5]
	v_add_co_ci_u32_e64 v59, null, s5, v59, vcc_lo
	global_store_dwordx2 v[56:57], v[38:39], off offset:384
	v_add_co_u32 v56, vcc_lo, v58, s4
	v_add_co_ci_u32_e64 v57, null, s5, v59, vcc_lo
	v_add_co_u32 v38, vcc_lo, v58, v0
	v_add_co_ci_u32_e64 v39, null, v59, v1, vcc_lo
	;; [unrolled: 2-line block ×3, first 2 shown]
	global_store_dwordx2 v[38:39], v[40:41], off
	global_store_dwordx2 v[38:39], v[42:43], off offset:128
	global_store_dwordx2 v[38:39], v[44:45], off offset:256
	global_store_dwordx2 v[38:39], v[46:47], off offset:384
	global_store_dwordx2 v[56:57], v[48:49], off
	global_store_dwordx2 v[56:57], v[50:51], off offset:128
	global_store_dwordx2 v[56:57], v[52:53], off offset:256
	;; [unrolled: 1-line block ×3, first 2 shown]
	s_cbranch_execnz .LBB67_7
.LBB67_6:
	v_mul_lo_u32 v39, v37, s20
	v_mul_lo_u32 v40, v34, s21
	v_mad_u64_u32 v[37:38], null, v34, s20, 0
	s_mul_i32 s5, s23, s8
	s_mul_hi_u32 s6, s22, s8
	s_mul_i32 s4, s22, s8
	s_add_i32 s5, s6, s5
	v_mad_u64_u32 v[41:42], null, v34, s2, 0
	v_add3_u32 v38, v38, v40, v39
	s_lshl_b64 s[4:5], s[4:5], 3
	s_add_u32 s4, s18, s4
	s_addc_u32 s5, s19, s5
	v_lshlrev_b64 v[37:38], 3, v[37:38]
	v_add3_u32 v42, v42, v36, v35
	s_lshl_b64 s[2:3], s[2:3], 7
	v_lshlrev_b64 v[34:35], 3, v[41:42]
	v_add_co_u32 v43, vcc_lo, s4, v37
	v_add_co_ci_u32_e64 v44, null, s5, v38, vcc_lo
	v_add_co_u32 v37, vcc_lo, v43, v0
	v_add_co_ci_u32_e64 v38, null, v44, v1, vcc_lo
	v_add_co_u32 v36, vcc_lo, s0, v34
	global_load_dwordx2 v[39:40], v[37:38], off
	s_waitcnt vmcnt(0)
	v_mul_f64 v[39:40], s[16:17], v[39:40]
	v_fma_f64 v[32:33], s[14:15], v[32:33], v[39:40]
	v_add_co_ci_u32_e64 v39, null, s1, v35, vcc_lo
	v_add_co_u32 v34, vcc_lo, v36, v0
	s_lshl_b64 s[0:1], s[20:21], 7
	v_add_co_ci_u32_e64 v35, null, v39, v1, vcc_lo
	global_store_dwordx2 v[34:35], v[32:33], off
	global_load_dwordx2 v[32:33], v[37:38], off offset:128
	s_waitcnt vmcnt(0)
	v_mul_f64 v[32:33], s[16:17], v[32:33]
	v_fma_f64 v[30:31], s[14:15], v[30:31], v[32:33]
	global_store_dwordx2 v[34:35], v[30:31], off offset:128
	global_load_dwordx2 v[30:31], v[37:38], off offset:256
	s_waitcnt vmcnt(0)
	v_mul_f64 v[30:31], s[16:17], v[30:31]
	v_fma_f64 v[26:27], s[14:15], v[26:27], v[30:31]
	v_add_co_u32 v30, vcc_lo, v43, s0
	v_add_co_ci_u32_e64 v31, null, s1, v44, vcc_lo
	global_store_dwordx2 v[34:35], v[26:27], off offset:256
	global_load_dwordx2 v[26:27], v[37:38], off offset:384
	s_waitcnt vmcnt(0)
	v_mul_f64 v[26:27], s[16:17], v[26:27]
	v_fma_f64 v[24:25], s[14:15], v[24:25], v[26:27]
	v_add_co_u32 v26, vcc_lo, v30, v0
	v_add_co_ci_u32_e64 v27, null, v31, v1, vcc_lo
	v_add_co_u32 v32, vcc_lo, v36, s2
	v_add_co_ci_u32_e64 v33, null, s3, v39, vcc_lo
	global_store_dwordx2 v[34:35], v[24:25], off offset:384
	global_load_dwordx2 v[24:25], v[26:27], off
	s_waitcnt vmcnt(0)
	v_mul_f64 v[24:25], s[16:17], v[24:25]
	v_fma_f64 v[24:25], s[14:15], v[28:29], v[24:25]
	v_add_co_u32 v28, vcc_lo, v32, v0
	v_add_co_ci_u32_e64 v29, null, v33, v1, vcc_lo
	global_store_dwordx2 v[28:29], v[24:25], off
	global_load_dwordx2 v[24:25], v[26:27], off offset:128
	s_waitcnt vmcnt(0)
	v_mul_f64 v[24:25], s[16:17], v[24:25]
	v_fma_f64 v[22:23], s[14:15], v[22:23], v[24:25]
	global_store_dwordx2 v[28:29], v[22:23], off offset:128
	global_load_dwordx2 v[22:23], v[26:27], off offset:256
	s_waitcnt vmcnt(0)
	v_mul_f64 v[22:23], s[16:17], v[22:23]
	v_fma_f64 v[20:21], s[14:15], v[20:21], v[22:23]
	v_add_co_u32 v22, vcc_lo, v30, s0
	v_add_co_ci_u32_e64 v23, null, s1, v31, vcc_lo
	global_store_dwordx2 v[28:29], v[20:21], off offset:256
	global_load_dwordx2 v[20:21], v[26:27], off offset:384
	s_waitcnt vmcnt(0)
	v_mul_f64 v[20:21], s[16:17], v[20:21]
	v_fma_f64 v[16:17], s[14:15], v[16:17], v[20:21]
	v_add_co_u32 v20, vcc_lo, v22, v0
	v_add_co_ci_u32_e64 v21, null, v23, v1, vcc_lo
	v_add_co_u32 v24, vcc_lo, v32, s2
	v_add_co_ci_u32_e64 v25, null, s3, v33, vcc_lo
	global_store_dwordx2 v[28:29], v[16:17], off offset:384
	global_load_dwordx2 v[16:17], v[20:21], off
	s_waitcnt vmcnt(0)
	v_mul_f64 v[16:17], s[16:17], v[16:17]
	v_fma_f64 v[16:17], s[14:15], v[18:19], v[16:17]
	v_add_co_u32 v18, vcc_lo, v24, v0
	v_add_co_ci_u32_e64 v19, null, v25, v1, vcc_lo
	global_store_dwordx2 v[18:19], v[16:17], off
	global_load_dwordx2 v[16:17], v[20:21], off offset:128
	s_waitcnt vmcnt(0)
	v_mul_f64 v[16:17], s[16:17], v[16:17]
	v_fma_f64 v[14:15], s[14:15], v[14:15], v[16:17]
	global_store_dwordx2 v[18:19], v[14:15], off offset:128
	global_load_dwordx2 v[14:15], v[20:21], off offset:256
	s_waitcnt vmcnt(0)
	v_mul_f64 v[14:15], s[16:17], v[14:15]
	v_fma_f64 v[12:13], s[14:15], v[12:13], v[14:15]
	global_store_dwordx2 v[18:19], v[12:13], off offset:256
	global_load_dwordx2 v[12:13], v[20:21], off offset:384
	s_waitcnt vmcnt(0)
	v_mul_f64 v[12:13], s[16:17], v[12:13]
	v_fma_f64 v[10:11], s[14:15], v[10:11], v[12:13]
	v_add_co_u32 v12, vcc_lo, v22, s0
	v_add_co_ci_u32_e64 v13, null, s1, v23, vcc_lo
	v_add_co_u32 v12, vcc_lo, v12, v0
	v_add_co_ci_u32_e64 v13, null, v13, v1, vcc_lo
	global_store_dwordx2 v[18:19], v[10:11], off offset:384
	global_load_dwordx2 v[10:11], v[12:13], off
	s_waitcnt vmcnt(0)
	v_mul_f64 v[10:11], s[16:17], v[10:11]
	v_fma_f64 v[8:9], s[14:15], v[8:9], v[10:11]
	v_add_co_u32 v10, vcc_lo, v24, s2
	v_add_co_ci_u32_e64 v11, null, s3, v25, vcc_lo
	v_add_co_u32 v0, vcc_lo, v10, v0
	v_add_co_ci_u32_e64 v1, null, v11, v1, vcc_lo
	global_store_dwordx2 v[0:1], v[8:9], off
	global_load_dwordx2 v[8:9], v[12:13], off offset:128
	s_waitcnt vmcnt(0)
	v_mul_f64 v[8:9], s[16:17], v[8:9]
	v_fma_f64 v[6:7], s[14:15], v[6:7], v[8:9]
	global_store_dwordx2 v[0:1], v[6:7], off offset:128
	global_load_dwordx2 v[6:7], v[12:13], off offset:256
	s_waitcnt vmcnt(0)
	v_mul_f64 v[6:7], s[16:17], v[6:7]
	v_fma_f64 v[4:5], s[14:15], v[4:5], v[6:7]
	global_store_dwordx2 v[0:1], v[4:5], off offset:256
	;; [unrolled: 5-line block ×3, first 2 shown]
.LBB67_7:
	s_endpgm
.LBB67_8:
	s_branch .LBB67_6
	.section	.rodata,"a",@progbits
	.p2align	6, 0x0
	.amdhsa_kernel _ZN12_GLOBAL__N_127rocblas_gemm_batched_kernelIdLi16ELi16ELi64ELi64ELi4ELi64ELi4ELi4ELi64ELc78ELc67EKdS1_dEEvlllT_PT11_llS4_llS2_PT12_llPT13_lli
		.amdhsa_group_segment_fixed_size 4096
		.amdhsa_private_segment_fixed_size 0
		.amdhsa_kernarg_size 140
		.amdhsa_user_sgpr_count 6
		.amdhsa_user_sgpr_private_segment_buffer 1
		.amdhsa_user_sgpr_dispatch_ptr 0
		.amdhsa_user_sgpr_queue_ptr 0
		.amdhsa_user_sgpr_kernarg_segment_ptr 1
		.amdhsa_user_sgpr_dispatch_id 0
		.amdhsa_user_sgpr_flat_scratch_init 0
		.amdhsa_user_sgpr_private_segment_size 0
		.amdhsa_wavefront_size32 1
		.amdhsa_uses_dynamic_stack 0
		.amdhsa_system_sgpr_private_segment_wavefront_offset 0
		.amdhsa_system_sgpr_workgroup_id_x 1
		.amdhsa_system_sgpr_workgroup_id_y 1
		.amdhsa_system_sgpr_workgroup_id_z 1
		.amdhsa_system_sgpr_workgroup_info 0
		.amdhsa_system_vgpr_workitem_id 1
		.amdhsa_next_free_vgpr 78
		.amdhsa_next_free_sgpr 30
		.amdhsa_reserve_vcc 1
		.amdhsa_reserve_flat_scratch 0
		.amdhsa_float_round_mode_32 0
		.amdhsa_float_round_mode_16_64 0
		.amdhsa_float_denorm_mode_32 3
		.amdhsa_float_denorm_mode_16_64 3
		.amdhsa_dx10_clamp 1
		.amdhsa_ieee_mode 1
		.amdhsa_fp16_overflow 0
		.amdhsa_workgroup_processor_mode 1
		.amdhsa_memory_ordered 1
		.amdhsa_forward_progress 1
		.amdhsa_shared_vgpr_count 0
		.amdhsa_exception_fp_ieee_invalid_op 0
		.amdhsa_exception_fp_denorm_src 0
		.amdhsa_exception_fp_ieee_div_zero 0
		.amdhsa_exception_fp_ieee_overflow 0
		.amdhsa_exception_fp_ieee_underflow 0
		.amdhsa_exception_fp_ieee_inexact 0
		.amdhsa_exception_int_div_zero 0
	.end_amdhsa_kernel
	.section	.text._ZN12_GLOBAL__N_127rocblas_gemm_batched_kernelIdLi16ELi16ELi64ELi64ELi4ELi64ELi4ELi4ELi64ELc78ELc67EKdS1_dEEvlllT_PT11_llS4_llS2_PT12_llPT13_lli,"axG",@progbits,_ZN12_GLOBAL__N_127rocblas_gemm_batched_kernelIdLi16ELi16ELi64ELi64ELi4ELi64ELi4ELi4ELi64ELc78ELc67EKdS1_dEEvlllT_PT11_llS4_llS2_PT12_llPT13_lli,comdat
.Lfunc_end67:
	.size	_ZN12_GLOBAL__N_127rocblas_gemm_batched_kernelIdLi16ELi16ELi64ELi64ELi4ELi64ELi4ELi4ELi64ELc78ELc67EKdS1_dEEvlllT_PT11_llS4_llS2_PT12_llPT13_lli, .Lfunc_end67-_ZN12_GLOBAL__N_127rocblas_gemm_batched_kernelIdLi16ELi16ELi64ELi64ELi4ELi64ELi4ELi4ELi64ELc78ELc67EKdS1_dEEvlllT_PT11_llS4_llS2_PT12_llPT13_lli
                                        ; -- End function
	.set _ZN12_GLOBAL__N_127rocblas_gemm_batched_kernelIdLi16ELi16ELi64ELi64ELi4ELi64ELi4ELi4ELi64ELc78ELc67EKdS1_dEEvlllT_PT11_llS4_llS2_PT12_llPT13_lli.num_vgpr, 78
	.set _ZN12_GLOBAL__N_127rocblas_gemm_batched_kernelIdLi16ELi16ELi64ELi64ELi4ELi64ELi4ELi4ELi64ELc78ELc67EKdS1_dEEvlllT_PT11_llS4_llS2_PT12_llPT13_lli.num_agpr, 0
	.set _ZN12_GLOBAL__N_127rocblas_gemm_batched_kernelIdLi16ELi16ELi64ELi64ELi4ELi64ELi4ELi4ELi64ELc78ELc67EKdS1_dEEvlllT_PT11_llS4_llS2_PT12_llPT13_lli.numbered_sgpr, 30
	.set _ZN12_GLOBAL__N_127rocblas_gemm_batched_kernelIdLi16ELi16ELi64ELi64ELi4ELi64ELi4ELi4ELi64ELc78ELc67EKdS1_dEEvlllT_PT11_llS4_llS2_PT12_llPT13_lli.num_named_barrier, 0
	.set _ZN12_GLOBAL__N_127rocblas_gemm_batched_kernelIdLi16ELi16ELi64ELi64ELi4ELi64ELi4ELi4ELi64ELc78ELc67EKdS1_dEEvlllT_PT11_llS4_llS2_PT12_llPT13_lli.private_seg_size, 0
	.set _ZN12_GLOBAL__N_127rocblas_gemm_batched_kernelIdLi16ELi16ELi64ELi64ELi4ELi64ELi4ELi4ELi64ELc78ELc67EKdS1_dEEvlllT_PT11_llS4_llS2_PT12_llPT13_lli.uses_vcc, 1
	.set _ZN12_GLOBAL__N_127rocblas_gemm_batched_kernelIdLi16ELi16ELi64ELi64ELi4ELi64ELi4ELi4ELi64ELc78ELc67EKdS1_dEEvlllT_PT11_llS4_llS2_PT12_llPT13_lli.uses_flat_scratch, 0
	.set _ZN12_GLOBAL__N_127rocblas_gemm_batched_kernelIdLi16ELi16ELi64ELi64ELi4ELi64ELi4ELi4ELi64ELc78ELc67EKdS1_dEEvlllT_PT11_llS4_llS2_PT12_llPT13_lli.has_dyn_sized_stack, 0
	.set _ZN12_GLOBAL__N_127rocblas_gemm_batched_kernelIdLi16ELi16ELi64ELi64ELi4ELi64ELi4ELi4ELi64ELc78ELc67EKdS1_dEEvlllT_PT11_llS4_llS2_PT12_llPT13_lli.has_recursion, 0
	.set _ZN12_GLOBAL__N_127rocblas_gemm_batched_kernelIdLi16ELi16ELi64ELi64ELi4ELi64ELi4ELi4ELi64ELc78ELc67EKdS1_dEEvlllT_PT11_llS4_llS2_PT12_llPT13_lli.has_indirect_call, 0
	.section	.AMDGPU.csdata,"",@progbits
; Kernel info:
; codeLenInByte = 2856
; TotalNumSgprs: 32
; NumVgprs: 78
; ScratchSize: 0
; MemoryBound: 0
; FloatMode: 240
; IeeeMode: 1
; LDSByteSize: 4096 bytes/workgroup (compile time only)
; SGPRBlocks: 0
; VGPRBlocks: 9
; NumSGPRsForWavesPerEU: 32
; NumVGPRsForWavesPerEU: 78
; Occupancy: 12
; WaveLimiterHint : 1
; COMPUTE_PGM_RSRC2:SCRATCH_EN: 0
; COMPUTE_PGM_RSRC2:USER_SGPR: 6
; COMPUTE_PGM_RSRC2:TRAP_HANDLER: 0
; COMPUTE_PGM_RSRC2:TGID_X_EN: 1
; COMPUTE_PGM_RSRC2:TGID_Y_EN: 1
; COMPUTE_PGM_RSRC2:TGID_Z_EN: 1
; COMPUTE_PGM_RSRC2:TIDIG_COMP_CNT: 1
	.section	.text._ZN12_GLOBAL__N_127rocblas_gemm_batched_kernelIdLi16ELi16ELi64ELi64ELi4ELi64ELi4ELi4ELi64ELc84ELc67EKdS1_dEEvlllT_PT11_llS4_llS2_PT12_llPT13_lli,"axG",@progbits,_ZN12_GLOBAL__N_127rocblas_gemm_batched_kernelIdLi16ELi16ELi64ELi64ELi4ELi64ELi4ELi4ELi64ELc84ELc67EKdS1_dEEvlllT_PT11_llS4_llS2_PT12_llPT13_lli,comdat
	.globl	_ZN12_GLOBAL__N_127rocblas_gemm_batched_kernelIdLi16ELi16ELi64ELi64ELi4ELi64ELi4ELi4ELi64ELc84ELc67EKdS1_dEEvlllT_PT11_llS4_llS2_PT12_llPT13_lli ; -- Begin function _ZN12_GLOBAL__N_127rocblas_gemm_batched_kernelIdLi16ELi16ELi64ELi64ELi4ELi64ELi4ELi4ELi64ELc84ELc67EKdS1_dEEvlllT_PT11_llS4_llS2_PT12_llPT13_lli
	.p2align	8
	.type	_ZN12_GLOBAL__N_127rocblas_gemm_batched_kernelIdLi16ELi16ELi64ELi64ELi4ELi64ELi4ELi4ELi64ELc84ELc67EKdS1_dEEvlllT_PT11_llS4_llS2_PT12_llPT13_lli,@function
_ZN12_GLOBAL__N_127rocblas_gemm_batched_kernelIdLi16ELi16ELi64ELi64ELi4ELi64ELi4ELi4ELi64ELc84ELc67EKdS1_dEEvlllT_PT11_llS4_llS2_PT12_llPT13_lli: ; @_ZN12_GLOBAL__N_127rocblas_gemm_batched_kernelIdLi16ELi16ELi64ELi64ELi4ELi64ELi4ELi4ELi64ELc84ELc67EKdS1_dEEvlllT_PT11_llS4_llS2_PT12_llPT13_lli
; %bb.0:
	s_load_dwordx16 s[12:27], s[4:5], 0x10
	s_mov_b32 s0, s7
	v_mov_b32_e32 v3, 0
	s_ashr_i32 s7, s6, 31
	s_ashr_i32 s1, s0, 31
	s_lshl_b64 s[10:11], s[6:7], 6
	s_lshl_b64 s[28:29], s[0:1], 6
	s_waitcnt lgkmcnt(0)
	v_cmp_lt_i64_e64 s2, s[12:13], 1
	s_and_b32 vcc_lo, exec_lo, s2
	s_cbranch_vccnz .LBB68_3
; %bb.1:
	v_lshl_add_u32 v5, v1, 4, v0
	v_and_b32_e32 v6, 3, v0
	s_mul_i32 s0, s27, s8
	s_mul_hi_u32 s1, s26, s8
	v_mov_b32_e32 v12, 0
	v_lshrrev_b32_e32 v2, 2, v5
	v_and_b32_e32 v7, 63, v5
	v_lshlrev_b32_e32 v8, 3, v6
	s_add_i32 s1, s1, s0
	v_lshrrev_b32_e32 v9, 6, v5
	v_mad_u64_u32 v[3:4], null, s24, v6, v[2:3]
	v_lshlrev_b32_e32 v5, 3, v7
	v_add_co_u32 v7, s0, s10, v7
	v_lshl_or_b32 v8, v2, 5, v8
	v_add_co_ci_u32_e64 v10, null, s11, 0, s0
	v_mov_b32_e32 v2, v4
	v_lshl_or_b32 v39, v9, 9, v5
	v_add_nc_u32_e32 v40, 0x800, v8
	v_mul_lo_u32 v8, s19, v7
	v_mul_lo_u32 v10, s18, v10
	v_mad_u64_u32 v[4:5], null, s25, v6, v[2:3]
	v_mad_u64_u32 v[5:6], null, s18, v7, 0
	s_mul_i32 s0, s26, s8
	v_add_co_u32 v2, vcc_lo, v3, s28
	s_lshl_b64 s[0:1], s[0:1], 3
	v_add_co_ci_u32_e64 v3, null, s29, v4, vcc_lo
	v_add3_u32 v6, v6, v10, v8
	s_add_u32 s2, s22, s0
	s_addc_u32 s3, s23, s1
	s_mul_i32 s0, s21, s8
	s_mul_hi_u32 s1, s20, s8
	v_lshlrev_b64 v[4:5], 3, v[5:6]
	s_add_i32 s1, s1, s0
	s_mul_i32 s0, s20, s8
	v_lshlrev_b64 v[2:3], 3, v[2:3]
	s_lshl_b64 s[0:1], s[0:1], 3
	v_lshlrev_b32_e32 v6, 3, v9
	v_add_co_u32 v4, vcc_lo, v4, s0
	v_add_co_ci_u32_e64 v5, null, s1, v5, vcc_lo
	v_add_co_u32 v34, vcc_lo, s2, v2
	v_add_co_ci_u32_e64 v35, null, s3, v3, vcc_lo
	;; [unrolled: 2-line block ×3, first 2 shown]
	v_mov_b32_e32 v2, 0
	v_add_co_u32 v36, vcc_lo, s16, v36
	v_mov_b32_e32 v4, 0
	v_mov_b32_e32 v6, 0
	;; [unrolled: 1-line block ×14, first 2 shown]
	v_lshlrev_b32_e32 v38, 3, v0
	v_lshl_add_u32 v41, v1, 5, 0x800
	v_mov_b32_e32 v3, 0
	v_mov_b32_e32 v5, 0
	;; [unrolled: 1-line block ×16, first 2 shown]
	v_add_co_ci_u32_e64 v37, null, s17, v37, vcc_lo
	s_lshl_b64 s[0:1], s[24:25], 5
	s_mov_b64 s[2:3], 0
.LBB68_2:                               ; =>This Inner Loop Header: Depth=1
	global_load_dwordx2 v[42:43], v[36:37], off
	global_load_dwordx2 v[44:45], v[34:35], off
	s_add_u32 s2, s2, 4
	s_addc_u32 s3, s3, 0
	v_add_co_u32 v34, vcc_lo, v34, s0
	v_cmp_lt_i64_e64 s6, s[2:3], s[12:13]
	v_add_co_ci_u32_e64 v35, null, s1, v35, vcc_lo
	v_add_co_u32 v36, vcc_lo, v36, 32
	v_add_co_ci_u32_e64 v37, null, 0, v37, vcc_lo
	s_and_b32 vcc_lo, exec_lo, s6
	s_waitcnt vmcnt(1)
	ds_write_b64 v39, v[42:43]
	s_waitcnt vmcnt(0)
	ds_write_b64 v40, v[44:45]
	s_waitcnt lgkmcnt(0)
	s_barrier
	buffer_gl0_inv
	ds_read_b128 v[42:45], v41
	ds_read2_b64 v[46:49], v38 offset1:16
	ds_read_b128 v[50:53], v41 offset:512
	ds_read_b128 v[54:57], v41 offset:16
	;; [unrolled: 1-line block ×3, first 2 shown]
	s_waitcnt lgkmcnt(3)
	v_fma_f64 v[74:75], v[48:49], v[42:43], v[30:31]
	s_waitcnt lgkmcnt(2)
	v_fma_f64 v[76:77], v[46:47], v[50:51], v[28:29]
	ds_read_b128 v[28:31], v41 offset:1024
	ds_read_b128 v[62:65], v41 offset:1040
	;; [unrolled: 1-line block ×4, first 2 shown]
	v_fma_f64 v[32:33], v[46:47], v[42:43], v[32:33]
	v_fma_f64 v[22:23], v[48:49], v[50:51], v[22:23]
	s_waitcnt lgkmcnt(3)
	v_fma_f64 v[18:19], v[46:47], v[28:29], v[18:19]
	v_fma_f64 v[14:15], v[48:49], v[28:29], v[14:15]
	s_waitcnt lgkmcnt(1)
	v_fma_f64 v[46:47], v[46:47], v[66:67], v[8:9]
	v_fma_f64 v[48:49], v[48:49], v[66:67], v[6:7]
	ds_read2_b64 v[6:9], v38 offset0:32 offset1:48
	s_waitcnt lgkmcnt(0)
	v_fma_f64 v[26:27], v[6:7], v[42:43], v[26:27]
	v_fma_f64 v[24:25], v[8:9], v[42:43], v[24:25]
	;; [unrolled: 1-line block ×8, first 2 shown]
	ds_read2_b64 v[2:5], v38 offset0:64 offset1:80
	ds_read2_b64 v[6:9], v38 offset0:96 offset1:112
	s_waitcnt lgkmcnt(1)
	v_fma_f64 v[32:33], v[2:3], v[44:45], v[32:33]
	v_fma_f64 v[50:51], v[4:5], v[44:45], v[74:75]
	s_waitcnt lgkmcnt(0)
	v_fma_f64 v[26:27], v[6:7], v[44:45], v[26:27]
	v_fma_f64 v[24:25], v[8:9], v[44:45], v[24:25]
	;; [unrolled: 1-line block ×10, first 2 shown]
	ds_read2_b64 v[2:5], v38 offset0:128 offset1:144
	v_fma_f64 v[20:21], v[6:7], v[52:53], v[20:21]
	v_fma_f64 v[16:17], v[8:9], v[52:53], v[16:17]
	;; [unrolled: 1-line block ×4, first 2 shown]
	s_waitcnt lgkmcnt(0)
	v_fma_f64 v[28:29], v[2:3], v[54:55], v[32:33]
	v_fma_f64 v[42:43], v[4:5], v[54:55], v[50:51]
	;; [unrolled: 1-line block ×8, first 2 shown]
	ds_read2_b64 v[2:5], v38 offset0:160 offset1:176
	s_waitcnt lgkmcnt(0)
	v_fma_f64 v[26:27], v[2:3], v[54:55], v[26:27]
	v_fma_f64 v[24:25], v[4:5], v[54:55], v[24:25]
	;; [unrolled: 1-line block ×8, first 2 shown]
	ds_read2_b64 v[2:5], v38 offset0:192 offset1:208
	s_waitcnt lgkmcnt(0)
	v_fma_f64 v[30:31], v[4:5], v[56:57], v[42:43]
	ds_read2_b64 v[42:45], v38 offset0:224 offset1:240
	v_fma_f64 v[32:33], v[2:3], v[56:57], v[28:29]
	v_fma_f64 v[28:29], v[2:3], v[60:61], v[48:49]
	;; [unrolled: 1-line block ×7, first 2 shown]
	s_waitcnt lgkmcnt(0)
	s_barrier
	buffer_gl0_inv
	v_fma_f64 v[26:27], v[42:43], v[56:57], v[26:27]
	v_fma_f64 v[24:25], v[44:45], v[56:57], v[24:25]
	;; [unrolled: 1-line block ×8, first 2 shown]
	s_cbranch_vccnz .LBB68_2
	s_branch .LBB68_4
.LBB68_3:
	v_mov_b32_e32 v32, 0
	v_mov_b32_e32 v30, 0
	;; [unrolled: 1-line block ×32, first 2 shown]
.LBB68_4:
	s_clause 0x1
	s_load_dwordx8 s[16:23], s[4:5], 0x50
	s_load_dwordx8 s[0:7], s[4:5], 0x70
	s_waitcnt lgkmcnt(0)
	v_cmp_neq_f64_e64 s6, s[16:17], 0
	s_mul_i32 s5, s5, s8
	s_mul_hi_u32 s7, s4, s8
	s_mul_i32 s4, s4, s8
	s_add_i32 s5, s7, s5
	v_add_co_u32 v34, s7, s28, v1
	v_add_co_ci_u32_e64 v37, null, s29, 0, s7
	v_add_co_u32 v0, s7, s10, v0
	v_add_co_ci_u32_e64 v1, null, s11, 0, s7
	v_mul_lo_u32 v35, v37, s2
	v_mul_lo_u32 v36, v34, s3
	s_lshl_b64 s[4:5], s[4:5], 3
	v_lshlrev_b64 v[0:1], 3, v[0:1]
	s_add_u32 s0, s0, s4
	s_addc_u32 s1, s1, s5
	s_and_b32 vcc_lo, exec_lo, s6
	s_cbranch_vccnz .LBB68_8
; %bb.5:
	v_mad_u64_u32 v[38:39], null, v34, s2, 0
	v_mul_f64 v[40:41], s[14:15], v[32:33]
	v_mul_f64 v[42:43], s[14:15], v[30:31]
	v_mul_f64 v[44:45], s[14:15], v[26:27]
	v_mul_f64 v[46:47], s[14:15], v[24:25]
	v_mul_f64 v[48:49], s[14:15], v[28:29]
	v_mul_f64 v[50:51], s[14:15], v[22:23]
	v_add3_u32 v39, v39, v36, v35
	v_mul_f64 v[52:53], s[14:15], v[20:21]
	s_lshl_b64 s[4:5], s[2:3], 7
	v_lshlrev_b64 v[38:39], 3, v[38:39]
	v_add_co_u32 v54, vcc_lo, s0, v38
	v_add_co_ci_u32_e64 v55, null, s1, v39, vcc_lo
	v_mul_f64 v[38:39], s[14:15], v[16:17]
	v_add_co_u32 v58, vcc_lo, v54, s4
	v_add_co_ci_u32_e64 v59, null, s5, v55, vcc_lo
	v_add_co_u32 v54, vcc_lo, v54, v0
	v_add_co_ci_u32_e64 v55, null, v55, v1, vcc_lo
	;; [unrolled: 2-line block ×3, first 2 shown]
	global_store_dwordx2 v[54:55], v[40:41], off
	global_store_dwordx2 v[54:55], v[42:43], off offset:128
	global_store_dwordx2 v[54:55], v[44:45], off offset:256
	;; [unrolled: 1-line block ×3, first 2 shown]
	global_store_dwordx2 v[56:57], v[48:49], off
	global_store_dwordx2 v[56:57], v[50:51], off offset:128
	global_store_dwordx2 v[56:57], v[52:53], off offset:256
	v_mul_f64 v[40:41], s[14:15], v[18:19]
	v_mul_f64 v[54:55], s[14:15], v[2:3]
	;; [unrolled: 1-line block ×7, first 2 shown]
	v_add_co_u32 v58, vcc_lo, v58, s4
	v_mul_f64 v[52:53], s[14:15], v[4:5]
	v_add_co_ci_u32_e64 v59, null, s5, v59, vcc_lo
	global_store_dwordx2 v[56:57], v[38:39], off offset:384
	v_add_co_u32 v56, vcc_lo, v58, s4
	v_add_co_ci_u32_e64 v57, null, s5, v59, vcc_lo
	v_add_co_u32 v38, vcc_lo, v58, v0
	v_add_co_ci_u32_e64 v39, null, v59, v1, vcc_lo
	;; [unrolled: 2-line block ×3, first 2 shown]
	global_store_dwordx2 v[38:39], v[40:41], off
	global_store_dwordx2 v[38:39], v[42:43], off offset:128
	global_store_dwordx2 v[38:39], v[44:45], off offset:256
	;; [unrolled: 1-line block ×3, first 2 shown]
	global_store_dwordx2 v[56:57], v[48:49], off
	global_store_dwordx2 v[56:57], v[50:51], off offset:128
	global_store_dwordx2 v[56:57], v[52:53], off offset:256
	;; [unrolled: 1-line block ×3, first 2 shown]
	s_cbranch_execnz .LBB68_7
.LBB68_6:
	v_mul_lo_u32 v39, v37, s20
	v_mul_lo_u32 v40, v34, s21
	v_mad_u64_u32 v[37:38], null, v34, s20, 0
	s_mul_i32 s5, s23, s8
	s_mul_hi_u32 s6, s22, s8
	s_mul_i32 s4, s22, s8
	s_add_i32 s5, s6, s5
	v_mad_u64_u32 v[41:42], null, v34, s2, 0
	v_add3_u32 v38, v38, v40, v39
	s_lshl_b64 s[4:5], s[4:5], 3
	s_add_u32 s4, s18, s4
	s_addc_u32 s5, s19, s5
	v_lshlrev_b64 v[37:38], 3, v[37:38]
	v_add3_u32 v42, v42, v36, v35
	s_lshl_b64 s[2:3], s[2:3], 7
	v_lshlrev_b64 v[34:35], 3, v[41:42]
	v_add_co_u32 v43, vcc_lo, s4, v37
	v_add_co_ci_u32_e64 v44, null, s5, v38, vcc_lo
	v_add_co_u32 v37, vcc_lo, v43, v0
	v_add_co_ci_u32_e64 v38, null, v44, v1, vcc_lo
	v_add_co_u32 v36, vcc_lo, s0, v34
	global_load_dwordx2 v[39:40], v[37:38], off
	s_waitcnt vmcnt(0)
	v_mul_f64 v[39:40], s[16:17], v[39:40]
	v_fma_f64 v[32:33], s[14:15], v[32:33], v[39:40]
	v_add_co_ci_u32_e64 v39, null, s1, v35, vcc_lo
	v_add_co_u32 v34, vcc_lo, v36, v0
	s_lshl_b64 s[0:1], s[20:21], 7
	v_add_co_ci_u32_e64 v35, null, v39, v1, vcc_lo
	global_store_dwordx2 v[34:35], v[32:33], off
	global_load_dwordx2 v[32:33], v[37:38], off offset:128
	s_waitcnt vmcnt(0)
	v_mul_f64 v[32:33], s[16:17], v[32:33]
	v_fma_f64 v[30:31], s[14:15], v[30:31], v[32:33]
	global_store_dwordx2 v[34:35], v[30:31], off offset:128
	global_load_dwordx2 v[30:31], v[37:38], off offset:256
	s_waitcnt vmcnt(0)
	v_mul_f64 v[30:31], s[16:17], v[30:31]
	v_fma_f64 v[26:27], s[14:15], v[26:27], v[30:31]
	v_add_co_u32 v30, vcc_lo, v43, s0
	v_add_co_ci_u32_e64 v31, null, s1, v44, vcc_lo
	global_store_dwordx2 v[34:35], v[26:27], off offset:256
	global_load_dwordx2 v[26:27], v[37:38], off offset:384
	s_waitcnt vmcnt(0)
	v_mul_f64 v[26:27], s[16:17], v[26:27]
	v_fma_f64 v[24:25], s[14:15], v[24:25], v[26:27]
	v_add_co_u32 v26, vcc_lo, v30, v0
	v_add_co_ci_u32_e64 v27, null, v31, v1, vcc_lo
	v_add_co_u32 v32, vcc_lo, v36, s2
	v_add_co_ci_u32_e64 v33, null, s3, v39, vcc_lo
	global_store_dwordx2 v[34:35], v[24:25], off offset:384
	global_load_dwordx2 v[24:25], v[26:27], off
	s_waitcnt vmcnt(0)
	v_mul_f64 v[24:25], s[16:17], v[24:25]
	v_fma_f64 v[24:25], s[14:15], v[28:29], v[24:25]
	v_add_co_u32 v28, vcc_lo, v32, v0
	v_add_co_ci_u32_e64 v29, null, v33, v1, vcc_lo
	global_store_dwordx2 v[28:29], v[24:25], off
	global_load_dwordx2 v[24:25], v[26:27], off offset:128
	s_waitcnt vmcnt(0)
	v_mul_f64 v[24:25], s[16:17], v[24:25]
	v_fma_f64 v[22:23], s[14:15], v[22:23], v[24:25]
	global_store_dwordx2 v[28:29], v[22:23], off offset:128
	global_load_dwordx2 v[22:23], v[26:27], off offset:256
	s_waitcnt vmcnt(0)
	v_mul_f64 v[22:23], s[16:17], v[22:23]
	v_fma_f64 v[20:21], s[14:15], v[20:21], v[22:23]
	v_add_co_u32 v22, vcc_lo, v30, s0
	v_add_co_ci_u32_e64 v23, null, s1, v31, vcc_lo
	global_store_dwordx2 v[28:29], v[20:21], off offset:256
	global_load_dwordx2 v[20:21], v[26:27], off offset:384
	s_waitcnt vmcnt(0)
	v_mul_f64 v[20:21], s[16:17], v[20:21]
	v_fma_f64 v[16:17], s[14:15], v[16:17], v[20:21]
	v_add_co_u32 v20, vcc_lo, v22, v0
	v_add_co_ci_u32_e64 v21, null, v23, v1, vcc_lo
	v_add_co_u32 v24, vcc_lo, v32, s2
	v_add_co_ci_u32_e64 v25, null, s3, v33, vcc_lo
	global_store_dwordx2 v[28:29], v[16:17], off offset:384
	global_load_dwordx2 v[16:17], v[20:21], off
	s_waitcnt vmcnt(0)
	v_mul_f64 v[16:17], s[16:17], v[16:17]
	v_fma_f64 v[16:17], s[14:15], v[18:19], v[16:17]
	v_add_co_u32 v18, vcc_lo, v24, v0
	v_add_co_ci_u32_e64 v19, null, v25, v1, vcc_lo
	global_store_dwordx2 v[18:19], v[16:17], off
	global_load_dwordx2 v[16:17], v[20:21], off offset:128
	s_waitcnt vmcnt(0)
	v_mul_f64 v[16:17], s[16:17], v[16:17]
	v_fma_f64 v[14:15], s[14:15], v[14:15], v[16:17]
	global_store_dwordx2 v[18:19], v[14:15], off offset:128
	global_load_dwordx2 v[14:15], v[20:21], off offset:256
	s_waitcnt vmcnt(0)
	v_mul_f64 v[14:15], s[16:17], v[14:15]
	v_fma_f64 v[12:13], s[14:15], v[12:13], v[14:15]
	global_store_dwordx2 v[18:19], v[12:13], off offset:256
	global_load_dwordx2 v[12:13], v[20:21], off offset:384
	s_waitcnt vmcnt(0)
	v_mul_f64 v[12:13], s[16:17], v[12:13]
	v_fma_f64 v[10:11], s[14:15], v[10:11], v[12:13]
	v_add_co_u32 v12, vcc_lo, v22, s0
	v_add_co_ci_u32_e64 v13, null, s1, v23, vcc_lo
	v_add_co_u32 v12, vcc_lo, v12, v0
	v_add_co_ci_u32_e64 v13, null, v13, v1, vcc_lo
	global_store_dwordx2 v[18:19], v[10:11], off offset:384
	global_load_dwordx2 v[10:11], v[12:13], off
	s_waitcnt vmcnt(0)
	v_mul_f64 v[10:11], s[16:17], v[10:11]
	v_fma_f64 v[8:9], s[14:15], v[8:9], v[10:11]
	v_add_co_u32 v10, vcc_lo, v24, s2
	v_add_co_ci_u32_e64 v11, null, s3, v25, vcc_lo
	v_add_co_u32 v0, vcc_lo, v10, v0
	v_add_co_ci_u32_e64 v1, null, v11, v1, vcc_lo
	global_store_dwordx2 v[0:1], v[8:9], off
	global_load_dwordx2 v[8:9], v[12:13], off offset:128
	s_waitcnt vmcnt(0)
	v_mul_f64 v[8:9], s[16:17], v[8:9]
	v_fma_f64 v[6:7], s[14:15], v[6:7], v[8:9]
	global_store_dwordx2 v[0:1], v[6:7], off offset:128
	global_load_dwordx2 v[6:7], v[12:13], off offset:256
	s_waitcnt vmcnt(0)
	v_mul_f64 v[6:7], s[16:17], v[6:7]
	v_fma_f64 v[4:5], s[14:15], v[4:5], v[6:7]
	global_store_dwordx2 v[0:1], v[4:5], off offset:256
	;; [unrolled: 5-line block ×3, first 2 shown]
.LBB68_7:
	s_endpgm
.LBB68_8:
	s_branch .LBB68_6
	.section	.rodata,"a",@progbits
	.p2align	6, 0x0
	.amdhsa_kernel _ZN12_GLOBAL__N_127rocblas_gemm_batched_kernelIdLi16ELi16ELi64ELi64ELi4ELi64ELi4ELi4ELi64ELc84ELc67EKdS1_dEEvlllT_PT11_llS4_llS2_PT12_llPT13_lli
		.amdhsa_group_segment_fixed_size 4096
		.amdhsa_private_segment_fixed_size 0
		.amdhsa_kernarg_size 140
		.amdhsa_user_sgpr_count 6
		.amdhsa_user_sgpr_private_segment_buffer 1
		.amdhsa_user_sgpr_dispatch_ptr 0
		.amdhsa_user_sgpr_queue_ptr 0
		.amdhsa_user_sgpr_kernarg_segment_ptr 1
		.amdhsa_user_sgpr_dispatch_id 0
		.amdhsa_user_sgpr_flat_scratch_init 0
		.amdhsa_user_sgpr_private_segment_size 0
		.amdhsa_wavefront_size32 1
		.amdhsa_uses_dynamic_stack 0
		.amdhsa_system_sgpr_private_segment_wavefront_offset 0
		.amdhsa_system_sgpr_workgroup_id_x 1
		.amdhsa_system_sgpr_workgroup_id_y 1
		.amdhsa_system_sgpr_workgroup_id_z 1
		.amdhsa_system_sgpr_workgroup_info 0
		.amdhsa_system_vgpr_workitem_id 1
		.amdhsa_next_free_vgpr 78
		.amdhsa_next_free_sgpr 30
		.amdhsa_reserve_vcc 1
		.amdhsa_reserve_flat_scratch 0
		.amdhsa_float_round_mode_32 0
		.amdhsa_float_round_mode_16_64 0
		.amdhsa_float_denorm_mode_32 3
		.amdhsa_float_denorm_mode_16_64 3
		.amdhsa_dx10_clamp 1
		.amdhsa_ieee_mode 1
		.amdhsa_fp16_overflow 0
		.amdhsa_workgroup_processor_mode 1
		.amdhsa_memory_ordered 1
		.amdhsa_forward_progress 1
		.amdhsa_shared_vgpr_count 0
		.amdhsa_exception_fp_ieee_invalid_op 0
		.amdhsa_exception_fp_denorm_src 0
		.amdhsa_exception_fp_ieee_div_zero 0
		.amdhsa_exception_fp_ieee_overflow 0
		.amdhsa_exception_fp_ieee_underflow 0
		.amdhsa_exception_fp_ieee_inexact 0
		.amdhsa_exception_int_div_zero 0
	.end_amdhsa_kernel
	.section	.text._ZN12_GLOBAL__N_127rocblas_gemm_batched_kernelIdLi16ELi16ELi64ELi64ELi4ELi64ELi4ELi4ELi64ELc84ELc67EKdS1_dEEvlllT_PT11_llS4_llS2_PT12_llPT13_lli,"axG",@progbits,_ZN12_GLOBAL__N_127rocblas_gemm_batched_kernelIdLi16ELi16ELi64ELi64ELi4ELi64ELi4ELi4ELi64ELc84ELc67EKdS1_dEEvlllT_PT11_llS4_llS2_PT12_llPT13_lli,comdat
.Lfunc_end68:
	.size	_ZN12_GLOBAL__N_127rocblas_gemm_batched_kernelIdLi16ELi16ELi64ELi64ELi4ELi64ELi4ELi4ELi64ELc84ELc67EKdS1_dEEvlllT_PT11_llS4_llS2_PT12_llPT13_lli, .Lfunc_end68-_ZN12_GLOBAL__N_127rocblas_gemm_batched_kernelIdLi16ELi16ELi64ELi64ELi4ELi64ELi4ELi4ELi64ELc84ELc67EKdS1_dEEvlllT_PT11_llS4_llS2_PT12_llPT13_lli
                                        ; -- End function
	.set _ZN12_GLOBAL__N_127rocblas_gemm_batched_kernelIdLi16ELi16ELi64ELi64ELi4ELi64ELi4ELi4ELi64ELc84ELc67EKdS1_dEEvlllT_PT11_llS4_llS2_PT12_llPT13_lli.num_vgpr, 78
	.set _ZN12_GLOBAL__N_127rocblas_gemm_batched_kernelIdLi16ELi16ELi64ELi64ELi4ELi64ELi4ELi4ELi64ELc84ELc67EKdS1_dEEvlllT_PT11_llS4_llS2_PT12_llPT13_lli.num_agpr, 0
	.set _ZN12_GLOBAL__N_127rocblas_gemm_batched_kernelIdLi16ELi16ELi64ELi64ELi4ELi64ELi4ELi4ELi64ELc84ELc67EKdS1_dEEvlllT_PT11_llS4_llS2_PT12_llPT13_lli.numbered_sgpr, 30
	.set _ZN12_GLOBAL__N_127rocblas_gemm_batched_kernelIdLi16ELi16ELi64ELi64ELi4ELi64ELi4ELi4ELi64ELc84ELc67EKdS1_dEEvlllT_PT11_llS4_llS2_PT12_llPT13_lli.num_named_barrier, 0
	.set _ZN12_GLOBAL__N_127rocblas_gemm_batched_kernelIdLi16ELi16ELi64ELi64ELi4ELi64ELi4ELi4ELi64ELc84ELc67EKdS1_dEEvlllT_PT11_llS4_llS2_PT12_llPT13_lli.private_seg_size, 0
	.set _ZN12_GLOBAL__N_127rocblas_gemm_batched_kernelIdLi16ELi16ELi64ELi64ELi4ELi64ELi4ELi4ELi64ELc84ELc67EKdS1_dEEvlllT_PT11_llS4_llS2_PT12_llPT13_lli.uses_vcc, 1
	.set _ZN12_GLOBAL__N_127rocblas_gemm_batched_kernelIdLi16ELi16ELi64ELi64ELi4ELi64ELi4ELi4ELi64ELc84ELc67EKdS1_dEEvlllT_PT11_llS4_llS2_PT12_llPT13_lli.uses_flat_scratch, 0
	.set _ZN12_GLOBAL__N_127rocblas_gemm_batched_kernelIdLi16ELi16ELi64ELi64ELi4ELi64ELi4ELi4ELi64ELc84ELc67EKdS1_dEEvlllT_PT11_llS4_llS2_PT12_llPT13_lli.has_dyn_sized_stack, 0
	.set _ZN12_GLOBAL__N_127rocblas_gemm_batched_kernelIdLi16ELi16ELi64ELi64ELi4ELi64ELi4ELi4ELi64ELc84ELc67EKdS1_dEEvlllT_PT11_llS4_llS2_PT12_llPT13_lli.has_recursion, 0
	.set _ZN12_GLOBAL__N_127rocblas_gemm_batched_kernelIdLi16ELi16ELi64ELi64ELi4ELi64ELi4ELi4ELi64ELc84ELc67EKdS1_dEEvlllT_PT11_llS4_llS2_PT12_llPT13_lli.has_indirect_call, 0
	.section	.AMDGPU.csdata,"",@progbits
; Kernel info:
; codeLenInByte = 2896
; TotalNumSgprs: 32
; NumVgprs: 78
; ScratchSize: 0
; MemoryBound: 0
; FloatMode: 240
; IeeeMode: 1
; LDSByteSize: 4096 bytes/workgroup (compile time only)
; SGPRBlocks: 0
; VGPRBlocks: 9
; NumSGPRsForWavesPerEU: 32
; NumVGPRsForWavesPerEU: 78
; Occupancy: 12
; WaveLimiterHint : 1
; COMPUTE_PGM_RSRC2:SCRATCH_EN: 0
; COMPUTE_PGM_RSRC2:USER_SGPR: 6
; COMPUTE_PGM_RSRC2:TRAP_HANDLER: 0
; COMPUTE_PGM_RSRC2:TGID_X_EN: 1
; COMPUTE_PGM_RSRC2:TGID_Y_EN: 1
; COMPUTE_PGM_RSRC2:TGID_Z_EN: 1
; COMPUTE_PGM_RSRC2:TIDIG_COMP_CNT: 1
	.section	.text._ZN12_GLOBAL__N_127rocblas_gemm_batched_kernelIdLi16ELi16ELi32ELi32ELi8ELi32ELi8ELi8ELi32ELc78ELc78EKdS1_dEEvlllT_PT11_llS4_llS2_PT12_llPT13_lli,"axG",@progbits,_ZN12_GLOBAL__N_127rocblas_gemm_batched_kernelIdLi16ELi16ELi32ELi32ELi8ELi32ELi8ELi8ELi32ELc78ELc78EKdS1_dEEvlllT_PT11_llS4_llS2_PT12_llPT13_lli,comdat
	.globl	_ZN12_GLOBAL__N_127rocblas_gemm_batched_kernelIdLi16ELi16ELi32ELi32ELi8ELi32ELi8ELi8ELi32ELc78ELc78EKdS1_dEEvlllT_PT11_llS4_llS2_PT12_llPT13_lli ; -- Begin function _ZN12_GLOBAL__N_127rocblas_gemm_batched_kernelIdLi16ELi16ELi32ELi32ELi8ELi32ELi8ELi8ELi32ELc78ELc78EKdS1_dEEvlllT_PT11_llS4_llS2_PT12_llPT13_lli
	.p2align	8
	.type	_ZN12_GLOBAL__N_127rocblas_gemm_batched_kernelIdLi16ELi16ELi32ELi32ELi8ELi32ELi8ELi8ELi32ELc78ELc78EKdS1_dEEvlllT_PT11_llS4_llS2_PT12_llPT13_lli,@function
_ZN12_GLOBAL__N_127rocblas_gemm_batched_kernelIdLi16ELi16ELi32ELi32ELi8ELi32ELi8ELi8ELi32ELc78ELc78EKdS1_dEEvlllT_PT11_llS4_llS2_PT12_llPT13_lli: ; @_ZN12_GLOBAL__N_127rocblas_gemm_batched_kernelIdLi16ELi16ELi32ELi32ELi8ELi32ELi8ELi8ELi32ELc78ELc78EKdS1_dEEvlllT_PT11_llS4_llS2_PT12_llPT13_lli
; %bb.0:
	s_load_dwordx16 s[12:27], s[4:5], 0x10
	s_mov_b32 s0, s7
	s_ashr_i32 s7, s6, 31
	s_ashr_i32 s1, s0, 31
	s_lshl_b64 s[10:11], s[6:7], 5
	s_lshl_b64 s[28:29], s[0:1], 5
	s_waitcnt lgkmcnt(0)
	v_cmp_lt_i64_e64 s2, s[12:13], 1
	s_and_b32 vcc_lo, exec_lo, s2
	s_cbranch_vccnz .LBB69_3
; %bb.1:
	v_lshl_add_u32 v4, v1, 4, v0
	v_and_b32_e32 v5, 7, v0
	s_mul_i32 s1, s27, s8
	s_mul_hi_u32 s2, s26, s8
	s_mul_i32 s3, s21, s8
	v_lshrrev_b32_e32 v6, 3, v4
	v_lshlrev_b32_e32 v11, 3, v5
	v_lshrrev_b32_e32 v9, 5, v4
	v_and_b32_e32 v10, 31, v4
	s_add_i32 s1, s2, s1
	v_add_co_u32 v2, s0, v6, s28
	v_add_co_ci_u32_e64 v3, null, 0, s29, s0
	v_lshl_or_b32 v6, v6, 6, v11
	v_mul_lo_u32 v7, s25, v2
	s_mul_i32 s0, s26, s8
	v_mul_lo_u32 v8, s24, v3
	v_mad_u64_u32 v[2:3], null, s24, v2, 0
	v_mad_u64_u32 v[4:5], null, s18, v9, s[10:11]
	s_lshl_b64 s[0:1], s[0:1], 3
	v_add_nc_u32_e32 v17, 0x800, v6
	s_mul_hi_u32 s6, s20, s8
	v_lshlrev_b32_e32 v14, 3, v0
	v_add3_u32 v3, v3, v8, v7
	v_lshlrev_b32_e32 v7, 3, v10
	v_lshl_add_u32 v15, v1, 6, 0x800
	v_lshlrev_b64 v[2:3], 3, v[2:3]
	v_lshl_or_b32 v16, v9, 8, v7
	v_add_co_u32 v6, vcc_lo, v2, s0
	v_add_co_ci_u32_e64 v7, null, s1, v3, vcc_lo
	s_add_i32 s1, s6, s3
	v_mad_u64_u32 v[2:3], null, s19, v9, v[5:6]
	v_add_co_u32 v5, vcc_lo, v6, v11
	v_add_co_ci_u32_e64 v6, null, 0, v7, vcc_lo
	v_add_co_u32 v3, vcc_lo, v4, v10
	v_add_co_ci_u32_e64 v4, null, 0, v2, vcc_lo
	s_mul_i32 s0, s20, s8
	v_add_co_u32 v10, vcc_lo, s22, v5
	v_lshlrev_b64 v[12:13], 3, v[3:4]
	s_lshl_b64 s[0:1], s[0:1], 3
	v_add_co_ci_u32_e64 v11, null, s23, v6, vcc_lo
	s_add_u32 s0, s16, s0
	s_addc_u32 s1, s17, s1
	v_add_co_u32 v12, vcc_lo, s0, v12
	v_mov_b32_e32 v2, 0
	v_mov_b32_e32 v4, 0
	v_mov_b32_e32 v6, 0
	v_mov_b32_e32 v8, 0
	v_mov_b32_e32 v3, 0
	v_mov_b32_e32 v5, 0
	v_mov_b32_e32 v7, 0
	v_mov_b32_e32 v9, 0
	v_add_co_ci_u32_e64 v13, null, s1, v13, vcc_lo
	s_lshl_b64 s[0:1], s[18:19], 6
	s_mov_b64 s[2:3], 0
.LBB69_2:                               ; =>This Inner Loop Header: Depth=1
	global_load_dwordx2 v[18:19], v[12:13], off
	global_load_dwordx2 v[20:21], v[10:11], off
	s_add_u32 s2, s2, 8
	s_addc_u32 s3, s3, 0
	v_add_co_u32 v10, vcc_lo, v10, 64
	v_cmp_lt_i64_e64 s6, s[2:3], s[12:13]
	v_add_co_ci_u32_e64 v11, null, 0, v11, vcc_lo
	v_add_co_u32 v12, vcc_lo, v12, s0
	v_add_co_ci_u32_e64 v13, null, s1, v13, vcc_lo
	s_and_b32 vcc_lo, exec_lo, s6
	s_waitcnt vmcnt(1)
	ds_write_b64 v16, v[18:19]
	s_waitcnt vmcnt(0)
	ds_write_b64 v17, v[20:21]
	s_waitcnt lgkmcnt(0)
	s_barrier
	buffer_gl0_inv
	ds_read_b128 v[18:21], v15
	ds_read2_b64 v[22:25], v14 offset1:16
	ds_read_b128 v[26:29], v15 offset:1024
	ds_read_b128 v[30:33], v15 offset:16
	;; [unrolled: 1-line block ×3, first 2 shown]
	s_waitcnt lgkmcnt(3)
	v_fma_f64 v[8:9], v[22:23], v[18:19], v[8:9]
	v_fma_f64 v[6:7], v[24:25], v[18:19], v[6:7]
	s_waitcnt lgkmcnt(2)
	v_fma_f64 v[18:19], v[22:23], v[26:27], v[4:5]
	v_fma_f64 v[22:23], v[24:25], v[26:27], v[2:3]
	ds_read2_b64 v[2:5], v14 offset0:32 offset1:48
	s_waitcnt lgkmcnt(0)
	v_fma_f64 v[8:9], v[2:3], v[20:21], v[8:9]
	v_fma_f64 v[6:7], v[4:5], v[20:21], v[6:7]
	;; [unrolled: 1-line block ×4, first 2 shown]
	ds_read2_b64 v[2:5], v14 offset0:64 offset1:80
	s_waitcnt lgkmcnt(0)
	v_fma_f64 v[22:23], v[2:3], v[30:31], v[8:9]
	v_fma_f64 v[24:25], v[4:5], v[30:31], v[6:7]
	;; [unrolled: 1-line block ×4, first 2 shown]
	ds_read2_b64 v[2:5], v14 offset0:96 offset1:112
	ds_read_b128 v[6:9], v15 offset:32
	ds_read2_b64 v[18:21], v14 offset0:128 offset1:144
	s_waitcnt lgkmcnt(2)
	v_fma_f64 v[30:31], v[2:3], v[32:33], v[22:23]
	v_fma_f64 v[32:33], v[4:5], v[32:33], v[24:25]
	;; [unrolled: 1-line block ×4, first 2 shown]
	ds_read_b128 v[2:5], v15 offset:1056
	ds_read_b128 v[22:25], v15 offset:48
	;; [unrolled: 1-line block ×3, first 2 shown]
	s_waitcnt lgkmcnt(3)
	v_fma_f64 v[30:31], v[18:19], v[6:7], v[30:31]
	v_fma_f64 v[6:7], v[20:21], v[6:7], v[32:33]
	s_waitcnt lgkmcnt(2)
	v_fma_f64 v[32:33], v[18:19], v[2:3], v[34:35]
	v_fma_f64 v[2:3], v[20:21], v[2:3], v[36:37]
	ds_read2_b64 v[18:21], v14 offset0:160 offset1:176
	s_waitcnt lgkmcnt(0)
	v_fma_f64 v[30:31], v[18:19], v[8:9], v[30:31]
	v_fma_f64 v[6:7], v[20:21], v[8:9], v[6:7]
	;; [unrolled: 1-line block ×4, first 2 shown]
	ds_read2_b64 v[2:5], v14 offset0:192 offset1:208
	s_waitcnt lgkmcnt(0)
	v_fma_f64 v[30:31], v[2:3], v[22:23], v[30:31]
	v_fma_f64 v[6:7], v[4:5], v[22:23], v[6:7]
	v_fma_f64 v[2:3], v[2:3], v[26:27], v[8:9]
	v_fma_f64 v[22:23], v[4:5], v[26:27], v[18:19]
	ds_read2_b64 v[18:21], v14 offset0:224 offset1:240
	s_waitcnt lgkmcnt(0)
	s_barrier
	buffer_gl0_inv
	v_fma_f64 v[8:9], v[18:19], v[24:25], v[30:31]
	v_fma_f64 v[6:7], v[20:21], v[24:25], v[6:7]
	;; [unrolled: 1-line block ×4, first 2 shown]
	s_cbranch_vccnz .LBB69_2
	s_branch .LBB69_4
.LBB69_3:
	v_mov_b32_e32 v8, 0
	v_mov_b32_e32 v6, 0
	;; [unrolled: 1-line block ×8, first 2 shown]
.LBB69_4:
	s_clause 0x1
	s_load_dwordx8 s[16:23], s[4:5], 0x50
	s_load_dwordx8 s[0:7], s[4:5], 0x70
	s_waitcnt lgkmcnt(0)
	v_cmp_neq_f64_e64 s6, s[16:17], 0
	s_mul_i32 s5, s5, s8
	s_mul_hi_u32 s7, s4, s8
	s_mul_i32 s4, s4, s8
	s_add_i32 s5, s7, s5
	v_add_co_u32 v10, s7, s28, v1
	v_add_co_ci_u32_e64 v13, null, s29, 0, s7
	v_add_co_u32 v0, s7, s10, v0
	v_add_co_ci_u32_e64 v1, null, s11, 0, s7
	v_mul_lo_u32 v11, v13, s2
	v_mul_lo_u32 v12, v10, s3
	s_lshl_b64 s[4:5], s[4:5], 3
	v_lshlrev_b64 v[0:1], 3, v[0:1]
	s_add_u32 s0, s0, s4
	s_addc_u32 s1, s1, s5
	s_and_b32 vcc_lo, exec_lo, s6
	s_cbranch_vccnz .LBB69_8
; %bb.5:
	v_mad_u64_u32 v[14:15], null, v10, s2, 0
	v_mul_f64 v[16:17], s[14:15], v[8:9]
	v_mul_f64 v[18:19], s[14:15], v[6:7]
	;; [unrolled: 1-line block ×4, first 2 shown]
	s_lshl_b64 s[4:5], s[2:3], 7
	v_add3_u32 v15, v15, v12, v11
	v_lshlrev_b64 v[14:15], 3, v[14:15]
	v_add_co_u32 v14, vcc_lo, s0, v14
	v_add_co_ci_u32_e64 v15, null, s1, v15, vcc_lo
	v_add_co_u32 v24, vcc_lo, v14, s4
	v_add_co_ci_u32_e64 v25, null, s5, v15, vcc_lo
	;; [unrolled: 2-line block ×4, first 2 shown]
	global_store_dwordx2 v[14:15], v[16:17], off
	global_store_dwordx2 v[14:15], v[18:19], off offset:128
	global_store_dwordx2 v[24:25], v[20:21], off
	global_store_dwordx2 v[24:25], v[22:23], off offset:128
	s_cbranch_execnz .LBB69_7
.LBB69_6:
	v_mul_lo_u32 v15, v13, s20
	v_mul_lo_u32 v16, v10, s21
	v_mad_u64_u32 v[13:14], null, v10, s20, 0
	s_mul_i32 s5, s23, s8
	s_mul_hi_u32 s6, s22, s8
	s_mul_i32 s4, s22, s8
	s_add_i32 s5, s6, s5
	v_mad_u64_u32 v[17:18], null, v10, s2, 0
	v_add3_u32 v14, v14, v16, v15
	s_lshl_b64 s[4:5], s[4:5], 3
	s_add_u32 s4, s18, s4
	s_addc_u32 s5, s19, s5
	v_lshlrev_b64 v[13:14], 3, v[13:14]
	v_add3_u32 v18, v18, v12, v11
	v_lshlrev_b64 v[10:11], 3, v[17:18]
	v_add_co_u32 v19, vcc_lo, s4, v13
	v_add_co_ci_u32_e64 v20, null, s5, v14, vcc_lo
	v_add_co_u32 v13, vcc_lo, v19, v0
	v_add_co_ci_u32_e64 v14, null, v20, v1, vcc_lo
	v_add_co_u32 v12, vcc_lo, s0, v10
	global_load_dwordx2 v[15:16], v[13:14], off
	s_waitcnt vmcnt(0)
	v_mul_f64 v[15:16], s[16:17], v[15:16]
	v_fma_f64 v[8:9], s[14:15], v[8:9], v[15:16]
	v_add_co_ci_u32_e64 v15, null, s1, v11, vcc_lo
	v_add_co_u32 v10, vcc_lo, v12, v0
	s_lshl_b64 s[0:1], s[20:21], 7
	v_add_co_ci_u32_e64 v11, null, v15, v1, vcc_lo
	global_store_dwordx2 v[10:11], v[8:9], off
	global_load_dwordx2 v[8:9], v[13:14], off offset:128
	s_waitcnt vmcnt(0)
	v_mul_f64 v[8:9], s[16:17], v[8:9]
	v_fma_f64 v[6:7], s[14:15], v[6:7], v[8:9]
	v_add_co_u32 v8, vcc_lo, v19, s0
	v_add_co_ci_u32_e64 v9, null, s1, v20, vcc_lo
	s_lshl_b64 s[0:1], s[2:3], 7
	v_add_co_u32 v8, vcc_lo, v8, v0
	v_add_co_ci_u32_e64 v9, null, v9, v1, vcc_lo
	global_store_dwordx2 v[10:11], v[6:7], off offset:128
	global_load_dwordx2 v[6:7], v[8:9], off
	s_waitcnt vmcnt(0)
	v_mul_f64 v[6:7], s[16:17], v[6:7]
	v_fma_f64 v[4:5], s[14:15], v[4:5], v[6:7]
	v_add_co_u32 v6, vcc_lo, v12, s0
	v_add_co_ci_u32_e64 v7, null, s1, v15, vcc_lo
	v_add_co_u32 v0, vcc_lo, v6, v0
	v_add_co_ci_u32_e64 v1, null, v7, v1, vcc_lo
	global_store_dwordx2 v[0:1], v[4:5], off
	global_load_dwordx2 v[4:5], v[8:9], off offset:128
	s_waitcnt vmcnt(0)
	v_mul_f64 v[4:5], s[16:17], v[4:5]
	v_fma_f64 v[2:3], s[14:15], v[2:3], v[4:5]
	global_store_dwordx2 v[0:1], v[2:3], off offset:128
.LBB69_7:
	s_endpgm
.LBB69_8:
	s_branch .LBB69_6
	.section	.rodata,"a",@progbits
	.p2align	6, 0x0
	.amdhsa_kernel _ZN12_GLOBAL__N_127rocblas_gemm_batched_kernelIdLi16ELi16ELi32ELi32ELi8ELi32ELi8ELi8ELi32ELc78ELc78EKdS1_dEEvlllT_PT11_llS4_llS2_PT12_llPT13_lli
		.amdhsa_group_segment_fixed_size 4096
		.amdhsa_private_segment_fixed_size 0
		.amdhsa_kernarg_size 140
		.amdhsa_user_sgpr_count 6
		.amdhsa_user_sgpr_private_segment_buffer 1
		.amdhsa_user_sgpr_dispatch_ptr 0
		.amdhsa_user_sgpr_queue_ptr 0
		.amdhsa_user_sgpr_kernarg_segment_ptr 1
		.amdhsa_user_sgpr_dispatch_id 0
		.amdhsa_user_sgpr_flat_scratch_init 0
		.amdhsa_user_sgpr_private_segment_size 0
		.amdhsa_wavefront_size32 1
		.amdhsa_uses_dynamic_stack 0
		.amdhsa_system_sgpr_private_segment_wavefront_offset 0
		.amdhsa_system_sgpr_workgroup_id_x 1
		.amdhsa_system_sgpr_workgroup_id_y 1
		.amdhsa_system_sgpr_workgroup_id_z 1
		.amdhsa_system_sgpr_workgroup_info 0
		.amdhsa_system_vgpr_workitem_id 1
		.amdhsa_next_free_vgpr 38
		.amdhsa_next_free_sgpr 30
		.amdhsa_reserve_vcc 1
		.amdhsa_reserve_flat_scratch 0
		.amdhsa_float_round_mode_32 0
		.amdhsa_float_round_mode_16_64 0
		.amdhsa_float_denorm_mode_32 3
		.amdhsa_float_denorm_mode_16_64 3
		.amdhsa_dx10_clamp 1
		.amdhsa_ieee_mode 1
		.amdhsa_fp16_overflow 0
		.amdhsa_workgroup_processor_mode 1
		.amdhsa_memory_ordered 1
		.amdhsa_forward_progress 1
		.amdhsa_shared_vgpr_count 0
		.amdhsa_exception_fp_ieee_invalid_op 0
		.amdhsa_exception_fp_denorm_src 0
		.amdhsa_exception_fp_ieee_div_zero 0
		.amdhsa_exception_fp_ieee_overflow 0
		.amdhsa_exception_fp_ieee_underflow 0
		.amdhsa_exception_fp_ieee_inexact 0
		.amdhsa_exception_int_div_zero 0
	.end_amdhsa_kernel
	.section	.text._ZN12_GLOBAL__N_127rocblas_gemm_batched_kernelIdLi16ELi16ELi32ELi32ELi8ELi32ELi8ELi8ELi32ELc78ELc78EKdS1_dEEvlllT_PT11_llS4_llS2_PT12_llPT13_lli,"axG",@progbits,_ZN12_GLOBAL__N_127rocblas_gemm_batched_kernelIdLi16ELi16ELi32ELi32ELi8ELi32ELi8ELi8ELi32ELc78ELc78EKdS1_dEEvlllT_PT11_llS4_llS2_PT12_llPT13_lli,comdat
.Lfunc_end69:
	.size	_ZN12_GLOBAL__N_127rocblas_gemm_batched_kernelIdLi16ELi16ELi32ELi32ELi8ELi32ELi8ELi8ELi32ELc78ELc78EKdS1_dEEvlllT_PT11_llS4_llS2_PT12_llPT13_lli, .Lfunc_end69-_ZN12_GLOBAL__N_127rocblas_gemm_batched_kernelIdLi16ELi16ELi32ELi32ELi8ELi32ELi8ELi8ELi32ELc78ELc78EKdS1_dEEvlllT_PT11_llS4_llS2_PT12_llPT13_lli
                                        ; -- End function
	.set _ZN12_GLOBAL__N_127rocblas_gemm_batched_kernelIdLi16ELi16ELi32ELi32ELi8ELi32ELi8ELi8ELi32ELc78ELc78EKdS1_dEEvlllT_PT11_llS4_llS2_PT12_llPT13_lli.num_vgpr, 38
	.set _ZN12_GLOBAL__N_127rocblas_gemm_batched_kernelIdLi16ELi16ELi32ELi32ELi8ELi32ELi8ELi8ELi32ELc78ELc78EKdS1_dEEvlllT_PT11_llS4_llS2_PT12_llPT13_lli.num_agpr, 0
	.set _ZN12_GLOBAL__N_127rocblas_gemm_batched_kernelIdLi16ELi16ELi32ELi32ELi8ELi32ELi8ELi8ELi32ELc78ELc78EKdS1_dEEvlllT_PT11_llS4_llS2_PT12_llPT13_lli.numbered_sgpr, 30
	.set _ZN12_GLOBAL__N_127rocblas_gemm_batched_kernelIdLi16ELi16ELi32ELi32ELi8ELi32ELi8ELi8ELi32ELc78ELc78EKdS1_dEEvlllT_PT11_llS4_llS2_PT12_llPT13_lli.num_named_barrier, 0
	.set _ZN12_GLOBAL__N_127rocblas_gemm_batched_kernelIdLi16ELi16ELi32ELi32ELi8ELi32ELi8ELi8ELi32ELc78ELc78EKdS1_dEEvlllT_PT11_llS4_llS2_PT12_llPT13_lli.private_seg_size, 0
	.set _ZN12_GLOBAL__N_127rocblas_gemm_batched_kernelIdLi16ELi16ELi32ELi32ELi8ELi32ELi8ELi8ELi32ELc78ELc78EKdS1_dEEvlllT_PT11_llS4_llS2_PT12_llPT13_lli.uses_vcc, 1
	.set _ZN12_GLOBAL__N_127rocblas_gemm_batched_kernelIdLi16ELi16ELi32ELi32ELi8ELi32ELi8ELi8ELi32ELc78ELc78EKdS1_dEEvlllT_PT11_llS4_llS2_PT12_llPT13_lli.uses_flat_scratch, 0
	.set _ZN12_GLOBAL__N_127rocblas_gemm_batched_kernelIdLi16ELi16ELi32ELi32ELi8ELi32ELi8ELi8ELi32ELc78ELc78EKdS1_dEEvlllT_PT11_llS4_llS2_PT12_llPT13_lli.has_dyn_sized_stack, 0
	.set _ZN12_GLOBAL__N_127rocblas_gemm_batched_kernelIdLi16ELi16ELi32ELi32ELi8ELi32ELi8ELi8ELi32ELc78ELc78EKdS1_dEEvlllT_PT11_llS4_llS2_PT12_llPT13_lli.has_recursion, 0
	.set _ZN12_GLOBAL__N_127rocblas_gemm_batched_kernelIdLi16ELi16ELi32ELi32ELi8ELi32ELi8ELi8ELi32ELc78ELc78EKdS1_dEEvlllT_PT11_llS4_llS2_PT12_llPT13_lli.has_indirect_call, 0
	.section	.AMDGPU.csdata,"",@progbits
; Kernel info:
; codeLenInByte = 1616
; TotalNumSgprs: 32
; NumVgprs: 38
; ScratchSize: 0
; MemoryBound: 0
; FloatMode: 240
; IeeeMode: 1
; LDSByteSize: 4096 bytes/workgroup (compile time only)
; SGPRBlocks: 0
; VGPRBlocks: 4
; NumSGPRsForWavesPerEU: 32
; NumVGPRsForWavesPerEU: 38
; Occupancy: 16
; WaveLimiterHint : 1
; COMPUTE_PGM_RSRC2:SCRATCH_EN: 0
; COMPUTE_PGM_RSRC2:USER_SGPR: 6
; COMPUTE_PGM_RSRC2:TRAP_HANDLER: 0
; COMPUTE_PGM_RSRC2:TGID_X_EN: 1
; COMPUTE_PGM_RSRC2:TGID_Y_EN: 1
; COMPUTE_PGM_RSRC2:TGID_Z_EN: 1
; COMPUTE_PGM_RSRC2:TIDIG_COMP_CNT: 1
	.section	.text._ZN12_GLOBAL__N_127rocblas_gemm_batched_kernelIdLi16ELi16ELi32ELi32ELi8ELi32ELi8ELi8ELi32ELc84ELc78EKdS1_dEEvlllT_PT11_llS4_llS2_PT12_llPT13_lli,"axG",@progbits,_ZN12_GLOBAL__N_127rocblas_gemm_batched_kernelIdLi16ELi16ELi32ELi32ELi8ELi32ELi8ELi8ELi32ELc84ELc78EKdS1_dEEvlllT_PT11_llS4_llS2_PT12_llPT13_lli,comdat
	.globl	_ZN12_GLOBAL__N_127rocblas_gemm_batched_kernelIdLi16ELi16ELi32ELi32ELi8ELi32ELi8ELi8ELi32ELc84ELc78EKdS1_dEEvlllT_PT11_llS4_llS2_PT12_llPT13_lli ; -- Begin function _ZN12_GLOBAL__N_127rocblas_gemm_batched_kernelIdLi16ELi16ELi32ELi32ELi8ELi32ELi8ELi8ELi32ELc84ELc78EKdS1_dEEvlllT_PT11_llS4_llS2_PT12_llPT13_lli
	.p2align	8
	.type	_ZN12_GLOBAL__N_127rocblas_gemm_batched_kernelIdLi16ELi16ELi32ELi32ELi8ELi32ELi8ELi8ELi32ELc84ELc78EKdS1_dEEvlllT_PT11_llS4_llS2_PT12_llPT13_lli,@function
_ZN12_GLOBAL__N_127rocblas_gemm_batched_kernelIdLi16ELi16ELi32ELi32ELi8ELi32ELi8ELi8ELi32ELc84ELc78EKdS1_dEEvlllT_PT11_llS4_llS2_PT12_llPT13_lli: ; @_ZN12_GLOBAL__N_127rocblas_gemm_batched_kernelIdLi16ELi16ELi32ELi32ELi8ELi32ELi8ELi8ELi32ELc84ELc78EKdS1_dEEvlllT_PT11_llS4_llS2_PT12_llPT13_lli
; %bb.0:
	s_load_dwordx16 s[12:27], s[4:5], 0x10
	s_mov_b32 s0, s7
	s_ashr_i32 s7, s6, 31
	s_ashr_i32 s1, s0, 31
	s_lshl_b64 s[10:11], s[6:7], 5
	s_lshl_b64 s[28:29], s[0:1], 5
	s_waitcnt lgkmcnt(0)
	v_cmp_lt_i64_e64 s2, s[12:13], 1
	s_and_b32 vcc_lo, exec_lo, s2
	s_cbranch_vccnz .LBB70_3
; %bb.1:
	v_lshl_add_u32 v2, v1, 4, v0
	v_and_b32_e32 v3, 7, v0
	s_mul_hi_u32 s1, s26, s8
	v_lshlrev_b32_e32 v14, 3, v0
	v_lshl_add_u32 v17, v1, 6, 0x800
	v_lshrrev_b32_e32 v4, 3, v2
	v_and_b32_e32 v5, 31, v2
	v_lshlrev_b32_e32 v9, 3, v3
	v_lshrrev_b32_e32 v8, 5, v2
	v_add_co_u32 v6, s0, v4, s28
	v_add_co_ci_u32_e64 v7, null, 0, s29, s0
	v_lshlrev_b32_e32 v10, 3, v5
	v_mul_lo_u32 v11, s25, v6
	v_mad_u64_u32 v[2:3], null, s24, v6, 0
	v_mul_lo_u32 v7, s24, v7
	v_add_co_u32 v5, s0, s10, v5
	v_lshl_or_b32 v4, v4, 6, v9
	v_add_co_ci_u32_e64 v6, null, s11, 0, s0
	s_mul_i32 s0, s27, s8
	v_lshl_or_b32 v15, v8, 8, v10
	v_add_nc_u32_e32 v16, 0x800, v4
	v_add3_u32 v3, v3, v7, v11
	v_mul_lo_u32 v7, s19, v5
	v_mul_lo_u32 v6, s18, v6
	v_mad_u64_u32 v[4:5], null, s18, v5, 0
	v_lshlrev_b64 v[2:3], 3, v[2:3]
	s_add_i32 s1, s1, s0
	s_mul_i32 s0, s26, s8
	s_lshl_b64 s[0:1], s[0:1], 3
	v_add3_u32 v5, v5, v6, v7
	v_add_co_u32 v6, vcc_lo, v2, s0
	v_add_co_ci_u32_e64 v7, null, s1, v3, vcc_lo
	s_mul_i32 s0, s21, s8
	s_mul_hi_u32 s1, s20, s8
	v_lshlrev_b64 v[2:3], 3, v[4:5]
	s_add_i32 s1, s1, s0
	s_mul_i32 s0, s20, s8
	v_add_co_u32 v4, vcc_lo, v6, v9
	s_lshl_b64 s[0:1], s[0:1], 3
	v_add_co_ci_u32_e64 v5, null, 0, v7, vcc_lo
	v_add_co_u32 v2, vcc_lo, v2, s0
	v_lshlrev_b32_e32 v6, 3, v8
	v_add_co_ci_u32_e64 v3, null, s1, v3, vcc_lo
	v_add_co_u32 v10, vcc_lo, s22, v4
	v_add_co_ci_u32_e64 v11, null, s23, v5, vcc_lo
	v_add_co_u32 v12, vcc_lo, v2, v6
	v_add_co_ci_u32_e64 v13, null, 0, v3, vcc_lo
	v_mov_b32_e32 v2, 0
	v_add_co_u32 v12, vcc_lo, s16, v12
	v_mov_b32_e32 v4, 0
	v_mov_b32_e32 v6, 0
	;; [unrolled: 1-line block ×7, first 2 shown]
	v_add_co_ci_u32_e64 v13, null, s17, v13, vcc_lo
	s_mov_b64 s[0:1], 0
.LBB70_2:                               ; =>This Inner Loop Header: Depth=1
	global_load_dwordx2 v[18:19], v[12:13], off
	global_load_dwordx2 v[20:21], v[10:11], off
	s_add_u32 s0, s0, 8
	s_addc_u32 s1, s1, 0
	v_add_co_u32 v10, vcc_lo, v10, 64
	v_cmp_lt_i64_e64 s2, s[0:1], s[12:13]
	v_add_co_ci_u32_e64 v11, null, 0, v11, vcc_lo
	v_add_co_u32 v12, vcc_lo, v12, 64
	v_add_co_ci_u32_e64 v13, null, 0, v13, vcc_lo
	s_and_b32 vcc_lo, exec_lo, s2
	s_waitcnt vmcnt(1)
	ds_write_b64 v15, v[18:19]
	s_waitcnt vmcnt(0)
	ds_write_b64 v16, v[20:21]
	s_waitcnt lgkmcnt(0)
	s_barrier
	buffer_gl0_inv
	ds_read_b128 v[18:21], v17
	ds_read2_b64 v[22:25], v14 offset1:16
	ds_read_b128 v[26:29], v17 offset:1024
	ds_read_b128 v[30:33], v17 offset:16
	;; [unrolled: 1-line block ×3, first 2 shown]
	s_waitcnt lgkmcnt(3)
	v_fma_f64 v[8:9], v[22:23], v[18:19], v[8:9]
	v_fma_f64 v[6:7], v[24:25], v[18:19], v[6:7]
	s_waitcnt lgkmcnt(2)
	v_fma_f64 v[18:19], v[22:23], v[26:27], v[4:5]
	v_fma_f64 v[22:23], v[24:25], v[26:27], v[2:3]
	ds_read2_b64 v[2:5], v14 offset0:32 offset1:48
	s_waitcnt lgkmcnt(0)
	v_fma_f64 v[8:9], v[2:3], v[20:21], v[8:9]
	v_fma_f64 v[6:7], v[4:5], v[20:21], v[6:7]
	v_fma_f64 v[18:19], v[2:3], v[28:29], v[18:19]
	v_fma_f64 v[20:21], v[4:5], v[28:29], v[22:23]
	ds_read2_b64 v[2:5], v14 offset0:64 offset1:80
	s_waitcnt lgkmcnt(0)
	v_fma_f64 v[22:23], v[2:3], v[30:31], v[8:9]
	v_fma_f64 v[24:25], v[4:5], v[30:31], v[6:7]
	;; [unrolled: 1-line block ×4, first 2 shown]
	ds_read2_b64 v[2:5], v14 offset0:96 offset1:112
	ds_read_b128 v[6:9], v17 offset:32
	ds_read2_b64 v[18:21], v14 offset0:128 offset1:144
	s_waitcnt lgkmcnt(2)
	v_fma_f64 v[30:31], v[2:3], v[32:33], v[22:23]
	v_fma_f64 v[32:33], v[4:5], v[32:33], v[24:25]
	;; [unrolled: 1-line block ×4, first 2 shown]
	ds_read_b128 v[2:5], v17 offset:1056
	ds_read_b128 v[22:25], v17 offset:48
	;; [unrolled: 1-line block ×3, first 2 shown]
	s_waitcnt lgkmcnt(3)
	v_fma_f64 v[30:31], v[18:19], v[6:7], v[30:31]
	v_fma_f64 v[6:7], v[20:21], v[6:7], v[32:33]
	s_waitcnt lgkmcnt(2)
	v_fma_f64 v[32:33], v[18:19], v[2:3], v[34:35]
	v_fma_f64 v[2:3], v[20:21], v[2:3], v[36:37]
	ds_read2_b64 v[18:21], v14 offset0:160 offset1:176
	s_waitcnt lgkmcnt(0)
	v_fma_f64 v[30:31], v[18:19], v[8:9], v[30:31]
	v_fma_f64 v[6:7], v[20:21], v[8:9], v[6:7]
	;; [unrolled: 1-line block ×4, first 2 shown]
	ds_read2_b64 v[2:5], v14 offset0:192 offset1:208
	s_waitcnt lgkmcnt(0)
	v_fma_f64 v[30:31], v[2:3], v[22:23], v[30:31]
	v_fma_f64 v[6:7], v[4:5], v[22:23], v[6:7]
	;; [unrolled: 1-line block ×4, first 2 shown]
	ds_read2_b64 v[18:21], v14 offset0:224 offset1:240
	s_waitcnt lgkmcnt(0)
	s_barrier
	buffer_gl0_inv
	v_fma_f64 v[8:9], v[18:19], v[24:25], v[30:31]
	v_fma_f64 v[6:7], v[20:21], v[24:25], v[6:7]
	v_fma_f64 v[4:5], v[18:19], v[28:29], v[2:3]
	v_fma_f64 v[2:3], v[20:21], v[28:29], v[22:23]
	s_cbranch_vccnz .LBB70_2
	s_branch .LBB70_4
.LBB70_3:
	v_mov_b32_e32 v8, 0
	v_mov_b32_e32 v6, 0
	v_mov_b32_e32 v4, 0
	v_mov_b32_e32 v2, 0
	v_mov_b32_e32 v9, 0
	v_mov_b32_e32 v7, 0
	v_mov_b32_e32 v5, 0
	v_mov_b32_e32 v3, 0
.LBB70_4:
	s_clause 0x1
	s_load_dwordx8 s[16:23], s[4:5], 0x50
	s_load_dwordx8 s[0:7], s[4:5], 0x70
	s_waitcnt lgkmcnt(0)
	v_cmp_neq_f64_e64 s6, s[16:17], 0
	s_mul_i32 s5, s5, s8
	s_mul_hi_u32 s7, s4, s8
	s_mul_i32 s4, s4, s8
	s_add_i32 s5, s7, s5
	v_add_co_u32 v10, s7, s28, v1
	v_add_co_ci_u32_e64 v13, null, s29, 0, s7
	v_add_co_u32 v0, s7, s10, v0
	v_add_co_ci_u32_e64 v1, null, s11, 0, s7
	v_mul_lo_u32 v11, v13, s2
	v_mul_lo_u32 v12, v10, s3
	s_lshl_b64 s[4:5], s[4:5], 3
	v_lshlrev_b64 v[0:1], 3, v[0:1]
	s_add_u32 s0, s0, s4
	s_addc_u32 s1, s1, s5
	s_and_b32 vcc_lo, exec_lo, s6
	s_cbranch_vccnz .LBB70_8
; %bb.5:
	v_mad_u64_u32 v[14:15], null, v10, s2, 0
	v_mul_f64 v[16:17], s[14:15], v[8:9]
	v_mul_f64 v[18:19], s[14:15], v[6:7]
	v_mul_f64 v[20:21], s[14:15], v[4:5]
	v_mul_f64 v[22:23], s[14:15], v[2:3]
	s_lshl_b64 s[4:5], s[2:3], 7
	v_add3_u32 v15, v15, v12, v11
	v_lshlrev_b64 v[14:15], 3, v[14:15]
	v_add_co_u32 v14, vcc_lo, s0, v14
	v_add_co_ci_u32_e64 v15, null, s1, v15, vcc_lo
	v_add_co_u32 v24, vcc_lo, v14, s4
	v_add_co_ci_u32_e64 v25, null, s5, v15, vcc_lo
	v_add_co_u32 v14, vcc_lo, v14, v0
	v_add_co_ci_u32_e64 v15, null, v15, v1, vcc_lo
	v_add_co_u32 v24, vcc_lo, v24, v0
	v_add_co_ci_u32_e64 v25, null, v25, v1, vcc_lo
	global_store_dwordx2 v[14:15], v[16:17], off
	global_store_dwordx2 v[14:15], v[18:19], off offset:128
	global_store_dwordx2 v[24:25], v[20:21], off
	global_store_dwordx2 v[24:25], v[22:23], off offset:128
	s_cbranch_execnz .LBB70_7
.LBB70_6:
	v_mul_lo_u32 v15, v13, s20
	v_mul_lo_u32 v16, v10, s21
	v_mad_u64_u32 v[13:14], null, v10, s20, 0
	s_mul_i32 s5, s23, s8
	s_mul_hi_u32 s6, s22, s8
	s_mul_i32 s4, s22, s8
	s_add_i32 s5, s6, s5
	v_mad_u64_u32 v[17:18], null, v10, s2, 0
	v_add3_u32 v14, v14, v16, v15
	s_lshl_b64 s[4:5], s[4:5], 3
	s_add_u32 s4, s18, s4
	s_addc_u32 s5, s19, s5
	v_lshlrev_b64 v[13:14], 3, v[13:14]
	v_add3_u32 v18, v18, v12, v11
	v_lshlrev_b64 v[10:11], 3, v[17:18]
	v_add_co_u32 v19, vcc_lo, s4, v13
	v_add_co_ci_u32_e64 v20, null, s5, v14, vcc_lo
	v_add_co_u32 v13, vcc_lo, v19, v0
	v_add_co_ci_u32_e64 v14, null, v20, v1, vcc_lo
	v_add_co_u32 v12, vcc_lo, s0, v10
	global_load_dwordx2 v[15:16], v[13:14], off
	s_waitcnt vmcnt(0)
	v_mul_f64 v[15:16], s[16:17], v[15:16]
	v_fma_f64 v[8:9], s[14:15], v[8:9], v[15:16]
	v_add_co_ci_u32_e64 v15, null, s1, v11, vcc_lo
	v_add_co_u32 v10, vcc_lo, v12, v0
	s_lshl_b64 s[0:1], s[20:21], 7
	v_add_co_ci_u32_e64 v11, null, v15, v1, vcc_lo
	global_store_dwordx2 v[10:11], v[8:9], off
	global_load_dwordx2 v[8:9], v[13:14], off offset:128
	s_waitcnt vmcnt(0)
	v_mul_f64 v[8:9], s[16:17], v[8:9]
	v_fma_f64 v[6:7], s[14:15], v[6:7], v[8:9]
	v_add_co_u32 v8, vcc_lo, v19, s0
	v_add_co_ci_u32_e64 v9, null, s1, v20, vcc_lo
	s_lshl_b64 s[0:1], s[2:3], 7
	v_add_co_u32 v8, vcc_lo, v8, v0
	v_add_co_ci_u32_e64 v9, null, v9, v1, vcc_lo
	global_store_dwordx2 v[10:11], v[6:7], off offset:128
	global_load_dwordx2 v[6:7], v[8:9], off
	s_waitcnt vmcnt(0)
	v_mul_f64 v[6:7], s[16:17], v[6:7]
	v_fma_f64 v[4:5], s[14:15], v[4:5], v[6:7]
	v_add_co_u32 v6, vcc_lo, v12, s0
	v_add_co_ci_u32_e64 v7, null, s1, v15, vcc_lo
	v_add_co_u32 v0, vcc_lo, v6, v0
	v_add_co_ci_u32_e64 v1, null, v7, v1, vcc_lo
	global_store_dwordx2 v[0:1], v[4:5], off
	global_load_dwordx2 v[4:5], v[8:9], off offset:128
	s_waitcnt vmcnt(0)
	v_mul_f64 v[4:5], s[16:17], v[4:5]
	v_fma_f64 v[2:3], s[14:15], v[2:3], v[4:5]
	global_store_dwordx2 v[0:1], v[2:3], off offset:128
.LBB70_7:
	s_endpgm
.LBB70_8:
	s_branch .LBB70_6
	.section	.rodata,"a",@progbits
	.p2align	6, 0x0
	.amdhsa_kernel _ZN12_GLOBAL__N_127rocblas_gemm_batched_kernelIdLi16ELi16ELi32ELi32ELi8ELi32ELi8ELi8ELi32ELc84ELc78EKdS1_dEEvlllT_PT11_llS4_llS2_PT12_llPT13_lli
		.amdhsa_group_segment_fixed_size 4096
		.amdhsa_private_segment_fixed_size 0
		.amdhsa_kernarg_size 140
		.amdhsa_user_sgpr_count 6
		.amdhsa_user_sgpr_private_segment_buffer 1
		.amdhsa_user_sgpr_dispatch_ptr 0
		.amdhsa_user_sgpr_queue_ptr 0
		.amdhsa_user_sgpr_kernarg_segment_ptr 1
		.amdhsa_user_sgpr_dispatch_id 0
		.amdhsa_user_sgpr_flat_scratch_init 0
		.amdhsa_user_sgpr_private_segment_size 0
		.amdhsa_wavefront_size32 1
		.amdhsa_uses_dynamic_stack 0
		.amdhsa_system_sgpr_private_segment_wavefront_offset 0
		.amdhsa_system_sgpr_workgroup_id_x 1
		.amdhsa_system_sgpr_workgroup_id_y 1
		.amdhsa_system_sgpr_workgroup_id_z 1
		.amdhsa_system_sgpr_workgroup_info 0
		.amdhsa_system_vgpr_workitem_id 1
		.amdhsa_next_free_vgpr 38
		.amdhsa_next_free_sgpr 30
		.amdhsa_reserve_vcc 1
		.amdhsa_reserve_flat_scratch 0
		.amdhsa_float_round_mode_32 0
		.amdhsa_float_round_mode_16_64 0
		.amdhsa_float_denorm_mode_32 3
		.amdhsa_float_denorm_mode_16_64 3
		.amdhsa_dx10_clamp 1
		.amdhsa_ieee_mode 1
		.amdhsa_fp16_overflow 0
		.amdhsa_workgroup_processor_mode 1
		.amdhsa_memory_ordered 1
		.amdhsa_forward_progress 1
		.amdhsa_shared_vgpr_count 0
		.amdhsa_exception_fp_ieee_invalid_op 0
		.amdhsa_exception_fp_denorm_src 0
		.amdhsa_exception_fp_ieee_div_zero 0
		.amdhsa_exception_fp_ieee_overflow 0
		.amdhsa_exception_fp_ieee_underflow 0
		.amdhsa_exception_fp_ieee_inexact 0
		.amdhsa_exception_int_div_zero 0
	.end_amdhsa_kernel
	.section	.text._ZN12_GLOBAL__N_127rocblas_gemm_batched_kernelIdLi16ELi16ELi32ELi32ELi8ELi32ELi8ELi8ELi32ELc84ELc78EKdS1_dEEvlllT_PT11_llS4_llS2_PT12_llPT13_lli,"axG",@progbits,_ZN12_GLOBAL__N_127rocblas_gemm_batched_kernelIdLi16ELi16ELi32ELi32ELi8ELi32ELi8ELi8ELi32ELc84ELc78EKdS1_dEEvlllT_PT11_llS4_llS2_PT12_llPT13_lli,comdat
.Lfunc_end70:
	.size	_ZN12_GLOBAL__N_127rocblas_gemm_batched_kernelIdLi16ELi16ELi32ELi32ELi8ELi32ELi8ELi8ELi32ELc84ELc78EKdS1_dEEvlllT_PT11_llS4_llS2_PT12_llPT13_lli, .Lfunc_end70-_ZN12_GLOBAL__N_127rocblas_gemm_batched_kernelIdLi16ELi16ELi32ELi32ELi8ELi32ELi8ELi8ELi32ELc84ELc78EKdS1_dEEvlllT_PT11_llS4_llS2_PT12_llPT13_lli
                                        ; -- End function
	.set _ZN12_GLOBAL__N_127rocblas_gemm_batched_kernelIdLi16ELi16ELi32ELi32ELi8ELi32ELi8ELi8ELi32ELc84ELc78EKdS1_dEEvlllT_PT11_llS4_llS2_PT12_llPT13_lli.num_vgpr, 38
	.set _ZN12_GLOBAL__N_127rocblas_gemm_batched_kernelIdLi16ELi16ELi32ELi32ELi8ELi32ELi8ELi8ELi32ELc84ELc78EKdS1_dEEvlllT_PT11_llS4_llS2_PT12_llPT13_lli.num_agpr, 0
	.set _ZN12_GLOBAL__N_127rocblas_gemm_batched_kernelIdLi16ELi16ELi32ELi32ELi8ELi32ELi8ELi8ELi32ELc84ELc78EKdS1_dEEvlllT_PT11_llS4_llS2_PT12_llPT13_lli.numbered_sgpr, 30
	.set _ZN12_GLOBAL__N_127rocblas_gemm_batched_kernelIdLi16ELi16ELi32ELi32ELi8ELi32ELi8ELi8ELi32ELc84ELc78EKdS1_dEEvlllT_PT11_llS4_llS2_PT12_llPT13_lli.num_named_barrier, 0
	.set _ZN12_GLOBAL__N_127rocblas_gemm_batched_kernelIdLi16ELi16ELi32ELi32ELi8ELi32ELi8ELi8ELi32ELc84ELc78EKdS1_dEEvlllT_PT11_llS4_llS2_PT12_llPT13_lli.private_seg_size, 0
	.set _ZN12_GLOBAL__N_127rocblas_gemm_batched_kernelIdLi16ELi16ELi32ELi32ELi8ELi32ELi8ELi8ELi32ELc84ELc78EKdS1_dEEvlllT_PT11_llS4_llS2_PT12_llPT13_lli.uses_vcc, 1
	.set _ZN12_GLOBAL__N_127rocblas_gemm_batched_kernelIdLi16ELi16ELi32ELi32ELi8ELi32ELi8ELi8ELi32ELc84ELc78EKdS1_dEEvlllT_PT11_llS4_llS2_PT12_llPT13_lli.uses_flat_scratch, 0
	.set _ZN12_GLOBAL__N_127rocblas_gemm_batched_kernelIdLi16ELi16ELi32ELi32ELi8ELi32ELi8ELi8ELi32ELc84ELc78EKdS1_dEEvlllT_PT11_llS4_llS2_PT12_llPT13_lli.has_dyn_sized_stack, 0
	.set _ZN12_GLOBAL__N_127rocblas_gemm_batched_kernelIdLi16ELi16ELi32ELi32ELi8ELi32ELi8ELi8ELi32ELc84ELc78EKdS1_dEEvlllT_PT11_llS4_llS2_PT12_llPT13_lli.has_recursion, 0
	.set _ZN12_GLOBAL__N_127rocblas_gemm_batched_kernelIdLi16ELi16ELi32ELi32ELi8ELi32ELi8ELi8ELi32ELc84ELc78EKdS1_dEEvlllT_PT11_llS4_llS2_PT12_llPT13_lli.has_indirect_call, 0
	.section	.AMDGPU.csdata,"",@progbits
; Kernel info:
; codeLenInByte = 1656
; TotalNumSgprs: 32
; NumVgprs: 38
; ScratchSize: 0
; MemoryBound: 0
; FloatMode: 240
; IeeeMode: 1
; LDSByteSize: 4096 bytes/workgroup (compile time only)
; SGPRBlocks: 0
; VGPRBlocks: 4
; NumSGPRsForWavesPerEU: 32
; NumVGPRsForWavesPerEU: 38
; Occupancy: 16
; WaveLimiterHint : 1
; COMPUTE_PGM_RSRC2:SCRATCH_EN: 0
; COMPUTE_PGM_RSRC2:USER_SGPR: 6
; COMPUTE_PGM_RSRC2:TRAP_HANDLER: 0
; COMPUTE_PGM_RSRC2:TGID_X_EN: 1
; COMPUTE_PGM_RSRC2:TGID_Y_EN: 1
; COMPUTE_PGM_RSRC2:TGID_Z_EN: 1
; COMPUTE_PGM_RSRC2:TIDIG_COMP_CNT: 1
	.section	.text._ZN12_GLOBAL__N_127rocblas_gemm_batched_kernelIdLi16ELi16ELi32ELi32ELi8ELi32ELi8ELi8ELi32ELc78ELc84EKdS1_dEEvlllT_PT11_llS4_llS2_PT12_llPT13_lli,"axG",@progbits,_ZN12_GLOBAL__N_127rocblas_gemm_batched_kernelIdLi16ELi16ELi32ELi32ELi8ELi32ELi8ELi8ELi32ELc78ELc84EKdS1_dEEvlllT_PT11_llS4_llS2_PT12_llPT13_lli,comdat
	.globl	_ZN12_GLOBAL__N_127rocblas_gemm_batched_kernelIdLi16ELi16ELi32ELi32ELi8ELi32ELi8ELi8ELi32ELc78ELc84EKdS1_dEEvlllT_PT11_llS4_llS2_PT12_llPT13_lli ; -- Begin function _ZN12_GLOBAL__N_127rocblas_gemm_batched_kernelIdLi16ELi16ELi32ELi32ELi8ELi32ELi8ELi8ELi32ELc78ELc84EKdS1_dEEvlllT_PT11_llS4_llS2_PT12_llPT13_lli
	.p2align	8
	.type	_ZN12_GLOBAL__N_127rocblas_gemm_batched_kernelIdLi16ELi16ELi32ELi32ELi8ELi32ELi8ELi8ELi32ELc78ELc84EKdS1_dEEvlllT_PT11_llS4_llS2_PT12_llPT13_lli,@function
_ZN12_GLOBAL__N_127rocblas_gemm_batched_kernelIdLi16ELi16ELi32ELi32ELi8ELi32ELi8ELi8ELi32ELc78ELc84EKdS1_dEEvlllT_PT11_llS4_llS2_PT12_llPT13_lli: ; @_ZN12_GLOBAL__N_127rocblas_gemm_batched_kernelIdLi16ELi16ELi32ELi32ELi8ELi32ELi8ELi8ELi32ELc78ELc84EKdS1_dEEvlllT_PT11_llS4_llS2_PT12_llPT13_lli
; %bb.0:
	s_load_dwordx16 s[12:27], s[4:5], 0x10
	s_mov_b32 s0, s7
	v_mov_b32_e32 v3, 0
	s_ashr_i32 s7, s6, 31
	s_ashr_i32 s1, s0, 31
	s_lshl_b64 s[10:11], s[6:7], 5
	s_lshl_b64 s[28:29], s[0:1], 5
	s_waitcnt lgkmcnt(0)
	v_cmp_lt_i64_e64 s2, s[12:13], 1
	s_and_b32 vcc_lo, exec_lo, s2
	s_cbranch_vccnz .LBB71_3
; %bb.1:
	v_lshl_add_u32 v5, v1, 4, v0
	v_and_b32_e32 v6, 7, v0
	s_mul_i32 s1, s27, s8
	s_mul_hi_u32 s2, s26, s8
	s_mul_i32 s0, s26, s8
	v_lshrrev_b32_e32 v2, 3, v5
	v_and_b32_e32 v8, 31, v5
	v_lshrrev_b32_e32 v7, 5, v5
	v_lshlrev_b32_e32 v9, 3, v6
	s_add_i32 s1, s2, s1
	v_mad_u64_u32 v[3:4], null, s24, v6, v[2:3]
	v_lshlrev_b32_e32 v10, 3, v8
	v_lshl_or_b32 v9, v2, 6, v9
	s_lshl_b64 s[0:1], s[0:1], 3
	s_mul_i32 s3, s21, s8
	s_add_u32 s0, s22, s0
	v_lshl_or_b32 v16, v7, 8, v10
	v_mad_u64_u32 v[4:5], null, s25, v6, v[4:5]
	v_mad_u64_u32 v[5:6], null, s18, v7, s[10:11]
	v_add_co_u32 v3, vcc_lo, v3, s28
	s_addc_u32 s1, s23, s1
	s_mul_hi_u32 s6, s20, s8
	v_add_co_ci_u32_e64 v4, null, s29, v4, vcc_lo
	v_mov_b32_e32 v2, v6
	s_add_i32 s3, s6, s3
	s_mul_i32 s2, s20, s8
	v_lshlrev_b64 v[3:4], 3, v[3:4]
	s_lshl_b64 s[2:3], s[2:3], 3
	v_add_nc_u32_e32 v17, 0x800, v9
	v_lshlrev_b32_e32 v14, 3, v0
	v_lshl_add_u32 v15, v1, 6, 0x800
	s_mov_b64 s[6:7], 0
	v_mad_u64_u32 v[6:7], null, s19, v7, v[2:3]
	v_add_co_u32 v10, vcc_lo, s0, v3
	v_add_co_ci_u32_e64 v11, null, s1, v4, vcc_lo
	v_add_co_u32 v2, vcc_lo, v5, v8
	v_add_co_ci_u32_e64 v3, null, 0, v6, vcc_lo
	s_lshl_b64 s[0:1], s[24:25], 6
	s_add_u32 s2, s16, s2
	s_addc_u32 s3, s17, s3
	v_lshlrev_b64 v[12:13], 3, v[2:3]
	v_mov_b32_e32 v2, 0
	v_mov_b32_e32 v4, 0
	;; [unrolled: 1-line block ×5, first 2 shown]
	v_add_co_u32 v12, vcc_lo, s2, v12
	v_mov_b32_e32 v5, 0
	v_mov_b32_e32 v7, 0
	;; [unrolled: 1-line block ×3, first 2 shown]
	v_add_co_ci_u32_e64 v13, null, s3, v13, vcc_lo
	s_lshl_b64 s[2:3], s[18:19], 6
.LBB71_2:                               ; =>This Inner Loop Header: Depth=1
	global_load_dwordx2 v[18:19], v[12:13], off
	global_load_dwordx2 v[20:21], v[10:11], off
	s_add_u32 s6, s6, 8
	s_addc_u32 s7, s7, 0
	v_add_co_u32 v10, vcc_lo, v10, s0
	v_cmp_lt_i64_e64 s9, s[6:7], s[12:13]
	v_add_co_ci_u32_e64 v11, null, s1, v11, vcc_lo
	v_add_co_u32 v12, vcc_lo, v12, s2
	v_add_co_ci_u32_e64 v13, null, s3, v13, vcc_lo
	s_and_b32 vcc_lo, exec_lo, s9
	s_waitcnt vmcnt(1)
	ds_write_b64 v16, v[18:19]
	s_waitcnt vmcnt(0)
	ds_write_b64 v17, v[20:21]
	s_waitcnt lgkmcnt(0)
	s_barrier
	buffer_gl0_inv
	ds_read_b128 v[18:21], v15
	ds_read2_b64 v[22:25], v14 offset1:16
	ds_read_b128 v[26:29], v15 offset:1024
	ds_read_b128 v[30:33], v15 offset:16
	;; [unrolled: 1-line block ×3, first 2 shown]
	s_waitcnt lgkmcnt(3)
	v_fma_f64 v[8:9], v[22:23], v[18:19], v[8:9]
	v_fma_f64 v[6:7], v[24:25], v[18:19], v[6:7]
	s_waitcnt lgkmcnt(2)
	v_fma_f64 v[18:19], v[22:23], v[26:27], v[4:5]
	v_fma_f64 v[22:23], v[24:25], v[26:27], v[2:3]
	ds_read2_b64 v[2:5], v14 offset0:32 offset1:48
	s_waitcnt lgkmcnt(0)
	v_fma_f64 v[8:9], v[2:3], v[20:21], v[8:9]
	v_fma_f64 v[6:7], v[4:5], v[20:21], v[6:7]
	;; [unrolled: 1-line block ×4, first 2 shown]
	ds_read2_b64 v[2:5], v14 offset0:64 offset1:80
	s_waitcnt lgkmcnt(0)
	v_fma_f64 v[22:23], v[2:3], v[30:31], v[8:9]
	v_fma_f64 v[24:25], v[4:5], v[30:31], v[6:7]
	;; [unrolled: 1-line block ×4, first 2 shown]
	ds_read2_b64 v[2:5], v14 offset0:96 offset1:112
	ds_read_b128 v[6:9], v15 offset:32
	ds_read2_b64 v[18:21], v14 offset0:128 offset1:144
	s_waitcnt lgkmcnt(2)
	v_fma_f64 v[30:31], v[2:3], v[32:33], v[22:23]
	v_fma_f64 v[32:33], v[4:5], v[32:33], v[24:25]
	;; [unrolled: 1-line block ×4, first 2 shown]
	ds_read_b128 v[2:5], v15 offset:1056
	ds_read_b128 v[22:25], v15 offset:48
	;; [unrolled: 1-line block ×3, first 2 shown]
	s_waitcnt lgkmcnt(3)
	v_fma_f64 v[30:31], v[18:19], v[6:7], v[30:31]
	v_fma_f64 v[6:7], v[20:21], v[6:7], v[32:33]
	s_waitcnt lgkmcnt(2)
	v_fma_f64 v[32:33], v[18:19], v[2:3], v[34:35]
	v_fma_f64 v[2:3], v[20:21], v[2:3], v[36:37]
	ds_read2_b64 v[18:21], v14 offset0:160 offset1:176
	s_waitcnt lgkmcnt(0)
	v_fma_f64 v[30:31], v[18:19], v[8:9], v[30:31]
	v_fma_f64 v[6:7], v[20:21], v[8:9], v[6:7]
	;; [unrolled: 1-line block ×4, first 2 shown]
	ds_read2_b64 v[2:5], v14 offset0:192 offset1:208
	s_waitcnt lgkmcnt(0)
	v_fma_f64 v[30:31], v[2:3], v[22:23], v[30:31]
	v_fma_f64 v[6:7], v[4:5], v[22:23], v[6:7]
	v_fma_f64 v[2:3], v[2:3], v[26:27], v[8:9]
	v_fma_f64 v[22:23], v[4:5], v[26:27], v[18:19]
	ds_read2_b64 v[18:21], v14 offset0:224 offset1:240
	s_waitcnt lgkmcnt(0)
	s_barrier
	buffer_gl0_inv
	v_fma_f64 v[8:9], v[18:19], v[24:25], v[30:31]
	v_fma_f64 v[6:7], v[20:21], v[24:25], v[6:7]
	;; [unrolled: 1-line block ×4, first 2 shown]
	s_cbranch_vccnz .LBB71_2
	s_branch .LBB71_4
.LBB71_3:
	v_mov_b32_e32 v8, 0
	v_mov_b32_e32 v6, 0
	;; [unrolled: 1-line block ×8, first 2 shown]
.LBB71_4:
	s_clause 0x1
	s_load_dwordx8 s[16:23], s[4:5], 0x50
	s_load_dwordx8 s[0:7], s[4:5], 0x70
	s_waitcnt lgkmcnt(0)
	v_cmp_neq_f64_e64 s6, s[16:17], 0
	s_mul_i32 s5, s5, s8
	s_mul_hi_u32 s7, s4, s8
	s_mul_i32 s4, s4, s8
	s_add_i32 s5, s7, s5
	v_add_co_u32 v10, s7, s28, v1
	v_add_co_ci_u32_e64 v13, null, s29, 0, s7
	v_add_co_u32 v0, s7, s10, v0
	v_add_co_ci_u32_e64 v1, null, s11, 0, s7
	v_mul_lo_u32 v11, v13, s2
	v_mul_lo_u32 v12, v10, s3
	s_lshl_b64 s[4:5], s[4:5], 3
	v_lshlrev_b64 v[0:1], 3, v[0:1]
	s_add_u32 s0, s0, s4
	s_addc_u32 s1, s1, s5
	s_and_b32 vcc_lo, exec_lo, s6
	s_cbranch_vccnz .LBB71_8
; %bb.5:
	v_mad_u64_u32 v[14:15], null, v10, s2, 0
	v_mul_f64 v[16:17], s[14:15], v[8:9]
	v_mul_f64 v[18:19], s[14:15], v[6:7]
	;; [unrolled: 1-line block ×4, first 2 shown]
	s_lshl_b64 s[4:5], s[2:3], 7
	v_add3_u32 v15, v15, v12, v11
	v_lshlrev_b64 v[14:15], 3, v[14:15]
	v_add_co_u32 v14, vcc_lo, s0, v14
	v_add_co_ci_u32_e64 v15, null, s1, v15, vcc_lo
	v_add_co_u32 v24, vcc_lo, v14, s4
	v_add_co_ci_u32_e64 v25, null, s5, v15, vcc_lo
	;; [unrolled: 2-line block ×4, first 2 shown]
	global_store_dwordx2 v[14:15], v[16:17], off
	global_store_dwordx2 v[14:15], v[18:19], off offset:128
	global_store_dwordx2 v[24:25], v[20:21], off
	global_store_dwordx2 v[24:25], v[22:23], off offset:128
	s_cbranch_execnz .LBB71_7
.LBB71_6:
	v_mul_lo_u32 v15, v13, s20
	v_mul_lo_u32 v16, v10, s21
	v_mad_u64_u32 v[13:14], null, v10, s20, 0
	s_mul_i32 s5, s23, s8
	s_mul_hi_u32 s6, s22, s8
	s_mul_i32 s4, s22, s8
	s_add_i32 s5, s6, s5
	v_mad_u64_u32 v[17:18], null, v10, s2, 0
	v_add3_u32 v14, v14, v16, v15
	s_lshl_b64 s[4:5], s[4:5], 3
	s_add_u32 s4, s18, s4
	s_addc_u32 s5, s19, s5
	v_lshlrev_b64 v[13:14], 3, v[13:14]
	v_add3_u32 v18, v18, v12, v11
	v_lshlrev_b64 v[10:11], 3, v[17:18]
	v_add_co_u32 v19, vcc_lo, s4, v13
	v_add_co_ci_u32_e64 v20, null, s5, v14, vcc_lo
	v_add_co_u32 v13, vcc_lo, v19, v0
	v_add_co_ci_u32_e64 v14, null, v20, v1, vcc_lo
	v_add_co_u32 v12, vcc_lo, s0, v10
	global_load_dwordx2 v[15:16], v[13:14], off
	s_waitcnt vmcnt(0)
	v_mul_f64 v[15:16], s[16:17], v[15:16]
	v_fma_f64 v[8:9], s[14:15], v[8:9], v[15:16]
	v_add_co_ci_u32_e64 v15, null, s1, v11, vcc_lo
	v_add_co_u32 v10, vcc_lo, v12, v0
	s_lshl_b64 s[0:1], s[20:21], 7
	v_add_co_ci_u32_e64 v11, null, v15, v1, vcc_lo
	global_store_dwordx2 v[10:11], v[8:9], off
	global_load_dwordx2 v[8:9], v[13:14], off offset:128
	s_waitcnt vmcnt(0)
	v_mul_f64 v[8:9], s[16:17], v[8:9]
	v_fma_f64 v[6:7], s[14:15], v[6:7], v[8:9]
	v_add_co_u32 v8, vcc_lo, v19, s0
	v_add_co_ci_u32_e64 v9, null, s1, v20, vcc_lo
	s_lshl_b64 s[0:1], s[2:3], 7
	v_add_co_u32 v8, vcc_lo, v8, v0
	v_add_co_ci_u32_e64 v9, null, v9, v1, vcc_lo
	global_store_dwordx2 v[10:11], v[6:7], off offset:128
	global_load_dwordx2 v[6:7], v[8:9], off
	s_waitcnt vmcnt(0)
	v_mul_f64 v[6:7], s[16:17], v[6:7]
	v_fma_f64 v[4:5], s[14:15], v[4:5], v[6:7]
	v_add_co_u32 v6, vcc_lo, v12, s0
	v_add_co_ci_u32_e64 v7, null, s1, v15, vcc_lo
	v_add_co_u32 v0, vcc_lo, v6, v0
	v_add_co_ci_u32_e64 v1, null, v7, v1, vcc_lo
	global_store_dwordx2 v[0:1], v[4:5], off
	global_load_dwordx2 v[4:5], v[8:9], off offset:128
	s_waitcnt vmcnt(0)
	v_mul_f64 v[4:5], s[16:17], v[4:5]
	v_fma_f64 v[2:3], s[14:15], v[2:3], v[4:5]
	global_store_dwordx2 v[0:1], v[2:3], off offset:128
.LBB71_7:
	s_endpgm
.LBB71_8:
	s_branch .LBB71_6
	.section	.rodata,"a",@progbits
	.p2align	6, 0x0
	.amdhsa_kernel _ZN12_GLOBAL__N_127rocblas_gemm_batched_kernelIdLi16ELi16ELi32ELi32ELi8ELi32ELi8ELi8ELi32ELc78ELc84EKdS1_dEEvlllT_PT11_llS4_llS2_PT12_llPT13_lli
		.amdhsa_group_segment_fixed_size 4096
		.amdhsa_private_segment_fixed_size 0
		.amdhsa_kernarg_size 140
		.amdhsa_user_sgpr_count 6
		.amdhsa_user_sgpr_private_segment_buffer 1
		.amdhsa_user_sgpr_dispatch_ptr 0
		.amdhsa_user_sgpr_queue_ptr 0
		.amdhsa_user_sgpr_kernarg_segment_ptr 1
		.amdhsa_user_sgpr_dispatch_id 0
		.amdhsa_user_sgpr_flat_scratch_init 0
		.amdhsa_user_sgpr_private_segment_size 0
		.amdhsa_wavefront_size32 1
		.amdhsa_uses_dynamic_stack 0
		.amdhsa_system_sgpr_private_segment_wavefront_offset 0
		.amdhsa_system_sgpr_workgroup_id_x 1
		.amdhsa_system_sgpr_workgroup_id_y 1
		.amdhsa_system_sgpr_workgroup_id_z 1
		.amdhsa_system_sgpr_workgroup_info 0
		.amdhsa_system_vgpr_workitem_id 1
		.amdhsa_next_free_vgpr 38
		.amdhsa_next_free_sgpr 30
		.amdhsa_reserve_vcc 1
		.amdhsa_reserve_flat_scratch 0
		.amdhsa_float_round_mode_32 0
		.amdhsa_float_round_mode_16_64 0
		.amdhsa_float_denorm_mode_32 3
		.amdhsa_float_denorm_mode_16_64 3
		.amdhsa_dx10_clamp 1
		.amdhsa_ieee_mode 1
		.amdhsa_fp16_overflow 0
		.amdhsa_workgroup_processor_mode 1
		.amdhsa_memory_ordered 1
		.amdhsa_forward_progress 1
		.amdhsa_shared_vgpr_count 0
		.amdhsa_exception_fp_ieee_invalid_op 0
		.amdhsa_exception_fp_denorm_src 0
		.amdhsa_exception_fp_ieee_div_zero 0
		.amdhsa_exception_fp_ieee_overflow 0
		.amdhsa_exception_fp_ieee_underflow 0
		.amdhsa_exception_fp_ieee_inexact 0
		.amdhsa_exception_int_div_zero 0
	.end_amdhsa_kernel
	.section	.text._ZN12_GLOBAL__N_127rocblas_gemm_batched_kernelIdLi16ELi16ELi32ELi32ELi8ELi32ELi8ELi8ELi32ELc78ELc84EKdS1_dEEvlllT_PT11_llS4_llS2_PT12_llPT13_lli,"axG",@progbits,_ZN12_GLOBAL__N_127rocblas_gemm_batched_kernelIdLi16ELi16ELi32ELi32ELi8ELi32ELi8ELi8ELi32ELc78ELc84EKdS1_dEEvlllT_PT11_llS4_llS2_PT12_llPT13_lli,comdat
.Lfunc_end71:
	.size	_ZN12_GLOBAL__N_127rocblas_gemm_batched_kernelIdLi16ELi16ELi32ELi32ELi8ELi32ELi8ELi8ELi32ELc78ELc84EKdS1_dEEvlllT_PT11_llS4_llS2_PT12_llPT13_lli, .Lfunc_end71-_ZN12_GLOBAL__N_127rocblas_gemm_batched_kernelIdLi16ELi16ELi32ELi32ELi8ELi32ELi8ELi8ELi32ELc78ELc84EKdS1_dEEvlllT_PT11_llS4_llS2_PT12_llPT13_lli
                                        ; -- End function
	.set _ZN12_GLOBAL__N_127rocblas_gemm_batched_kernelIdLi16ELi16ELi32ELi32ELi8ELi32ELi8ELi8ELi32ELc78ELc84EKdS1_dEEvlllT_PT11_llS4_llS2_PT12_llPT13_lli.num_vgpr, 38
	.set _ZN12_GLOBAL__N_127rocblas_gemm_batched_kernelIdLi16ELi16ELi32ELi32ELi8ELi32ELi8ELi8ELi32ELc78ELc84EKdS1_dEEvlllT_PT11_llS4_llS2_PT12_llPT13_lli.num_agpr, 0
	.set _ZN12_GLOBAL__N_127rocblas_gemm_batched_kernelIdLi16ELi16ELi32ELi32ELi8ELi32ELi8ELi8ELi32ELc78ELc84EKdS1_dEEvlllT_PT11_llS4_llS2_PT12_llPT13_lli.numbered_sgpr, 30
	.set _ZN12_GLOBAL__N_127rocblas_gemm_batched_kernelIdLi16ELi16ELi32ELi32ELi8ELi32ELi8ELi8ELi32ELc78ELc84EKdS1_dEEvlllT_PT11_llS4_llS2_PT12_llPT13_lli.num_named_barrier, 0
	.set _ZN12_GLOBAL__N_127rocblas_gemm_batched_kernelIdLi16ELi16ELi32ELi32ELi8ELi32ELi8ELi8ELi32ELc78ELc84EKdS1_dEEvlllT_PT11_llS4_llS2_PT12_llPT13_lli.private_seg_size, 0
	.set _ZN12_GLOBAL__N_127rocblas_gemm_batched_kernelIdLi16ELi16ELi32ELi32ELi8ELi32ELi8ELi8ELi32ELc78ELc84EKdS1_dEEvlllT_PT11_llS4_llS2_PT12_llPT13_lli.uses_vcc, 1
	.set _ZN12_GLOBAL__N_127rocblas_gemm_batched_kernelIdLi16ELi16ELi32ELi32ELi8ELi32ELi8ELi8ELi32ELc78ELc84EKdS1_dEEvlllT_PT11_llS4_llS2_PT12_llPT13_lli.uses_flat_scratch, 0
	.set _ZN12_GLOBAL__N_127rocblas_gemm_batched_kernelIdLi16ELi16ELi32ELi32ELi8ELi32ELi8ELi8ELi32ELc78ELc84EKdS1_dEEvlllT_PT11_llS4_llS2_PT12_llPT13_lli.has_dyn_sized_stack, 0
	.set _ZN12_GLOBAL__N_127rocblas_gemm_batched_kernelIdLi16ELi16ELi32ELi32ELi8ELi32ELi8ELi8ELi32ELc78ELc84EKdS1_dEEvlllT_PT11_llS4_llS2_PT12_llPT13_lli.has_recursion, 0
	.set _ZN12_GLOBAL__N_127rocblas_gemm_batched_kernelIdLi16ELi16ELi32ELi32ELi8ELi32ELi8ELi8ELi32ELc78ELc84EKdS1_dEEvlllT_PT11_llS4_llS2_PT12_llPT13_lli.has_indirect_call, 0
	.section	.AMDGPU.csdata,"",@progbits
; Kernel info:
; codeLenInByte = 1588
; TotalNumSgprs: 32
; NumVgprs: 38
; ScratchSize: 0
; MemoryBound: 0
; FloatMode: 240
; IeeeMode: 1
; LDSByteSize: 4096 bytes/workgroup (compile time only)
; SGPRBlocks: 0
; VGPRBlocks: 4
; NumSGPRsForWavesPerEU: 32
; NumVGPRsForWavesPerEU: 38
; Occupancy: 16
; WaveLimiterHint : 1
; COMPUTE_PGM_RSRC2:SCRATCH_EN: 0
; COMPUTE_PGM_RSRC2:USER_SGPR: 6
; COMPUTE_PGM_RSRC2:TRAP_HANDLER: 0
; COMPUTE_PGM_RSRC2:TGID_X_EN: 1
; COMPUTE_PGM_RSRC2:TGID_Y_EN: 1
; COMPUTE_PGM_RSRC2:TGID_Z_EN: 1
; COMPUTE_PGM_RSRC2:TIDIG_COMP_CNT: 1
	.section	.text._ZN12_GLOBAL__N_127rocblas_gemm_batched_kernelIdLi16ELi16ELi32ELi32ELi8ELi32ELi8ELi8ELi32ELc84ELc84EKdS1_dEEvlllT_PT11_llS4_llS2_PT12_llPT13_lli,"axG",@progbits,_ZN12_GLOBAL__N_127rocblas_gemm_batched_kernelIdLi16ELi16ELi32ELi32ELi8ELi32ELi8ELi8ELi32ELc84ELc84EKdS1_dEEvlllT_PT11_llS4_llS2_PT12_llPT13_lli,comdat
	.globl	_ZN12_GLOBAL__N_127rocblas_gemm_batched_kernelIdLi16ELi16ELi32ELi32ELi8ELi32ELi8ELi8ELi32ELc84ELc84EKdS1_dEEvlllT_PT11_llS4_llS2_PT12_llPT13_lli ; -- Begin function _ZN12_GLOBAL__N_127rocblas_gemm_batched_kernelIdLi16ELi16ELi32ELi32ELi8ELi32ELi8ELi8ELi32ELc84ELc84EKdS1_dEEvlllT_PT11_llS4_llS2_PT12_llPT13_lli
	.p2align	8
	.type	_ZN12_GLOBAL__N_127rocblas_gemm_batched_kernelIdLi16ELi16ELi32ELi32ELi8ELi32ELi8ELi8ELi32ELc84ELc84EKdS1_dEEvlllT_PT11_llS4_llS2_PT12_llPT13_lli,@function
_ZN12_GLOBAL__N_127rocblas_gemm_batched_kernelIdLi16ELi16ELi32ELi32ELi8ELi32ELi8ELi8ELi32ELc84ELc84EKdS1_dEEvlllT_PT11_llS4_llS2_PT12_llPT13_lli: ; @_ZN12_GLOBAL__N_127rocblas_gemm_batched_kernelIdLi16ELi16ELi32ELi32ELi8ELi32ELi8ELi8ELi32ELc84ELc84EKdS1_dEEvlllT_PT11_llS4_llS2_PT12_llPT13_lli
; %bb.0:
	s_load_dwordx16 s[12:27], s[4:5], 0x10
	s_mov_b32 s0, s7
	v_mov_b32_e32 v3, 0
	s_ashr_i32 s7, s6, 31
	s_ashr_i32 s1, s0, 31
	s_lshl_b64 s[10:11], s[6:7], 5
	s_lshl_b64 s[28:29], s[0:1], 5
	s_waitcnt lgkmcnt(0)
	v_cmp_lt_i64_e64 s2, s[12:13], 1
	s_and_b32 vcc_lo, exec_lo, s2
	s_cbranch_vccnz .LBB72_3
; %bb.1:
	v_lshl_add_u32 v5, v1, 4, v0
	v_and_b32_e32 v6, 7, v0
	s_mul_i32 s0, s27, s8
	s_mul_hi_u32 s1, s26, s8
	v_lshlrev_b32_e32 v14, 3, v0
	v_lshrrev_b32_e32 v2, 3, v5
	v_and_b32_e32 v7, 31, v5
	v_lshlrev_b32_e32 v8, 3, v6
	s_add_i32 s1, s1, s0
	v_lshrrev_b32_e32 v9, 5, v5
	v_mad_u64_u32 v[3:4], null, s24, v6, v[2:3]
	v_lshlrev_b32_e32 v5, 3, v7
	v_add_co_u32 v7, s0, s10, v7
	v_lshl_or_b32 v8, v2, 6, v8
	v_add_co_ci_u32_e64 v10, null, s11, 0, s0
	v_mov_b32_e32 v2, v4
	v_lshl_or_b32 v15, v9, 8, v5
	v_add_nc_u32_e32 v16, 0x800, v8
	v_mul_lo_u32 v8, s19, v7
	v_mul_lo_u32 v10, s18, v10
	v_mad_u64_u32 v[4:5], null, s25, v6, v[2:3]
	v_mad_u64_u32 v[5:6], null, s18, v7, 0
	s_mul_i32 s0, s26, s8
	v_add_co_u32 v2, vcc_lo, v3, s28
	s_lshl_b64 s[0:1], s[0:1], 3
	v_add_co_ci_u32_e64 v3, null, s29, v4, vcc_lo
	v_add3_u32 v6, v6, v10, v8
	s_add_u32 s2, s22, s0
	s_addc_u32 s3, s23, s1
	s_mul_i32 s0, s21, s8
	s_mul_hi_u32 s1, s20, s8
	v_lshlrev_b64 v[4:5], 3, v[5:6]
	s_add_i32 s1, s1, s0
	s_mul_i32 s0, s20, s8
	v_lshlrev_b64 v[2:3], 3, v[2:3]
	s_lshl_b64 s[0:1], s[0:1], 3
	v_lshlrev_b32_e32 v6, 3, v9
	v_add_co_u32 v4, vcc_lo, v4, s0
	v_add_co_ci_u32_e64 v5, null, s1, v5, vcc_lo
	v_add_co_u32 v10, vcc_lo, s2, v2
	v_add_co_ci_u32_e64 v11, null, s3, v3, vcc_lo
	;; [unrolled: 2-line block ×3, first 2 shown]
	v_mov_b32_e32 v2, 0
	v_add_co_u32 v12, vcc_lo, s16, v12
	v_mov_b32_e32 v4, 0
	v_mov_b32_e32 v6, 0
	;; [unrolled: 1-line block ×3, first 2 shown]
	v_lshl_add_u32 v17, v1, 6, 0x800
	v_mov_b32_e32 v3, 0
	v_mov_b32_e32 v5, 0
	v_mov_b32_e32 v7, 0
	v_mov_b32_e32 v9, 0
	v_add_co_ci_u32_e64 v13, null, s17, v13, vcc_lo
	s_lshl_b64 s[0:1], s[24:25], 6
	s_mov_b64 s[2:3], 0
.LBB72_2:                               ; =>This Inner Loop Header: Depth=1
	global_load_dwordx2 v[18:19], v[12:13], off
	global_load_dwordx2 v[20:21], v[10:11], off
	s_add_u32 s2, s2, 8
	s_addc_u32 s3, s3, 0
	v_add_co_u32 v10, vcc_lo, v10, s0
	v_cmp_lt_i64_e64 s6, s[2:3], s[12:13]
	v_add_co_ci_u32_e64 v11, null, s1, v11, vcc_lo
	v_add_co_u32 v12, vcc_lo, v12, 64
	v_add_co_ci_u32_e64 v13, null, 0, v13, vcc_lo
	s_and_b32 vcc_lo, exec_lo, s6
	s_waitcnt vmcnt(1)
	ds_write_b64 v15, v[18:19]
	s_waitcnt vmcnt(0)
	ds_write_b64 v16, v[20:21]
	s_waitcnt lgkmcnt(0)
	s_barrier
	buffer_gl0_inv
	ds_read_b128 v[18:21], v17
	ds_read2_b64 v[22:25], v14 offset1:16
	ds_read_b128 v[26:29], v17 offset:1024
	ds_read_b128 v[30:33], v17 offset:16
	;; [unrolled: 1-line block ×3, first 2 shown]
	s_waitcnt lgkmcnt(3)
	v_fma_f64 v[8:9], v[22:23], v[18:19], v[8:9]
	v_fma_f64 v[6:7], v[24:25], v[18:19], v[6:7]
	s_waitcnt lgkmcnt(2)
	v_fma_f64 v[18:19], v[22:23], v[26:27], v[4:5]
	v_fma_f64 v[22:23], v[24:25], v[26:27], v[2:3]
	ds_read2_b64 v[2:5], v14 offset0:32 offset1:48
	s_waitcnt lgkmcnt(0)
	v_fma_f64 v[8:9], v[2:3], v[20:21], v[8:9]
	v_fma_f64 v[6:7], v[4:5], v[20:21], v[6:7]
	;; [unrolled: 1-line block ×4, first 2 shown]
	ds_read2_b64 v[2:5], v14 offset0:64 offset1:80
	s_waitcnt lgkmcnt(0)
	v_fma_f64 v[22:23], v[2:3], v[30:31], v[8:9]
	v_fma_f64 v[24:25], v[4:5], v[30:31], v[6:7]
	;; [unrolled: 1-line block ×4, first 2 shown]
	ds_read2_b64 v[2:5], v14 offset0:96 offset1:112
	ds_read_b128 v[6:9], v17 offset:32
	ds_read2_b64 v[18:21], v14 offset0:128 offset1:144
	s_waitcnt lgkmcnt(2)
	v_fma_f64 v[30:31], v[2:3], v[32:33], v[22:23]
	v_fma_f64 v[32:33], v[4:5], v[32:33], v[24:25]
	;; [unrolled: 1-line block ×4, first 2 shown]
	ds_read_b128 v[2:5], v17 offset:1056
	ds_read_b128 v[22:25], v17 offset:48
	;; [unrolled: 1-line block ×3, first 2 shown]
	s_waitcnt lgkmcnt(3)
	v_fma_f64 v[30:31], v[18:19], v[6:7], v[30:31]
	v_fma_f64 v[6:7], v[20:21], v[6:7], v[32:33]
	s_waitcnt lgkmcnt(2)
	v_fma_f64 v[32:33], v[18:19], v[2:3], v[34:35]
	v_fma_f64 v[2:3], v[20:21], v[2:3], v[36:37]
	ds_read2_b64 v[18:21], v14 offset0:160 offset1:176
	s_waitcnt lgkmcnt(0)
	v_fma_f64 v[30:31], v[18:19], v[8:9], v[30:31]
	v_fma_f64 v[6:7], v[20:21], v[8:9], v[6:7]
	;; [unrolled: 1-line block ×4, first 2 shown]
	ds_read2_b64 v[2:5], v14 offset0:192 offset1:208
	s_waitcnt lgkmcnt(0)
	v_fma_f64 v[30:31], v[2:3], v[22:23], v[30:31]
	v_fma_f64 v[6:7], v[4:5], v[22:23], v[6:7]
	;; [unrolled: 1-line block ×4, first 2 shown]
	ds_read2_b64 v[18:21], v14 offset0:224 offset1:240
	s_waitcnt lgkmcnt(0)
	s_barrier
	buffer_gl0_inv
	v_fma_f64 v[8:9], v[18:19], v[24:25], v[30:31]
	v_fma_f64 v[6:7], v[20:21], v[24:25], v[6:7]
	;; [unrolled: 1-line block ×4, first 2 shown]
	s_cbranch_vccnz .LBB72_2
	s_branch .LBB72_4
.LBB72_3:
	v_mov_b32_e32 v8, 0
	v_mov_b32_e32 v6, 0
	;; [unrolled: 1-line block ×8, first 2 shown]
.LBB72_4:
	s_clause 0x1
	s_load_dwordx8 s[16:23], s[4:5], 0x50
	s_load_dwordx8 s[0:7], s[4:5], 0x70
	s_waitcnt lgkmcnt(0)
	v_cmp_neq_f64_e64 s6, s[16:17], 0
	s_mul_i32 s5, s5, s8
	s_mul_hi_u32 s7, s4, s8
	s_mul_i32 s4, s4, s8
	s_add_i32 s5, s7, s5
	v_add_co_u32 v10, s7, s28, v1
	v_add_co_ci_u32_e64 v13, null, s29, 0, s7
	v_add_co_u32 v0, s7, s10, v0
	v_add_co_ci_u32_e64 v1, null, s11, 0, s7
	v_mul_lo_u32 v11, v13, s2
	v_mul_lo_u32 v12, v10, s3
	s_lshl_b64 s[4:5], s[4:5], 3
	v_lshlrev_b64 v[0:1], 3, v[0:1]
	s_add_u32 s0, s0, s4
	s_addc_u32 s1, s1, s5
	s_and_b32 vcc_lo, exec_lo, s6
	s_cbranch_vccnz .LBB72_8
; %bb.5:
	v_mad_u64_u32 v[14:15], null, v10, s2, 0
	v_mul_f64 v[16:17], s[14:15], v[8:9]
	v_mul_f64 v[18:19], s[14:15], v[6:7]
	;; [unrolled: 1-line block ×4, first 2 shown]
	s_lshl_b64 s[4:5], s[2:3], 7
	v_add3_u32 v15, v15, v12, v11
	v_lshlrev_b64 v[14:15], 3, v[14:15]
	v_add_co_u32 v14, vcc_lo, s0, v14
	v_add_co_ci_u32_e64 v15, null, s1, v15, vcc_lo
	v_add_co_u32 v24, vcc_lo, v14, s4
	v_add_co_ci_u32_e64 v25, null, s5, v15, vcc_lo
	;; [unrolled: 2-line block ×4, first 2 shown]
	global_store_dwordx2 v[14:15], v[16:17], off
	global_store_dwordx2 v[14:15], v[18:19], off offset:128
	global_store_dwordx2 v[24:25], v[20:21], off
	global_store_dwordx2 v[24:25], v[22:23], off offset:128
	s_cbranch_execnz .LBB72_7
.LBB72_6:
	v_mul_lo_u32 v15, v13, s20
	v_mul_lo_u32 v16, v10, s21
	v_mad_u64_u32 v[13:14], null, v10, s20, 0
	s_mul_i32 s5, s23, s8
	s_mul_hi_u32 s6, s22, s8
	s_mul_i32 s4, s22, s8
	s_add_i32 s5, s6, s5
	v_mad_u64_u32 v[17:18], null, v10, s2, 0
	v_add3_u32 v14, v14, v16, v15
	s_lshl_b64 s[4:5], s[4:5], 3
	s_add_u32 s4, s18, s4
	s_addc_u32 s5, s19, s5
	v_lshlrev_b64 v[13:14], 3, v[13:14]
	v_add3_u32 v18, v18, v12, v11
	v_lshlrev_b64 v[10:11], 3, v[17:18]
	v_add_co_u32 v19, vcc_lo, s4, v13
	v_add_co_ci_u32_e64 v20, null, s5, v14, vcc_lo
	v_add_co_u32 v13, vcc_lo, v19, v0
	v_add_co_ci_u32_e64 v14, null, v20, v1, vcc_lo
	v_add_co_u32 v12, vcc_lo, s0, v10
	global_load_dwordx2 v[15:16], v[13:14], off
	s_waitcnt vmcnt(0)
	v_mul_f64 v[15:16], s[16:17], v[15:16]
	v_fma_f64 v[8:9], s[14:15], v[8:9], v[15:16]
	v_add_co_ci_u32_e64 v15, null, s1, v11, vcc_lo
	v_add_co_u32 v10, vcc_lo, v12, v0
	s_lshl_b64 s[0:1], s[20:21], 7
	v_add_co_ci_u32_e64 v11, null, v15, v1, vcc_lo
	global_store_dwordx2 v[10:11], v[8:9], off
	global_load_dwordx2 v[8:9], v[13:14], off offset:128
	s_waitcnt vmcnt(0)
	v_mul_f64 v[8:9], s[16:17], v[8:9]
	v_fma_f64 v[6:7], s[14:15], v[6:7], v[8:9]
	v_add_co_u32 v8, vcc_lo, v19, s0
	v_add_co_ci_u32_e64 v9, null, s1, v20, vcc_lo
	s_lshl_b64 s[0:1], s[2:3], 7
	v_add_co_u32 v8, vcc_lo, v8, v0
	v_add_co_ci_u32_e64 v9, null, v9, v1, vcc_lo
	global_store_dwordx2 v[10:11], v[6:7], off offset:128
	global_load_dwordx2 v[6:7], v[8:9], off
	s_waitcnt vmcnt(0)
	v_mul_f64 v[6:7], s[16:17], v[6:7]
	v_fma_f64 v[4:5], s[14:15], v[4:5], v[6:7]
	v_add_co_u32 v6, vcc_lo, v12, s0
	v_add_co_ci_u32_e64 v7, null, s1, v15, vcc_lo
	v_add_co_u32 v0, vcc_lo, v6, v0
	v_add_co_ci_u32_e64 v1, null, v7, v1, vcc_lo
	global_store_dwordx2 v[0:1], v[4:5], off
	global_load_dwordx2 v[4:5], v[8:9], off offset:128
	s_waitcnt vmcnt(0)
	v_mul_f64 v[4:5], s[16:17], v[4:5]
	v_fma_f64 v[2:3], s[14:15], v[2:3], v[4:5]
	global_store_dwordx2 v[0:1], v[2:3], off offset:128
.LBB72_7:
	s_endpgm
.LBB72_8:
	s_branch .LBB72_6
	.section	.rodata,"a",@progbits
	.p2align	6, 0x0
	.amdhsa_kernel _ZN12_GLOBAL__N_127rocblas_gemm_batched_kernelIdLi16ELi16ELi32ELi32ELi8ELi32ELi8ELi8ELi32ELc84ELc84EKdS1_dEEvlllT_PT11_llS4_llS2_PT12_llPT13_lli
		.amdhsa_group_segment_fixed_size 4096
		.amdhsa_private_segment_fixed_size 0
		.amdhsa_kernarg_size 140
		.amdhsa_user_sgpr_count 6
		.amdhsa_user_sgpr_private_segment_buffer 1
		.amdhsa_user_sgpr_dispatch_ptr 0
		.amdhsa_user_sgpr_queue_ptr 0
		.amdhsa_user_sgpr_kernarg_segment_ptr 1
		.amdhsa_user_sgpr_dispatch_id 0
		.amdhsa_user_sgpr_flat_scratch_init 0
		.amdhsa_user_sgpr_private_segment_size 0
		.amdhsa_wavefront_size32 1
		.amdhsa_uses_dynamic_stack 0
		.amdhsa_system_sgpr_private_segment_wavefront_offset 0
		.amdhsa_system_sgpr_workgroup_id_x 1
		.amdhsa_system_sgpr_workgroup_id_y 1
		.amdhsa_system_sgpr_workgroup_id_z 1
		.amdhsa_system_sgpr_workgroup_info 0
		.amdhsa_system_vgpr_workitem_id 1
		.amdhsa_next_free_vgpr 38
		.amdhsa_next_free_sgpr 30
		.amdhsa_reserve_vcc 1
		.amdhsa_reserve_flat_scratch 0
		.amdhsa_float_round_mode_32 0
		.amdhsa_float_round_mode_16_64 0
		.amdhsa_float_denorm_mode_32 3
		.amdhsa_float_denorm_mode_16_64 3
		.amdhsa_dx10_clamp 1
		.amdhsa_ieee_mode 1
		.amdhsa_fp16_overflow 0
		.amdhsa_workgroup_processor_mode 1
		.amdhsa_memory_ordered 1
		.amdhsa_forward_progress 1
		.amdhsa_shared_vgpr_count 0
		.amdhsa_exception_fp_ieee_invalid_op 0
		.amdhsa_exception_fp_denorm_src 0
		.amdhsa_exception_fp_ieee_div_zero 0
		.amdhsa_exception_fp_ieee_overflow 0
		.amdhsa_exception_fp_ieee_underflow 0
		.amdhsa_exception_fp_ieee_inexact 0
		.amdhsa_exception_int_div_zero 0
	.end_amdhsa_kernel
	.section	.text._ZN12_GLOBAL__N_127rocblas_gemm_batched_kernelIdLi16ELi16ELi32ELi32ELi8ELi32ELi8ELi8ELi32ELc84ELc84EKdS1_dEEvlllT_PT11_llS4_llS2_PT12_llPT13_lli,"axG",@progbits,_ZN12_GLOBAL__N_127rocblas_gemm_batched_kernelIdLi16ELi16ELi32ELi32ELi8ELi32ELi8ELi8ELi32ELc84ELc84EKdS1_dEEvlllT_PT11_llS4_llS2_PT12_llPT13_lli,comdat
.Lfunc_end72:
	.size	_ZN12_GLOBAL__N_127rocblas_gemm_batched_kernelIdLi16ELi16ELi32ELi32ELi8ELi32ELi8ELi8ELi32ELc84ELc84EKdS1_dEEvlllT_PT11_llS4_llS2_PT12_llPT13_lli, .Lfunc_end72-_ZN12_GLOBAL__N_127rocblas_gemm_batched_kernelIdLi16ELi16ELi32ELi32ELi8ELi32ELi8ELi8ELi32ELc84ELc84EKdS1_dEEvlllT_PT11_llS4_llS2_PT12_llPT13_lli
                                        ; -- End function
	.set _ZN12_GLOBAL__N_127rocblas_gemm_batched_kernelIdLi16ELi16ELi32ELi32ELi8ELi32ELi8ELi8ELi32ELc84ELc84EKdS1_dEEvlllT_PT11_llS4_llS2_PT12_llPT13_lli.num_vgpr, 38
	.set _ZN12_GLOBAL__N_127rocblas_gemm_batched_kernelIdLi16ELi16ELi32ELi32ELi8ELi32ELi8ELi8ELi32ELc84ELc84EKdS1_dEEvlllT_PT11_llS4_llS2_PT12_llPT13_lli.num_agpr, 0
	.set _ZN12_GLOBAL__N_127rocblas_gemm_batched_kernelIdLi16ELi16ELi32ELi32ELi8ELi32ELi8ELi8ELi32ELc84ELc84EKdS1_dEEvlllT_PT11_llS4_llS2_PT12_llPT13_lli.numbered_sgpr, 30
	.set _ZN12_GLOBAL__N_127rocblas_gemm_batched_kernelIdLi16ELi16ELi32ELi32ELi8ELi32ELi8ELi8ELi32ELc84ELc84EKdS1_dEEvlllT_PT11_llS4_llS2_PT12_llPT13_lli.num_named_barrier, 0
	.set _ZN12_GLOBAL__N_127rocblas_gemm_batched_kernelIdLi16ELi16ELi32ELi32ELi8ELi32ELi8ELi8ELi32ELc84ELc84EKdS1_dEEvlllT_PT11_llS4_llS2_PT12_llPT13_lli.private_seg_size, 0
	.set _ZN12_GLOBAL__N_127rocblas_gemm_batched_kernelIdLi16ELi16ELi32ELi32ELi8ELi32ELi8ELi8ELi32ELc84ELc84EKdS1_dEEvlllT_PT11_llS4_llS2_PT12_llPT13_lli.uses_vcc, 1
	.set _ZN12_GLOBAL__N_127rocblas_gemm_batched_kernelIdLi16ELi16ELi32ELi32ELi8ELi32ELi8ELi8ELi32ELc84ELc84EKdS1_dEEvlllT_PT11_llS4_llS2_PT12_llPT13_lli.uses_flat_scratch, 0
	.set _ZN12_GLOBAL__N_127rocblas_gemm_batched_kernelIdLi16ELi16ELi32ELi32ELi8ELi32ELi8ELi8ELi32ELc84ELc84EKdS1_dEEvlllT_PT11_llS4_llS2_PT12_llPT13_lli.has_dyn_sized_stack, 0
	.set _ZN12_GLOBAL__N_127rocblas_gemm_batched_kernelIdLi16ELi16ELi32ELi32ELi8ELi32ELi8ELi8ELi32ELc84ELc84EKdS1_dEEvlllT_PT11_llS4_llS2_PT12_llPT13_lli.has_recursion, 0
	.set _ZN12_GLOBAL__N_127rocblas_gemm_batched_kernelIdLi16ELi16ELi32ELi32ELi8ELi32ELi8ELi8ELi32ELc84ELc84EKdS1_dEEvlllT_PT11_llS4_llS2_PT12_llPT13_lli.has_indirect_call, 0
	.section	.AMDGPU.csdata,"",@progbits
; Kernel info:
; codeLenInByte = 1628
; TotalNumSgprs: 32
; NumVgprs: 38
; ScratchSize: 0
; MemoryBound: 0
; FloatMode: 240
; IeeeMode: 1
; LDSByteSize: 4096 bytes/workgroup (compile time only)
; SGPRBlocks: 0
; VGPRBlocks: 4
; NumSGPRsForWavesPerEU: 32
; NumVGPRsForWavesPerEU: 38
; Occupancy: 16
; WaveLimiterHint : 1
; COMPUTE_PGM_RSRC2:SCRATCH_EN: 0
; COMPUTE_PGM_RSRC2:USER_SGPR: 6
; COMPUTE_PGM_RSRC2:TRAP_HANDLER: 0
; COMPUTE_PGM_RSRC2:TGID_X_EN: 1
; COMPUTE_PGM_RSRC2:TGID_Y_EN: 1
; COMPUTE_PGM_RSRC2:TGID_Z_EN: 1
; COMPUTE_PGM_RSRC2:TIDIG_COMP_CNT: 1
	.section	.text._ZN12_GLOBAL__N_127rocblas_gemm_batched_kernelIdLi16ELi16ELi32ELi32ELi8ELi32ELi8ELi8ELi32ELc67ELc67EKdS1_dEEvlllT_PT11_llS4_llS2_PT12_llPT13_lli,"axG",@progbits,_ZN12_GLOBAL__N_127rocblas_gemm_batched_kernelIdLi16ELi16ELi32ELi32ELi8ELi32ELi8ELi8ELi32ELc67ELc67EKdS1_dEEvlllT_PT11_llS4_llS2_PT12_llPT13_lli,comdat
	.globl	_ZN12_GLOBAL__N_127rocblas_gemm_batched_kernelIdLi16ELi16ELi32ELi32ELi8ELi32ELi8ELi8ELi32ELc67ELc67EKdS1_dEEvlllT_PT11_llS4_llS2_PT12_llPT13_lli ; -- Begin function _ZN12_GLOBAL__N_127rocblas_gemm_batched_kernelIdLi16ELi16ELi32ELi32ELi8ELi32ELi8ELi8ELi32ELc67ELc67EKdS1_dEEvlllT_PT11_llS4_llS2_PT12_llPT13_lli
	.p2align	8
	.type	_ZN12_GLOBAL__N_127rocblas_gemm_batched_kernelIdLi16ELi16ELi32ELi32ELi8ELi32ELi8ELi8ELi32ELc67ELc67EKdS1_dEEvlllT_PT11_llS4_llS2_PT12_llPT13_lli,@function
_ZN12_GLOBAL__N_127rocblas_gemm_batched_kernelIdLi16ELi16ELi32ELi32ELi8ELi32ELi8ELi8ELi32ELc67ELc67EKdS1_dEEvlllT_PT11_llS4_llS2_PT12_llPT13_lli: ; @_ZN12_GLOBAL__N_127rocblas_gemm_batched_kernelIdLi16ELi16ELi32ELi32ELi8ELi32ELi8ELi8ELi32ELc67ELc67EKdS1_dEEvlllT_PT11_llS4_llS2_PT12_llPT13_lli
; %bb.0:
	s_load_dwordx16 s[12:27], s[4:5], 0x10
	s_mov_b32 s0, s7
	v_mov_b32_e32 v3, 0
	s_ashr_i32 s7, s6, 31
	s_ashr_i32 s1, s0, 31
	s_lshl_b64 s[10:11], s[6:7], 5
	s_lshl_b64 s[28:29], s[0:1], 5
	s_waitcnt lgkmcnt(0)
	v_cmp_lt_i64_e64 s2, s[12:13], 1
	s_and_b32 vcc_lo, exec_lo, s2
	s_cbranch_vccnz .LBB73_3
; %bb.1:
	v_lshl_add_u32 v5, v1, 4, v0
	v_and_b32_e32 v6, 7, v0
	s_mul_i32 s0, s27, s8
	s_mul_hi_u32 s1, s26, s8
	v_lshlrev_b32_e32 v14, 3, v0
	v_lshrrev_b32_e32 v2, 3, v5
	v_and_b32_e32 v7, 31, v5
	v_lshlrev_b32_e32 v8, 3, v6
	s_add_i32 s1, s1, s0
	v_lshrrev_b32_e32 v9, 5, v5
	v_mad_u64_u32 v[3:4], null, s24, v6, v[2:3]
	v_lshlrev_b32_e32 v5, 3, v7
	v_add_co_u32 v7, s0, s10, v7
	v_lshl_or_b32 v8, v2, 6, v8
	v_add_co_ci_u32_e64 v10, null, s11, 0, s0
	v_mov_b32_e32 v2, v4
	v_lshl_or_b32 v15, v9, 8, v5
	v_add_nc_u32_e32 v16, 0x800, v8
	v_mul_lo_u32 v8, s19, v7
	v_mul_lo_u32 v10, s18, v10
	v_mad_u64_u32 v[4:5], null, s25, v6, v[2:3]
	v_mad_u64_u32 v[5:6], null, s18, v7, 0
	s_mul_i32 s0, s26, s8
	v_add_co_u32 v2, vcc_lo, v3, s28
	s_lshl_b64 s[0:1], s[0:1], 3
	v_add_co_ci_u32_e64 v3, null, s29, v4, vcc_lo
	v_add3_u32 v6, v6, v10, v8
	s_add_u32 s2, s22, s0
	s_addc_u32 s3, s23, s1
	s_mul_i32 s0, s21, s8
	s_mul_hi_u32 s1, s20, s8
	v_lshlrev_b64 v[4:5], 3, v[5:6]
	s_add_i32 s1, s1, s0
	s_mul_i32 s0, s20, s8
	v_lshlrev_b64 v[2:3], 3, v[2:3]
	s_lshl_b64 s[0:1], s[0:1], 3
	v_lshlrev_b32_e32 v6, 3, v9
	v_add_co_u32 v4, vcc_lo, v4, s0
	v_add_co_ci_u32_e64 v5, null, s1, v5, vcc_lo
	v_add_co_u32 v10, vcc_lo, s2, v2
	v_add_co_ci_u32_e64 v11, null, s3, v3, vcc_lo
	;; [unrolled: 2-line block ×3, first 2 shown]
	v_mov_b32_e32 v2, 0
	v_add_co_u32 v12, vcc_lo, s16, v12
	v_mov_b32_e32 v4, 0
	v_mov_b32_e32 v6, 0
	;; [unrolled: 1-line block ×3, first 2 shown]
	v_lshl_add_u32 v17, v1, 6, 0x800
	v_mov_b32_e32 v3, 0
	v_mov_b32_e32 v5, 0
	;; [unrolled: 1-line block ×4, first 2 shown]
	v_add_co_ci_u32_e64 v13, null, s17, v13, vcc_lo
	s_lshl_b64 s[0:1], s[24:25], 6
	s_mov_b64 s[2:3], 0
.LBB73_2:                               ; =>This Inner Loop Header: Depth=1
	global_load_dwordx2 v[18:19], v[12:13], off
	global_load_dwordx2 v[20:21], v[10:11], off
	s_add_u32 s2, s2, 8
	s_addc_u32 s3, s3, 0
	v_add_co_u32 v10, vcc_lo, v10, s0
	v_cmp_lt_i64_e64 s6, s[2:3], s[12:13]
	v_add_co_ci_u32_e64 v11, null, s1, v11, vcc_lo
	v_add_co_u32 v12, vcc_lo, v12, 64
	v_add_co_ci_u32_e64 v13, null, 0, v13, vcc_lo
	s_and_b32 vcc_lo, exec_lo, s6
	s_waitcnt vmcnt(1)
	ds_write_b64 v15, v[18:19]
	s_waitcnt vmcnt(0)
	ds_write_b64 v16, v[20:21]
	s_waitcnt lgkmcnt(0)
	s_barrier
	buffer_gl0_inv
	ds_read_b128 v[18:21], v17
	ds_read2_b64 v[22:25], v14 offset1:16
	ds_read_b128 v[26:29], v17 offset:1024
	ds_read_b128 v[30:33], v17 offset:16
	;; [unrolled: 1-line block ×3, first 2 shown]
	s_waitcnt lgkmcnt(3)
	v_fma_f64 v[8:9], v[22:23], v[18:19], v[8:9]
	v_fma_f64 v[6:7], v[24:25], v[18:19], v[6:7]
	s_waitcnt lgkmcnt(2)
	v_fma_f64 v[18:19], v[22:23], v[26:27], v[4:5]
	v_fma_f64 v[22:23], v[24:25], v[26:27], v[2:3]
	ds_read2_b64 v[2:5], v14 offset0:32 offset1:48
	s_waitcnt lgkmcnt(0)
	v_fma_f64 v[8:9], v[2:3], v[20:21], v[8:9]
	v_fma_f64 v[6:7], v[4:5], v[20:21], v[6:7]
	;; [unrolled: 1-line block ×4, first 2 shown]
	ds_read2_b64 v[2:5], v14 offset0:64 offset1:80
	s_waitcnt lgkmcnt(0)
	v_fma_f64 v[22:23], v[2:3], v[30:31], v[8:9]
	v_fma_f64 v[24:25], v[4:5], v[30:31], v[6:7]
	;; [unrolled: 1-line block ×4, first 2 shown]
	ds_read2_b64 v[2:5], v14 offset0:96 offset1:112
	ds_read_b128 v[6:9], v17 offset:32
	ds_read2_b64 v[18:21], v14 offset0:128 offset1:144
	s_waitcnt lgkmcnt(2)
	v_fma_f64 v[30:31], v[2:3], v[32:33], v[22:23]
	v_fma_f64 v[32:33], v[4:5], v[32:33], v[24:25]
	;; [unrolled: 1-line block ×4, first 2 shown]
	ds_read_b128 v[2:5], v17 offset:1056
	ds_read_b128 v[22:25], v17 offset:48
	;; [unrolled: 1-line block ×3, first 2 shown]
	s_waitcnt lgkmcnt(3)
	v_fma_f64 v[30:31], v[18:19], v[6:7], v[30:31]
	v_fma_f64 v[6:7], v[20:21], v[6:7], v[32:33]
	s_waitcnt lgkmcnt(2)
	v_fma_f64 v[32:33], v[18:19], v[2:3], v[34:35]
	v_fma_f64 v[2:3], v[20:21], v[2:3], v[36:37]
	ds_read2_b64 v[18:21], v14 offset0:160 offset1:176
	s_waitcnt lgkmcnt(0)
	v_fma_f64 v[30:31], v[18:19], v[8:9], v[30:31]
	v_fma_f64 v[6:7], v[20:21], v[8:9], v[6:7]
	;; [unrolled: 1-line block ×4, first 2 shown]
	ds_read2_b64 v[2:5], v14 offset0:192 offset1:208
	s_waitcnt lgkmcnt(0)
	v_fma_f64 v[30:31], v[2:3], v[22:23], v[30:31]
	v_fma_f64 v[6:7], v[4:5], v[22:23], v[6:7]
	;; [unrolled: 1-line block ×4, first 2 shown]
	ds_read2_b64 v[18:21], v14 offset0:224 offset1:240
	s_waitcnt lgkmcnt(0)
	s_barrier
	buffer_gl0_inv
	v_fma_f64 v[8:9], v[18:19], v[24:25], v[30:31]
	v_fma_f64 v[6:7], v[20:21], v[24:25], v[6:7]
	;; [unrolled: 1-line block ×4, first 2 shown]
	s_cbranch_vccnz .LBB73_2
	s_branch .LBB73_4
.LBB73_3:
	v_mov_b32_e32 v8, 0
	v_mov_b32_e32 v6, 0
	;; [unrolled: 1-line block ×8, first 2 shown]
.LBB73_4:
	s_clause 0x1
	s_load_dwordx8 s[16:23], s[4:5], 0x50
	s_load_dwordx8 s[0:7], s[4:5], 0x70
	s_waitcnt lgkmcnt(0)
	v_cmp_neq_f64_e64 s6, s[16:17], 0
	s_mul_i32 s5, s5, s8
	s_mul_hi_u32 s7, s4, s8
	s_mul_i32 s4, s4, s8
	s_add_i32 s5, s7, s5
	v_add_co_u32 v10, s7, s28, v1
	v_add_co_ci_u32_e64 v13, null, s29, 0, s7
	v_add_co_u32 v0, s7, s10, v0
	v_add_co_ci_u32_e64 v1, null, s11, 0, s7
	v_mul_lo_u32 v11, v13, s2
	v_mul_lo_u32 v12, v10, s3
	s_lshl_b64 s[4:5], s[4:5], 3
	v_lshlrev_b64 v[0:1], 3, v[0:1]
	s_add_u32 s0, s0, s4
	s_addc_u32 s1, s1, s5
	s_and_b32 vcc_lo, exec_lo, s6
	s_cbranch_vccnz .LBB73_8
; %bb.5:
	v_mad_u64_u32 v[14:15], null, v10, s2, 0
	v_mul_f64 v[16:17], s[14:15], v[8:9]
	v_mul_f64 v[18:19], s[14:15], v[6:7]
	;; [unrolled: 1-line block ×4, first 2 shown]
	s_lshl_b64 s[4:5], s[2:3], 7
	v_add3_u32 v15, v15, v12, v11
	v_lshlrev_b64 v[14:15], 3, v[14:15]
	v_add_co_u32 v14, vcc_lo, s0, v14
	v_add_co_ci_u32_e64 v15, null, s1, v15, vcc_lo
	v_add_co_u32 v24, vcc_lo, v14, s4
	v_add_co_ci_u32_e64 v25, null, s5, v15, vcc_lo
	v_add_co_u32 v14, vcc_lo, v14, v0
	v_add_co_ci_u32_e64 v15, null, v15, v1, vcc_lo
	v_add_co_u32 v24, vcc_lo, v24, v0
	v_add_co_ci_u32_e64 v25, null, v25, v1, vcc_lo
	global_store_dwordx2 v[14:15], v[16:17], off
	global_store_dwordx2 v[14:15], v[18:19], off offset:128
	global_store_dwordx2 v[24:25], v[20:21], off
	global_store_dwordx2 v[24:25], v[22:23], off offset:128
	s_cbranch_execnz .LBB73_7
.LBB73_6:
	v_mul_lo_u32 v15, v13, s20
	v_mul_lo_u32 v16, v10, s21
	v_mad_u64_u32 v[13:14], null, v10, s20, 0
	s_mul_i32 s5, s23, s8
	s_mul_hi_u32 s6, s22, s8
	s_mul_i32 s4, s22, s8
	s_add_i32 s5, s6, s5
	v_mad_u64_u32 v[17:18], null, v10, s2, 0
	v_add3_u32 v14, v14, v16, v15
	s_lshl_b64 s[4:5], s[4:5], 3
	s_add_u32 s4, s18, s4
	s_addc_u32 s5, s19, s5
	v_lshlrev_b64 v[13:14], 3, v[13:14]
	v_add3_u32 v18, v18, v12, v11
	v_lshlrev_b64 v[10:11], 3, v[17:18]
	v_add_co_u32 v19, vcc_lo, s4, v13
	v_add_co_ci_u32_e64 v20, null, s5, v14, vcc_lo
	v_add_co_u32 v13, vcc_lo, v19, v0
	v_add_co_ci_u32_e64 v14, null, v20, v1, vcc_lo
	v_add_co_u32 v12, vcc_lo, s0, v10
	global_load_dwordx2 v[15:16], v[13:14], off
	s_waitcnt vmcnt(0)
	v_mul_f64 v[15:16], s[16:17], v[15:16]
	v_fma_f64 v[8:9], s[14:15], v[8:9], v[15:16]
	v_add_co_ci_u32_e64 v15, null, s1, v11, vcc_lo
	v_add_co_u32 v10, vcc_lo, v12, v0
	s_lshl_b64 s[0:1], s[20:21], 7
	v_add_co_ci_u32_e64 v11, null, v15, v1, vcc_lo
	global_store_dwordx2 v[10:11], v[8:9], off
	global_load_dwordx2 v[8:9], v[13:14], off offset:128
	s_waitcnt vmcnt(0)
	v_mul_f64 v[8:9], s[16:17], v[8:9]
	v_fma_f64 v[6:7], s[14:15], v[6:7], v[8:9]
	v_add_co_u32 v8, vcc_lo, v19, s0
	v_add_co_ci_u32_e64 v9, null, s1, v20, vcc_lo
	s_lshl_b64 s[0:1], s[2:3], 7
	v_add_co_u32 v8, vcc_lo, v8, v0
	v_add_co_ci_u32_e64 v9, null, v9, v1, vcc_lo
	global_store_dwordx2 v[10:11], v[6:7], off offset:128
	global_load_dwordx2 v[6:7], v[8:9], off
	s_waitcnt vmcnt(0)
	v_mul_f64 v[6:7], s[16:17], v[6:7]
	v_fma_f64 v[4:5], s[14:15], v[4:5], v[6:7]
	v_add_co_u32 v6, vcc_lo, v12, s0
	v_add_co_ci_u32_e64 v7, null, s1, v15, vcc_lo
	v_add_co_u32 v0, vcc_lo, v6, v0
	v_add_co_ci_u32_e64 v1, null, v7, v1, vcc_lo
	global_store_dwordx2 v[0:1], v[4:5], off
	global_load_dwordx2 v[4:5], v[8:9], off offset:128
	s_waitcnt vmcnt(0)
	v_mul_f64 v[4:5], s[16:17], v[4:5]
	v_fma_f64 v[2:3], s[14:15], v[2:3], v[4:5]
	global_store_dwordx2 v[0:1], v[2:3], off offset:128
.LBB73_7:
	s_endpgm
.LBB73_8:
	s_branch .LBB73_6
	.section	.rodata,"a",@progbits
	.p2align	6, 0x0
	.amdhsa_kernel _ZN12_GLOBAL__N_127rocblas_gemm_batched_kernelIdLi16ELi16ELi32ELi32ELi8ELi32ELi8ELi8ELi32ELc67ELc67EKdS1_dEEvlllT_PT11_llS4_llS2_PT12_llPT13_lli
		.amdhsa_group_segment_fixed_size 4096
		.amdhsa_private_segment_fixed_size 0
		.amdhsa_kernarg_size 140
		.amdhsa_user_sgpr_count 6
		.amdhsa_user_sgpr_private_segment_buffer 1
		.amdhsa_user_sgpr_dispatch_ptr 0
		.amdhsa_user_sgpr_queue_ptr 0
		.amdhsa_user_sgpr_kernarg_segment_ptr 1
		.amdhsa_user_sgpr_dispatch_id 0
		.amdhsa_user_sgpr_flat_scratch_init 0
		.amdhsa_user_sgpr_private_segment_size 0
		.amdhsa_wavefront_size32 1
		.amdhsa_uses_dynamic_stack 0
		.amdhsa_system_sgpr_private_segment_wavefront_offset 0
		.amdhsa_system_sgpr_workgroup_id_x 1
		.amdhsa_system_sgpr_workgroup_id_y 1
		.amdhsa_system_sgpr_workgroup_id_z 1
		.amdhsa_system_sgpr_workgroup_info 0
		.amdhsa_system_vgpr_workitem_id 1
		.amdhsa_next_free_vgpr 38
		.amdhsa_next_free_sgpr 30
		.amdhsa_reserve_vcc 1
		.amdhsa_reserve_flat_scratch 0
		.amdhsa_float_round_mode_32 0
		.amdhsa_float_round_mode_16_64 0
		.amdhsa_float_denorm_mode_32 3
		.amdhsa_float_denorm_mode_16_64 3
		.amdhsa_dx10_clamp 1
		.amdhsa_ieee_mode 1
		.amdhsa_fp16_overflow 0
		.amdhsa_workgroup_processor_mode 1
		.amdhsa_memory_ordered 1
		.amdhsa_forward_progress 1
		.amdhsa_shared_vgpr_count 0
		.amdhsa_exception_fp_ieee_invalid_op 0
		.amdhsa_exception_fp_denorm_src 0
		.amdhsa_exception_fp_ieee_div_zero 0
		.amdhsa_exception_fp_ieee_overflow 0
		.amdhsa_exception_fp_ieee_underflow 0
		.amdhsa_exception_fp_ieee_inexact 0
		.amdhsa_exception_int_div_zero 0
	.end_amdhsa_kernel
	.section	.text._ZN12_GLOBAL__N_127rocblas_gemm_batched_kernelIdLi16ELi16ELi32ELi32ELi8ELi32ELi8ELi8ELi32ELc67ELc67EKdS1_dEEvlllT_PT11_llS4_llS2_PT12_llPT13_lli,"axG",@progbits,_ZN12_GLOBAL__N_127rocblas_gemm_batched_kernelIdLi16ELi16ELi32ELi32ELi8ELi32ELi8ELi8ELi32ELc67ELc67EKdS1_dEEvlllT_PT11_llS4_llS2_PT12_llPT13_lli,comdat
.Lfunc_end73:
	.size	_ZN12_GLOBAL__N_127rocblas_gemm_batched_kernelIdLi16ELi16ELi32ELi32ELi8ELi32ELi8ELi8ELi32ELc67ELc67EKdS1_dEEvlllT_PT11_llS4_llS2_PT12_llPT13_lli, .Lfunc_end73-_ZN12_GLOBAL__N_127rocblas_gemm_batched_kernelIdLi16ELi16ELi32ELi32ELi8ELi32ELi8ELi8ELi32ELc67ELc67EKdS1_dEEvlllT_PT11_llS4_llS2_PT12_llPT13_lli
                                        ; -- End function
	.set _ZN12_GLOBAL__N_127rocblas_gemm_batched_kernelIdLi16ELi16ELi32ELi32ELi8ELi32ELi8ELi8ELi32ELc67ELc67EKdS1_dEEvlllT_PT11_llS4_llS2_PT12_llPT13_lli.num_vgpr, 38
	.set _ZN12_GLOBAL__N_127rocblas_gemm_batched_kernelIdLi16ELi16ELi32ELi32ELi8ELi32ELi8ELi8ELi32ELc67ELc67EKdS1_dEEvlllT_PT11_llS4_llS2_PT12_llPT13_lli.num_agpr, 0
	.set _ZN12_GLOBAL__N_127rocblas_gemm_batched_kernelIdLi16ELi16ELi32ELi32ELi8ELi32ELi8ELi8ELi32ELc67ELc67EKdS1_dEEvlllT_PT11_llS4_llS2_PT12_llPT13_lli.numbered_sgpr, 30
	.set _ZN12_GLOBAL__N_127rocblas_gemm_batched_kernelIdLi16ELi16ELi32ELi32ELi8ELi32ELi8ELi8ELi32ELc67ELc67EKdS1_dEEvlllT_PT11_llS4_llS2_PT12_llPT13_lli.num_named_barrier, 0
	.set _ZN12_GLOBAL__N_127rocblas_gemm_batched_kernelIdLi16ELi16ELi32ELi32ELi8ELi32ELi8ELi8ELi32ELc67ELc67EKdS1_dEEvlllT_PT11_llS4_llS2_PT12_llPT13_lli.private_seg_size, 0
	.set _ZN12_GLOBAL__N_127rocblas_gemm_batched_kernelIdLi16ELi16ELi32ELi32ELi8ELi32ELi8ELi8ELi32ELc67ELc67EKdS1_dEEvlllT_PT11_llS4_llS2_PT12_llPT13_lli.uses_vcc, 1
	.set _ZN12_GLOBAL__N_127rocblas_gemm_batched_kernelIdLi16ELi16ELi32ELi32ELi8ELi32ELi8ELi8ELi32ELc67ELc67EKdS1_dEEvlllT_PT11_llS4_llS2_PT12_llPT13_lli.uses_flat_scratch, 0
	.set _ZN12_GLOBAL__N_127rocblas_gemm_batched_kernelIdLi16ELi16ELi32ELi32ELi8ELi32ELi8ELi8ELi32ELc67ELc67EKdS1_dEEvlllT_PT11_llS4_llS2_PT12_llPT13_lli.has_dyn_sized_stack, 0
	.set _ZN12_GLOBAL__N_127rocblas_gemm_batched_kernelIdLi16ELi16ELi32ELi32ELi8ELi32ELi8ELi8ELi32ELc67ELc67EKdS1_dEEvlllT_PT11_llS4_llS2_PT12_llPT13_lli.has_recursion, 0
	.set _ZN12_GLOBAL__N_127rocblas_gemm_batched_kernelIdLi16ELi16ELi32ELi32ELi8ELi32ELi8ELi8ELi32ELc67ELc67EKdS1_dEEvlllT_PT11_llS4_llS2_PT12_llPT13_lli.has_indirect_call, 0
	.section	.AMDGPU.csdata,"",@progbits
; Kernel info:
; codeLenInByte = 1628
; TotalNumSgprs: 32
; NumVgprs: 38
; ScratchSize: 0
; MemoryBound: 0
; FloatMode: 240
; IeeeMode: 1
; LDSByteSize: 4096 bytes/workgroup (compile time only)
; SGPRBlocks: 0
; VGPRBlocks: 4
; NumSGPRsForWavesPerEU: 32
; NumVGPRsForWavesPerEU: 38
; Occupancy: 16
; WaveLimiterHint : 1
; COMPUTE_PGM_RSRC2:SCRATCH_EN: 0
; COMPUTE_PGM_RSRC2:USER_SGPR: 6
; COMPUTE_PGM_RSRC2:TRAP_HANDLER: 0
; COMPUTE_PGM_RSRC2:TGID_X_EN: 1
; COMPUTE_PGM_RSRC2:TGID_Y_EN: 1
; COMPUTE_PGM_RSRC2:TGID_Z_EN: 1
; COMPUTE_PGM_RSRC2:TIDIG_COMP_CNT: 1
	.section	.text._ZN12_GLOBAL__N_127rocblas_gemm_batched_kernelIdLi16ELi16ELi32ELi32ELi8ELi32ELi8ELi8ELi32ELc67ELc78EKdS1_dEEvlllT_PT11_llS4_llS2_PT12_llPT13_lli,"axG",@progbits,_ZN12_GLOBAL__N_127rocblas_gemm_batched_kernelIdLi16ELi16ELi32ELi32ELi8ELi32ELi8ELi8ELi32ELc67ELc78EKdS1_dEEvlllT_PT11_llS4_llS2_PT12_llPT13_lli,comdat
	.globl	_ZN12_GLOBAL__N_127rocblas_gemm_batched_kernelIdLi16ELi16ELi32ELi32ELi8ELi32ELi8ELi8ELi32ELc67ELc78EKdS1_dEEvlllT_PT11_llS4_llS2_PT12_llPT13_lli ; -- Begin function _ZN12_GLOBAL__N_127rocblas_gemm_batched_kernelIdLi16ELi16ELi32ELi32ELi8ELi32ELi8ELi8ELi32ELc67ELc78EKdS1_dEEvlllT_PT11_llS4_llS2_PT12_llPT13_lli
	.p2align	8
	.type	_ZN12_GLOBAL__N_127rocblas_gemm_batched_kernelIdLi16ELi16ELi32ELi32ELi8ELi32ELi8ELi8ELi32ELc67ELc78EKdS1_dEEvlllT_PT11_llS4_llS2_PT12_llPT13_lli,@function
_ZN12_GLOBAL__N_127rocblas_gemm_batched_kernelIdLi16ELi16ELi32ELi32ELi8ELi32ELi8ELi8ELi32ELc67ELc78EKdS1_dEEvlllT_PT11_llS4_llS2_PT12_llPT13_lli: ; @_ZN12_GLOBAL__N_127rocblas_gemm_batched_kernelIdLi16ELi16ELi32ELi32ELi8ELi32ELi8ELi8ELi32ELc67ELc78EKdS1_dEEvlllT_PT11_llS4_llS2_PT12_llPT13_lli
; %bb.0:
	s_load_dwordx16 s[12:27], s[4:5], 0x10
	s_mov_b32 s0, s7
	s_ashr_i32 s7, s6, 31
	s_ashr_i32 s1, s0, 31
	s_lshl_b64 s[10:11], s[6:7], 5
	s_lshl_b64 s[28:29], s[0:1], 5
	s_waitcnt lgkmcnt(0)
	v_cmp_lt_i64_e64 s2, s[12:13], 1
	s_and_b32 vcc_lo, exec_lo, s2
	s_cbranch_vccnz .LBB74_3
; %bb.1:
	v_lshl_add_u32 v2, v1, 4, v0
	v_and_b32_e32 v3, 7, v0
	s_mul_hi_u32 s1, s26, s8
	v_lshlrev_b32_e32 v14, 3, v0
	v_lshl_add_u32 v17, v1, 6, 0x800
	v_lshrrev_b32_e32 v4, 3, v2
	v_and_b32_e32 v5, 31, v2
	v_lshlrev_b32_e32 v9, 3, v3
	v_lshrrev_b32_e32 v8, 5, v2
	v_add_co_u32 v6, s0, v4, s28
	v_add_co_ci_u32_e64 v7, null, 0, s29, s0
	v_lshlrev_b32_e32 v10, 3, v5
	v_mul_lo_u32 v11, s25, v6
	v_mad_u64_u32 v[2:3], null, s24, v6, 0
	v_mul_lo_u32 v7, s24, v7
	v_add_co_u32 v5, s0, s10, v5
	v_lshl_or_b32 v4, v4, 6, v9
	v_add_co_ci_u32_e64 v6, null, s11, 0, s0
	s_mul_i32 s0, s27, s8
	v_lshl_or_b32 v15, v8, 8, v10
	v_add_nc_u32_e32 v16, 0x800, v4
	v_add3_u32 v3, v3, v7, v11
	v_mul_lo_u32 v7, s19, v5
	v_mul_lo_u32 v6, s18, v6
	v_mad_u64_u32 v[4:5], null, s18, v5, 0
	v_lshlrev_b64 v[2:3], 3, v[2:3]
	s_add_i32 s1, s1, s0
	s_mul_i32 s0, s26, s8
	s_lshl_b64 s[0:1], s[0:1], 3
	v_add3_u32 v5, v5, v6, v7
	v_add_co_u32 v6, vcc_lo, v2, s0
	v_add_co_ci_u32_e64 v7, null, s1, v3, vcc_lo
	s_mul_i32 s0, s21, s8
	s_mul_hi_u32 s1, s20, s8
	v_lshlrev_b64 v[2:3], 3, v[4:5]
	s_add_i32 s1, s1, s0
	s_mul_i32 s0, s20, s8
	v_add_co_u32 v4, vcc_lo, v6, v9
	s_lshl_b64 s[0:1], s[0:1], 3
	v_add_co_ci_u32_e64 v5, null, 0, v7, vcc_lo
	v_add_co_u32 v2, vcc_lo, v2, s0
	v_lshlrev_b32_e32 v6, 3, v8
	v_add_co_ci_u32_e64 v3, null, s1, v3, vcc_lo
	v_add_co_u32 v10, vcc_lo, s22, v4
	v_add_co_ci_u32_e64 v11, null, s23, v5, vcc_lo
	v_add_co_u32 v12, vcc_lo, v2, v6
	v_add_co_ci_u32_e64 v13, null, 0, v3, vcc_lo
	v_mov_b32_e32 v2, 0
	v_add_co_u32 v12, vcc_lo, s16, v12
	v_mov_b32_e32 v4, 0
	v_mov_b32_e32 v6, 0
	;; [unrolled: 1-line block ×7, first 2 shown]
	v_add_co_ci_u32_e64 v13, null, s17, v13, vcc_lo
	s_mov_b64 s[0:1], 0
.LBB74_2:                               ; =>This Inner Loop Header: Depth=1
	global_load_dwordx2 v[18:19], v[12:13], off
	global_load_dwordx2 v[20:21], v[10:11], off
	s_add_u32 s0, s0, 8
	s_addc_u32 s1, s1, 0
	v_add_co_u32 v10, vcc_lo, v10, 64
	v_cmp_lt_i64_e64 s2, s[0:1], s[12:13]
	v_add_co_ci_u32_e64 v11, null, 0, v11, vcc_lo
	v_add_co_u32 v12, vcc_lo, v12, 64
	v_add_co_ci_u32_e64 v13, null, 0, v13, vcc_lo
	s_and_b32 vcc_lo, exec_lo, s2
	s_waitcnt vmcnt(1)
	ds_write_b64 v15, v[18:19]
	s_waitcnt vmcnt(0)
	ds_write_b64 v16, v[20:21]
	s_waitcnt lgkmcnt(0)
	s_barrier
	buffer_gl0_inv
	ds_read_b128 v[18:21], v17
	ds_read2_b64 v[22:25], v14 offset1:16
	ds_read_b128 v[26:29], v17 offset:1024
	ds_read_b128 v[30:33], v17 offset:16
	;; [unrolled: 1-line block ×3, first 2 shown]
	s_waitcnt lgkmcnt(3)
	v_fma_f64 v[8:9], v[22:23], v[18:19], v[8:9]
	v_fma_f64 v[6:7], v[24:25], v[18:19], v[6:7]
	s_waitcnt lgkmcnt(2)
	v_fma_f64 v[18:19], v[22:23], v[26:27], v[4:5]
	v_fma_f64 v[22:23], v[24:25], v[26:27], v[2:3]
	ds_read2_b64 v[2:5], v14 offset0:32 offset1:48
	s_waitcnt lgkmcnt(0)
	v_fma_f64 v[8:9], v[2:3], v[20:21], v[8:9]
	v_fma_f64 v[6:7], v[4:5], v[20:21], v[6:7]
	v_fma_f64 v[18:19], v[2:3], v[28:29], v[18:19]
	v_fma_f64 v[20:21], v[4:5], v[28:29], v[22:23]
	ds_read2_b64 v[2:5], v14 offset0:64 offset1:80
	s_waitcnt lgkmcnt(0)
	v_fma_f64 v[22:23], v[2:3], v[30:31], v[8:9]
	v_fma_f64 v[24:25], v[4:5], v[30:31], v[6:7]
	;; [unrolled: 1-line block ×4, first 2 shown]
	ds_read2_b64 v[2:5], v14 offset0:96 offset1:112
	ds_read_b128 v[6:9], v17 offset:32
	ds_read2_b64 v[18:21], v14 offset0:128 offset1:144
	s_waitcnt lgkmcnt(2)
	v_fma_f64 v[30:31], v[2:3], v[32:33], v[22:23]
	v_fma_f64 v[32:33], v[4:5], v[32:33], v[24:25]
	;; [unrolled: 1-line block ×4, first 2 shown]
	ds_read_b128 v[2:5], v17 offset:1056
	ds_read_b128 v[22:25], v17 offset:48
	;; [unrolled: 1-line block ×3, first 2 shown]
	s_waitcnt lgkmcnt(3)
	v_fma_f64 v[30:31], v[18:19], v[6:7], v[30:31]
	v_fma_f64 v[6:7], v[20:21], v[6:7], v[32:33]
	s_waitcnt lgkmcnt(2)
	v_fma_f64 v[32:33], v[18:19], v[2:3], v[34:35]
	v_fma_f64 v[2:3], v[20:21], v[2:3], v[36:37]
	ds_read2_b64 v[18:21], v14 offset0:160 offset1:176
	s_waitcnt lgkmcnt(0)
	v_fma_f64 v[30:31], v[18:19], v[8:9], v[30:31]
	v_fma_f64 v[6:7], v[20:21], v[8:9], v[6:7]
	;; [unrolled: 1-line block ×4, first 2 shown]
	ds_read2_b64 v[2:5], v14 offset0:192 offset1:208
	s_waitcnt lgkmcnt(0)
	v_fma_f64 v[30:31], v[2:3], v[22:23], v[30:31]
	v_fma_f64 v[6:7], v[4:5], v[22:23], v[6:7]
	;; [unrolled: 1-line block ×4, first 2 shown]
	ds_read2_b64 v[18:21], v14 offset0:224 offset1:240
	s_waitcnt lgkmcnt(0)
	s_barrier
	buffer_gl0_inv
	v_fma_f64 v[8:9], v[18:19], v[24:25], v[30:31]
	v_fma_f64 v[6:7], v[20:21], v[24:25], v[6:7]
	;; [unrolled: 1-line block ×4, first 2 shown]
	s_cbranch_vccnz .LBB74_2
	s_branch .LBB74_4
.LBB74_3:
	v_mov_b32_e32 v8, 0
	v_mov_b32_e32 v6, 0
	v_mov_b32_e32 v4, 0
	v_mov_b32_e32 v2, 0
	v_mov_b32_e32 v9, 0
	v_mov_b32_e32 v7, 0
	v_mov_b32_e32 v5, 0
	v_mov_b32_e32 v3, 0
.LBB74_4:
	s_clause 0x1
	s_load_dwordx8 s[16:23], s[4:5], 0x50
	s_load_dwordx8 s[0:7], s[4:5], 0x70
	s_waitcnt lgkmcnt(0)
	v_cmp_neq_f64_e64 s6, s[16:17], 0
	s_mul_i32 s5, s5, s8
	s_mul_hi_u32 s7, s4, s8
	s_mul_i32 s4, s4, s8
	s_add_i32 s5, s7, s5
	v_add_co_u32 v10, s7, s28, v1
	v_add_co_ci_u32_e64 v13, null, s29, 0, s7
	v_add_co_u32 v0, s7, s10, v0
	v_add_co_ci_u32_e64 v1, null, s11, 0, s7
	v_mul_lo_u32 v11, v13, s2
	v_mul_lo_u32 v12, v10, s3
	s_lshl_b64 s[4:5], s[4:5], 3
	v_lshlrev_b64 v[0:1], 3, v[0:1]
	s_add_u32 s0, s0, s4
	s_addc_u32 s1, s1, s5
	s_and_b32 vcc_lo, exec_lo, s6
	s_cbranch_vccnz .LBB74_8
; %bb.5:
	v_mad_u64_u32 v[14:15], null, v10, s2, 0
	v_mul_f64 v[16:17], s[14:15], v[8:9]
	v_mul_f64 v[18:19], s[14:15], v[6:7]
	;; [unrolled: 1-line block ×4, first 2 shown]
	s_lshl_b64 s[4:5], s[2:3], 7
	v_add3_u32 v15, v15, v12, v11
	v_lshlrev_b64 v[14:15], 3, v[14:15]
	v_add_co_u32 v14, vcc_lo, s0, v14
	v_add_co_ci_u32_e64 v15, null, s1, v15, vcc_lo
	v_add_co_u32 v24, vcc_lo, v14, s4
	v_add_co_ci_u32_e64 v25, null, s5, v15, vcc_lo
	;; [unrolled: 2-line block ×4, first 2 shown]
	global_store_dwordx2 v[14:15], v[16:17], off
	global_store_dwordx2 v[14:15], v[18:19], off offset:128
	global_store_dwordx2 v[24:25], v[20:21], off
	global_store_dwordx2 v[24:25], v[22:23], off offset:128
	s_cbranch_execnz .LBB74_7
.LBB74_6:
	v_mul_lo_u32 v15, v13, s20
	v_mul_lo_u32 v16, v10, s21
	v_mad_u64_u32 v[13:14], null, v10, s20, 0
	s_mul_i32 s5, s23, s8
	s_mul_hi_u32 s6, s22, s8
	s_mul_i32 s4, s22, s8
	s_add_i32 s5, s6, s5
	v_mad_u64_u32 v[17:18], null, v10, s2, 0
	v_add3_u32 v14, v14, v16, v15
	s_lshl_b64 s[4:5], s[4:5], 3
	s_add_u32 s4, s18, s4
	s_addc_u32 s5, s19, s5
	v_lshlrev_b64 v[13:14], 3, v[13:14]
	v_add3_u32 v18, v18, v12, v11
	v_lshlrev_b64 v[10:11], 3, v[17:18]
	v_add_co_u32 v19, vcc_lo, s4, v13
	v_add_co_ci_u32_e64 v20, null, s5, v14, vcc_lo
	v_add_co_u32 v13, vcc_lo, v19, v0
	v_add_co_ci_u32_e64 v14, null, v20, v1, vcc_lo
	v_add_co_u32 v12, vcc_lo, s0, v10
	global_load_dwordx2 v[15:16], v[13:14], off
	s_waitcnt vmcnt(0)
	v_mul_f64 v[15:16], s[16:17], v[15:16]
	v_fma_f64 v[8:9], s[14:15], v[8:9], v[15:16]
	v_add_co_ci_u32_e64 v15, null, s1, v11, vcc_lo
	v_add_co_u32 v10, vcc_lo, v12, v0
	s_lshl_b64 s[0:1], s[20:21], 7
	v_add_co_ci_u32_e64 v11, null, v15, v1, vcc_lo
	global_store_dwordx2 v[10:11], v[8:9], off
	global_load_dwordx2 v[8:9], v[13:14], off offset:128
	s_waitcnt vmcnt(0)
	v_mul_f64 v[8:9], s[16:17], v[8:9]
	v_fma_f64 v[6:7], s[14:15], v[6:7], v[8:9]
	v_add_co_u32 v8, vcc_lo, v19, s0
	v_add_co_ci_u32_e64 v9, null, s1, v20, vcc_lo
	s_lshl_b64 s[0:1], s[2:3], 7
	v_add_co_u32 v8, vcc_lo, v8, v0
	v_add_co_ci_u32_e64 v9, null, v9, v1, vcc_lo
	global_store_dwordx2 v[10:11], v[6:7], off offset:128
	global_load_dwordx2 v[6:7], v[8:9], off
	s_waitcnt vmcnt(0)
	v_mul_f64 v[6:7], s[16:17], v[6:7]
	v_fma_f64 v[4:5], s[14:15], v[4:5], v[6:7]
	v_add_co_u32 v6, vcc_lo, v12, s0
	v_add_co_ci_u32_e64 v7, null, s1, v15, vcc_lo
	v_add_co_u32 v0, vcc_lo, v6, v0
	v_add_co_ci_u32_e64 v1, null, v7, v1, vcc_lo
	global_store_dwordx2 v[0:1], v[4:5], off
	global_load_dwordx2 v[4:5], v[8:9], off offset:128
	s_waitcnt vmcnt(0)
	v_mul_f64 v[4:5], s[16:17], v[4:5]
	v_fma_f64 v[2:3], s[14:15], v[2:3], v[4:5]
	global_store_dwordx2 v[0:1], v[2:3], off offset:128
.LBB74_7:
	s_endpgm
.LBB74_8:
	s_branch .LBB74_6
	.section	.rodata,"a",@progbits
	.p2align	6, 0x0
	.amdhsa_kernel _ZN12_GLOBAL__N_127rocblas_gemm_batched_kernelIdLi16ELi16ELi32ELi32ELi8ELi32ELi8ELi8ELi32ELc67ELc78EKdS1_dEEvlllT_PT11_llS4_llS2_PT12_llPT13_lli
		.amdhsa_group_segment_fixed_size 4096
		.amdhsa_private_segment_fixed_size 0
		.amdhsa_kernarg_size 140
		.amdhsa_user_sgpr_count 6
		.amdhsa_user_sgpr_private_segment_buffer 1
		.amdhsa_user_sgpr_dispatch_ptr 0
		.amdhsa_user_sgpr_queue_ptr 0
		.amdhsa_user_sgpr_kernarg_segment_ptr 1
		.amdhsa_user_sgpr_dispatch_id 0
		.amdhsa_user_sgpr_flat_scratch_init 0
		.amdhsa_user_sgpr_private_segment_size 0
		.amdhsa_wavefront_size32 1
		.amdhsa_uses_dynamic_stack 0
		.amdhsa_system_sgpr_private_segment_wavefront_offset 0
		.amdhsa_system_sgpr_workgroup_id_x 1
		.amdhsa_system_sgpr_workgroup_id_y 1
		.amdhsa_system_sgpr_workgroup_id_z 1
		.amdhsa_system_sgpr_workgroup_info 0
		.amdhsa_system_vgpr_workitem_id 1
		.amdhsa_next_free_vgpr 38
		.amdhsa_next_free_sgpr 30
		.amdhsa_reserve_vcc 1
		.amdhsa_reserve_flat_scratch 0
		.amdhsa_float_round_mode_32 0
		.amdhsa_float_round_mode_16_64 0
		.amdhsa_float_denorm_mode_32 3
		.amdhsa_float_denorm_mode_16_64 3
		.amdhsa_dx10_clamp 1
		.amdhsa_ieee_mode 1
		.amdhsa_fp16_overflow 0
		.amdhsa_workgroup_processor_mode 1
		.amdhsa_memory_ordered 1
		.amdhsa_forward_progress 1
		.amdhsa_shared_vgpr_count 0
		.amdhsa_exception_fp_ieee_invalid_op 0
		.amdhsa_exception_fp_denorm_src 0
		.amdhsa_exception_fp_ieee_div_zero 0
		.amdhsa_exception_fp_ieee_overflow 0
		.amdhsa_exception_fp_ieee_underflow 0
		.amdhsa_exception_fp_ieee_inexact 0
		.amdhsa_exception_int_div_zero 0
	.end_amdhsa_kernel
	.section	.text._ZN12_GLOBAL__N_127rocblas_gemm_batched_kernelIdLi16ELi16ELi32ELi32ELi8ELi32ELi8ELi8ELi32ELc67ELc78EKdS1_dEEvlllT_PT11_llS4_llS2_PT12_llPT13_lli,"axG",@progbits,_ZN12_GLOBAL__N_127rocblas_gemm_batched_kernelIdLi16ELi16ELi32ELi32ELi8ELi32ELi8ELi8ELi32ELc67ELc78EKdS1_dEEvlllT_PT11_llS4_llS2_PT12_llPT13_lli,comdat
.Lfunc_end74:
	.size	_ZN12_GLOBAL__N_127rocblas_gemm_batched_kernelIdLi16ELi16ELi32ELi32ELi8ELi32ELi8ELi8ELi32ELc67ELc78EKdS1_dEEvlllT_PT11_llS4_llS2_PT12_llPT13_lli, .Lfunc_end74-_ZN12_GLOBAL__N_127rocblas_gemm_batched_kernelIdLi16ELi16ELi32ELi32ELi8ELi32ELi8ELi8ELi32ELc67ELc78EKdS1_dEEvlllT_PT11_llS4_llS2_PT12_llPT13_lli
                                        ; -- End function
	.set _ZN12_GLOBAL__N_127rocblas_gemm_batched_kernelIdLi16ELi16ELi32ELi32ELi8ELi32ELi8ELi8ELi32ELc67ELc78EKdS1_dEEvlllT_PT11_llS4_llS2_PT12_llPT13_lli.num_vgpr, 38
	.set _ZN12_GLOBAL__N_127rocblas_gemm_batched_kernelIdLi16ELi16ELi32ELi32ELi8ELi32ELi8ELi8ELi32ELc67ELc78EKdS1_dEEvlllT_PT11_llS4_llS2_PT12_llPT13_lli.num_agpr, 0
	.set _ZN12_GLOBAL__N_127rocblas_gemm_batched_kernelIdLi16ELi16ELi32ELi32ELi8ELi32ELi8ELi8ELi32ELc67ELc78EKdS1_dEEvlllT_PT11_llS4_llS2_PT12_llPT13_lli.numbered_sgpr, 30
	.set _ZN12_GLOBAL__N_127rocblas_gemm_batched_kernelIdLi16ELi16ELi32ELi32ELi8ELi32ELi8ELi8ELi32ELc67ELc78EKdS1_dEEvlllT_PT11_llS4_llS2_PT12_llPT13_lli.num_named_barrier, 0
	.set _ZN12_GLOBAL__N_127rocblas_gemm_batched_kernelIdLi16ELi16ELi32ELi32ELi8ELi32ELi8ELi8ELi32ELc67ELc78EKdS1_dEEvlllT_PT11_llS4_llS2_PT12_llPT13_lli.private_seg_size, 0
	.set _ZN12_GLOBAL__N_127rocblas_gemm_batched_kernelIdLi16ELi16ELi32ELi32ELi8ELi32ELi8ELi8ELi32ELc67ELc78EKdS1_dEEvlllT_PT11_llS4_llS2_PT12_llPT13_lli.uses_vcc, 1
	.set _ZN12_GLOBAL__N_127rocblas_gemm_batched_kernelIdLi16ELi16ELi32ELi32ELi8ELi32ELi8ELi8ELi32ELc67ELc78EKdS1_dEEvlllT_PT11_llS4_llS2_PT12_llPT13_lli.uses_flat_scratch, 0
	.set _ZN12_GLOBAL__N_127rocblas_gemm_batched_kernelIdLi16ELi16ELi32ELi32ELi8ELi32ELi8ELi8ELi32ELc67ELc78EKdS1_dEEvlllT_PT11_llS4_llS2_PT12_llPT13_lli.has_dyn_sized_stack, 0
	.set _ZN12_GLOBAL__N_127rocblas_gemm_batched_kernelIdLi16ELi16ELi32ELi32ELi8ELi32ELi8ELi8ELi32ELc67ELc78EKdS1_dEEvlllT_PT11_llS4_llS2_PT12_llPT13_lli.has_recursion, 0
	.set _ZN12_GLOBAL__N_127rocblas_gemm_batched_kernelIdLi16ELi16ELi32ELi32ELi8ELi32ELi8ELi8ELi32ELc67ELc78EKdS1_dEEvlllT_PT11_llS4_llS2_PT12_llPT13_lli.has_indirect_call, 0
	.section	.AMDGPU.csdata,"",@progbits
; Kernel info:
; codeLenInByte = 1656
; TotalNumSgprs: 32
; NumVgprs: 38
; ScratchSize: 0
; MemoryBound: 0
; FloatMode: 240
; IeeeMode: 1
; LDSByteSize: 4096 bytes/workgroup (compile time only)
; SGPRBlocks: 0
; VGPRBlocks: 4
; NumSGPRsForWavesPerEU: 32
; NumVGPRsForWavesPerEU: 38
; Occupancy: 16
; WaveLimiterHint : 1
; COMPUTE_PGM_RSRC2:SCRATCH_EN: 0
; COMPUTE_PGM_RSRC2:USER_SGPR: 6
; COMPUTE_PGM_RSRC2:TRAP_HANDLER: 0
; COMPUTE_PGM_RSRC2:TGID_X_EN: 1
; COMPUTE_PGM_RSRC2:TGID_Y_EN: 1
; COMPUTE_PGM_RSRC2:TGID_Z_EN: 1
; COMPUTE_PGM_RSRC2:TIDIG_COMP_CNT: 1
	.section	.text._ZN12_GLOBAL__N_127rocblas_gemm_batched_kernelIdLi16ELi16ELi32ELi32ELi8ELi32ELi8ELi8ELi32ELc67ELc84EKdS1_dEEvlllT_PT11_llS4_llS2_PT12_llPT13_lli,"axG",@progbits,_ZN12_GLOBAL__N_127rocblas_gemm_batched_kernelIdLi16ELi16ELi32ELi32ELi8ELi32ELi8ELi8ELi32ELc67ELc84EKdS1_dEEvlllT_PT11_llS4_llS2_PT12_llPT13_lli,comdat
	.globl	_ZN12_GLOBAL__N_127rocblas_gemm_batched_kernelIdLi16ELi16ELi32ELi32ELi8ELi32ELi8ELi8ELi32ELc67ELc84EKdS1_dEEvlllT_PT11_llS4_llS2_PT12_llPT13_lli ; -- Begin function _ZN12_GLOBAL__N_127rocblas_gemm_batched_kernelIdLi16ELi16ELi32ELi32ELi8ELi32ELi8ELi8ELi32ELc67ELc84EKdS1_dEEvlllT_PT11_llS4_llS2_PT12_llPT13_lli
	.p2align	8
	.type	_ZN12_GLOBAL__N_127rocblas_gemm_batched_kernelIdLi16ELi16ELi32ELi32ELi8ELi32ELi8ELi8ELi32ELc67ELc84EKdS1_dEEvlllT_PT11_llS4_llS2_PT12_llPT13_lli,@function
_ZN12_GLOBAL__N_127rocblas_gemm_batched_kernelIdLi16ELi16ELi32ELi32ELi8ELi32ELi8ELi8ELi32ELc67ELc84EKdS1_dEEvlllT_PT11_llS4_llS2_PT12_llPT13_lli: ; @_ZN12_GLOBAL__N_127rocblas_gemm_batched_kernelIdLi16ELi16ELi32ELi32ELi8ELi32ELi8ELi8ELi32ELc67ELc84EKdS1_dEEvlllT_PT11_llS4_llS2_PT12_llPT13_lli
; %bb.0:
	s_load_dwordx16 s[12:27], s[4:5], 0x10
	s_mov_b32 s0, s7
	v_mov_b32_e32 v3, 0
	s_ashr_i32 s7, s6, 31
	s_ashr_i32 s1, s0, 31
	s_lshl_b64 s[10:11], s[6:7], 5
	s_lshl_b64 s[28:29], s[0:1], 5
	s_waitcnt lgkmcnt(0)
	v_cmp_lt_i64_e64 s2, s[12:13], 1
	s_and_b32 vcc_lo, exec_lo, s2
	s_cbranch_vccnz .LBB75_3
; %bb.1:
	v_lshl_add_u32 v5, v1, 4, v0
	v_and_b32_e32 v6, 7, v0
	s_mul_i32 s0, s27, s8
	s_mul_hi_u32 s1, s26, s8
	v_lshlrev_b32_e32 v14, 3, v0
	v_lshrrev_b32_e32 v2, 3, v5
	v_and_b32_e32 v7, 31, v5
	v_lshlrev_b32_e32 v8, 3, v6
	s_add_i32 s1, s1, s0
	v_lshrrev_b32_e32 v9, 5, v5
	v_mad_u64_u32 v[3:4], null, s24, v6, v[2:3]
	v_lshlrev_b32_e32 v5, 3, v7
	v_add_co_u32 v7, s0, s10, v7
	v_lshl_or_b32 v8, v2, 6, v8
	v_add_co_ci_u32_e64 v10, null, s11, 0, s0
	v_mov_b32_e32 v2, v4
	v_lshl_or_b32 v15, v9, 8, v5
	v_add_nc_u32_e32 v16, 0x800, v8
	v_mul_lo_u32 v8, s19, v7
	v_mul_lo_u32 v10, s18, v10
	v_mad_u64_u32 v[4:5], null, s25, v6, v[2:3]
	v_mad_u64_u32 v[5:6], null, s18, v7, 0
	s_mul_i32 s0, s26, s8
	v_add_co_u32 v2, vcc_lo, v3, s28
	s_lshl_b64 s[0:1], s[0:1], 3
	v_add_co_ci_u32_e64 v3, null, s29, v4, vcc_lo
	v_add3_u32 v6, v6, v10, v8
	s_add_u32 s2, s22, s0
	s_addc_u32 s3, s23, s1
	s_mul_i32 s0, s21, s8
	s_mul_hi_u32 s1, s20, s8
	v_lshlrev_b64 v[4:5], 3, v[5:6]
	s_add_i32 s1, s1, s0
	s_mul_i32 s0, s20, s8
	v_lshlrev_b64 v[2:3], 3, v[2:3]
	s_lshl_b64 s[0:1], s[0:1], 3
	v_lshlrev_b32_e32 v6, 3, v9
	v_add_co_u32 v4, vcc_lo, v4, s0
	v_add_co_ci_u32_e64 v5, null, s1, v5, vcc_lo
	v_add_co_u32 v10, vcc_lo, s2, v2
	v_add_co_ci_u32_e64 v11, null, s3, v3, vcc_lo
	;; [unrolled: 2-line block ×3, first 2 shown]
	v_mov_b32_e32 v2, 0
	v_add_co_u32 v12, vcc_lo, s16, v12
	v_mov_b32_e32 v4, 0
	v_mov_b32_e32 v6, 0
	;; [unrolled: 1-line block ×3, first 2 shown]
	v_lshl_add_u32 v17, v1, 6, 0x800
	v_mov_b32_e32 v3, 0
	v_mov_b32_e32 v5, 0
	;; [unrolled: 1-line block ×4, first 2 shown]
	v_add_co_ci_u32_e64 v13, null, s17, v13, vcc_lo
	s_lshl_b64 s[0:1], s[24:25], 6
	s_mov_b64 s[2:3], 0
.LBB75_2:                               ; =>This Inner Loop Header: Depth=1
	global_load_dwordx2 v[18:19], v[12:13], off
	global_load_dwordx2 v[20:21], v[10:11], off
	s_add_u32 s2, s2, 8
	s_addc_u32 s3, s3, 0
	v_add_co_u32 v10, vcc_lo, v10, s0
	v_cmp_lt_i64_e64 s6, s[2:3], s[12:13]
	v_add_co_ci_u32_e64 v11, null, s1, v11, vcc_lo
	v_add_co_u32 v12, vcc_lo, v12, 64
	v_add_co_ci_u32_e64 v13, null, 0, v13, vcc_lo
	s_and_b32 vcc_lo, exec_lo, s6
	s_waitcnt vmcnt(1)
	ds_write_b64 v15, v[18:19]
	s_waitcnt vmcnt(0)
	ds_write_b64 v16, v[20:21]
	s_waitcnt lgkmcnt(0)
	s_barrier
	buffer_gl0_inv
	ds_read_b128 v[18:21], v17
	ds_read2_b64 v[22:25], v14 offset1:16
	ds_read_b128 v[26:29], v17 offset:1024
	ds_read_b128 v[30:33], v17 offset:16
	;; [unrolled: 1-line block ×3, first 2 shown]
	s_waitcnt lgkmcnt(3)
	v_fma_f64 v[8:9], v[22:23], v[18:19], v[8:9]
	v_fma_f64 v[6:7], v[24:25], v[18:19], v[6:7]
	s_waitcnt lgkmcnt(2)
	v_fma_f64 v[18:19], v[22:23], v[26:27], v[4:5]
	v_fma_f64 v[22:23], v[24:25], v[26:27], v[2:3]
	ds_read2_b64 v[2:5], v14 offset0:32 offset1:48
	s_waitcnt lgkmcnt(0)
	v_fma_f64 v[8:9], v[2:3], v[20:21], v[8:9]
	v_fma_f64 v[6:7], v[4:5], v[20:21], v[6:7]
	;; [unrolled: 1-line block ×4, first 2 shown]
	ds_read2_b64 v[2:5], v14 offset0:64 offset1:80
	s_waitcnt lgkmcnt(0)
	v_fma_f64 v[22:23], v[2:3], v[30:31], v[8:9]
	v_fma_f64 v[24:25], v[4:5], v[30:31], v[6:7]
	;; [unrolled: 1-line block ×4, first 2 shown]
	ds_read2_b64 v[2:5], v14 offset0:96 offset1:112
	ds_read_b128 v[6:9], v17 offset:32
	ds_read2_b64 v[18:21], v14 offset0:128 offset1:144
	s_waitcnt lgkmcnt(2)
	v_fma_f64 v[30:31], v[2:3], v[32:33], v[22:23]
	v_fma_f64 v[32:33], v[4:5], v[32:33], v[24:25]
	;; [unrolled: 1-line block ×4, first 2 shown]
	ds_read_b128 v[2:5], v17 offset:1056
	ds_read_b128 v[22:25], v17 offset:48
	;; [unrolled: 1-line block ×3, first 2 shown]
	s_waitcnt lgkmcnt(3)
	v_fma_f64 v[30:31], v[18:19], v[6:7], v[30:31]
	v_fma_f64 v[6:7], v[20:21], v[6:7], v[32:33]
	s_waitcnt lgkmcnt(2)
	v_fma_f64 v[32:33], v[18:19], v[2:3], v[34:35]
	v_fma_f64 v[2:3], v[20:21], v[2:3], v[36:37]
	ds_read2_b64 v[18:21], v14 offset0:160 offset1:176
	s_waitcnt lgkmcnt(0)
	v_fma_f64 v[30:31], v[18:19], v[8:9], v[30:31]
	v_fma_f64 v[6:7], v[20:21], v[8:9], v[6:7]
	;; [unrolled: 1-line block ×4, first 2 shown]
	ds_read2_b64 v[2:5], v14 offset0:192 offset1:208
	s_waitcnt lgkmcnt(0)
	v_fma_f64 v[30:31], v[2:3], v[22:23], v[30:31]
	v_fma_f64 v[6:7], v[4:5], v[22:23], v[6:7]
	;; [unrolled: 1-line block ×4, first 2 shown]
	ds_read2_b64 v[18:21], v14 offset0:224 offset1:240
	s_waitcnt lgkmcnt(0)
	s_barrier
	buffer_gl0_inv
	v_fma_f64 v[8:9], v[18:19], v[24:25], v[30:31]
	v_fma_f64 v[6:7], v[20:21], v[24:25], v[6:7]
	;; [unrolled: 1-line block ×4, first 2 shown]
	s_cbranch_vccnz .LBB75_2
	s_branch .LBB75_4
.LBB75_3:
	v_mov_b32_e32 v8, 0
	v_mov_b32_e32 v6, 0
	;; [unrolled: 1-line block ×8, first 2 shown]
.LBB75_4:
	s_clause 0x1
	s_load_dwordx8 s[16:23], s[4:5], 0x50
	s_load_dwordx8 s[0:7], s[4:5], 0x70
	s_waitcnt lgkmcnt(0)
	v_cmp_neq_f64_e64 s6, s[16:17], 0
	s_mul_i32 s5, s5, s8
	s_mul_hi_u32 s7, s4, s8
	s_mul_i32 s4, s4, s8
	s_add_i32 s5, s7, s5
	v_add_co_u32 v10, s7, s28, v1
	v_add_co_ci_u32_e64 v13, null, s29, 0, s7
	v_add_co_u32 v0, s7, s10, v0
	v_add_co_ci_u32_e64 v1, null, s11, 0, s7
	v_mul_lo_u32 v11, v13, s2
	v_mul_lo_u32 v12, v10, s3
	s_lshl_b64 s[4:5], s[4:5], 3
	v_lshlrev_b64 v[0:1], 3, v[0:1]
	s_add_u32 s0, s0, s4
	s_addc_u32 s1, s1, s5
	s_and_b32 vcc_lo, exec_lo, s6
	s_cbranch_vccnz .LBB75_8
; %bb.5:
	v_mad_u64_u32 v[14:15], null, v10, s2, 0
	v_mul_f64 v[16:17], s[14:15], v[8:9]
	v_mul_f64 v[18:19], s[14:15], v[6:7]
	;; [unrolled: 1-line block ×4, first 2 shown]
	s_lshl_b64 s[4:5], s[2:3], 7
	v_add3_u32 v15, v15, v12, v11
	v_lshlrev_b64 v[14:15], 3, v[14:15]
	v_add_co_u32 v14, vcc_lo, s0, v14
	v_add_co_ci_u32_e64 v15, null, s1, v15, vcc_lo
	v_add_co_u32 v24, vcc_lo, v14, s4
	v_add_co_ci_u32_e64 v25, null, s5, v15, vcc_lo
	;; [unrolled: 2-line block ×4, first 2 shown]
	global_store_dwordx2 v[14:15], v[16:17], off
	global_store_dwordx2 v[14:15], v[18:19], off offset:128
	global_store_dwordx2 v[24:25], v[20:21], off
	global_store_dwordx2 v[24:25], v[22:23], off offset:128
	s_cbranch_execnz .LBB75_7
.LBB75_6:
	v_mul_lo_u32 v15, v13, s20
	v_mul_lo_u32 v16, v10, s21
	v_mad_u64_u32 v[13:14], null, v10, s20, 0
	s_mul_i32 s5, s23, s8
	s_mul_hi_u32 s6, s22, s8
	s_mul_i32 s4, s22, s8
	s_add_i32 s5, s6, s5
	v_mad_u64_u32 v[17:18], null, v10, s2, 0
	v_add3_u32 v14, v14, v16, v15
	s_lshl_b64 s[4:5], s[4:5], 3
	s_add_u32 s4, s18, s4
	s_addc_u32 s5, s19, s5
	v_lshlrev_b64 v[13:14], 3, v[13:14]
	v_add3_u32 v18, v18, v12, v11
	v_lshlrev_b64 v[10:11], 3, v[17:18]
	v_add_co_u32 v19, vcc_lo, s4, v13
	v_add_co_ci_u32_e64 v20, null, s5, v14, vcc_lo
	v_add_co_u32 v13, vcc_lo, v19, v0
	v_add_co_ci_u32_e64 v14, null, v20, v1, vcc_lo
	v_add_co_u32 v12, vcc_lo, s0, v10
	global_load_dwordx2 v[15:16], v[13:14], off
	s_waitcnt vmcnt(0)
	v_mul_f64 v[15:16], s[16:17], v[15:16]
	v_fma_f64 v[8:9], s[14:15], v[8:9], v[15:16]
	v_add_co_ci_u32_e64 v15, null, s1, v11, vcc_lo
	v_add_co_u32 v10, vcc_lo, v12, v0
	s_lshl_b64 s[0:1], s[20:21], 7
	v_add_co_ci_u32_e64 v11, null, v15, v1, vcc_lo
	global_store_dwordx2 v[10:11], v[8:9], off
	global_load_dwordx2 v[8:9], v[13:14], off offset:128
	s_waitcnt vmcnt(0)
	v_mul_f64 v[8:9], s[16:17], v[8:9]
	v_fma_f64 v[6:7], s[14:15], v[6:7], v[8:9]
	v_add_co_u32 v8, vcc_lo, v19, s0
	v_add_co_ci_u32_e64 v9, null, s1, v20, vcc_lo
	s_lshl_b64 s[0:1], s[2:3], 7
	v_add_co_u32 v8, vcc_lo, v8, v0
	v_add_co_ci_u32_e64 v9, null, v9, v1, vcc_lo
	global_store_dwordx2 v[10:11], v[6:7], off offset:128
	global_load_dwordx2 v[6:7], v[8:9], off
	s_waitcnt vmcnt(0)
	v_mul_f64 v[6:7], s[16:17], v[6:7]
	v_fma_f64 v[4:5], s[14:15], v[4:5], v[6:7]
	v_add_co_u32 v6, vcc_lo, v12, s0
	v_add_co_ci_u32_e64 v7, null, s1, v15, vcc_lo
	v_add_co_u32 v0, vcc_lo, v6, v0
	v_add_co_ci_u32_e64 v1, null, v7, v1, vcc_lo
	global_store_dwordx2 v[0:1], v[4:5], off
	global_load_dwordx2 v[4:5], v[8:9], off offset:128
	s_waitcnt vmcnt(0)
	v_mul_f64 v[4:5], s[16:17], v[4:5]
	v_fma_f64 v[2:3], s[14:15], v[2:3], v[4:5]
	global_store_dwordx2 v[0:1], v[2:3], off offset:128
.LBB75_7:
	s_endpgm
.LBB75_8:
	s_branch .LBB75_6
	.section	.rodata,"a",@progbits
	.p2align	6, 0x0
	.amdhsa_kernel _ZN12_GLOBAL__N_127rocblas_gemm_batched_kernelIdLi16ELi16ELi32ELi32ELi8ELi32ELi8ELi8ELi32ELc67ELc84EKdS1_dEEvlllT_PT11_llS4_llS2_PT12_llPT13_lli
		.amdhsa_group_segment_fixed_size 4096
		.amdhsa_private_segment_fixed_size 0
		.amdhsa_kernarg_size 140
		.amdhsa_user_sgpr_count 6
		.amdhsa_user_sgpr_private_segment_buffer 1
		.amdhsa_user_sgpr_dispatch_ptr 0
		.amdhsa_user_sgpr_queue_ptr 0
		.amdhsa_user_sgpr_kernarg_segment_ptr 1
		.amdhsa_user_sgpr_dispatch_id 0
		.amdhsa_user_sgpr_flat_scratch_init 0
		.amdhsa_user_sgpr_private_segment_size 0
		.amdhsa_wavefront_size32 1
		.amdhsa_uses_dynamic_stack 0
		.amdhsa_system_sgpr_private_segment_wavefront_offset 0
		.amdhsa_system_sgpr_workgroup_id_x 1
		.amdhsa_system_sgpr_workgroup_id_y 1
		.amdhsa_system_sgpr_workgroup_id_z 1
		.amdhsa_system_sgpr_workgroup_info 0
		.amdhsa_system_vgpr_workitem_id 1
		.amdhsa_next_free_vgpr 38
		.amdhsa_next_free_sgpr 30
		.amdhsa_reserve_vcc 1
		.amdhsa_reserve_flat_scratch 0
		.amdhsa_float_round_mode_32 0
		.amdhsa_float_round_mode_16_64 0
		.amdhsa_float_denorm_mode_32 3
		.amdhsa_float_denorm_mode_16_64 3
		.amdhsa_dx10_clamp 1
		.amdhsa_ieee_mode 1
		.amdhsa_fp16_overflow 0
		.amdhsa_workgroup_processor_mode 1
		.amdhsa_memory_ordered 1
		.amdhsa_forward_progress 1
		.amdhsa_shared_vgpr_count 0
		.amdhsa_exception_fp_ieee_invalid_op 0
		.amdhsa_exception_fp_denorm_src 0
		.amdhsa_exception_fp_ieee_div_zero 0
		.amdhsa_exception_fp_ieee_overflow 0
		.amdhsa_exception_fp_ieee_underflow 0
		.amdhsa_exception_fp_ieee_inexact 0
		.amdhsa_exception_int_div_zero 0
	.end_amdhsa_kernel
	.section	.text._ZN12_GLOBAL__N_127rocblas_gemm_batched_kernelIdLi16ELi16ELi32ELi32ELi8ELi32ELi8ELi8ELi32ELc67ELc84EKdS1_dEEvlllT_PT11_llS4_llS2_PT12_llPT13_lli,"axG",@progbits,_ZN12_GLOBAL__N_127rocblas_gemm_batched_kernelIdLi16ELi16ELi32ELi32ELi8ELi32ELi8ELi8ELi32ELc67ELc84EKdS1_dEEvlllT_PT11_llS4_llS2_PT12_llPT13_lli,comdat
.Lfunc_end75:
	.size	_ZN12_GLOBAL__N_127rocblas_gemm_batched_kernelIdLi16ELi16ELi32ELi32ELi8ELi32ELi8ELi8ELi32ELc67ELc84EKdS1_dEEvlllT_PT11_llS4_llS2_PT12_llPT13_lli, .Lfunc_end75-_ZN12_GLOBAL__N_127rocblas_gemm_batched_kernelIdLi16ELi16ELi32ELi32ELi8ELi32ELi8ELi8ELi32ELc67ELc84EKdS1_dEEvlllT_PT11_llS4_llS2_PT12_llPT13_lli
                                        ; -- End function
	.set _ZN12_GLOBAL__N_127rocblas_gemm_batched_kernelIdLi16ELi16ELi32ELi32ELi8ELi32ELi8ELi8ELi32ELc67ELc84EKdS1_dEEvlllT_PT11_llS4_llS2_PT12_llPT13_lli.num_vgpr, 38
	.set _ZN12_GLOBAL__N_127rocblas_gemm_batched_kernelIdLi16ELi16ELi32ELi32ELi8ELi32ELi8ELi8ELi32ELc67ELc84EKdS1_dEEvlllT_PT11_llS4_llS2_PT12_llPT13_lli.num_agpr, 0
	.set _ZN12_GLOBAL__N_127rocblas_gemm_batched_kernelIdLi16ELi16ELi32ELi32ELi8ELi32ELi8ELi8ELi32ELc67ELc84EKdS1_dEEvlllT_PT11_llS4_llS2_PT12_llPT13_lli.numbered_sgpr, 30
	.set _ZN12_GLOBAL__N_127rocblas_gemm_batched_kernelIdLi16ELi16ELi32ELi32ELi8ELi32ELi8ELi8ELi32ELc67ELc84EKdS1_dEEvlllT_PT11_llS4_llS2_PT12_llPT13_lli.num_named_barrier, 0
	.set _ZN12_GLOBAL__N_127rocblas_gemm_batched_kernelIdLi16ELi16ELi32ELi32ELi8ELi32ELi8ELi8ELi32ELc67ELc84EKdS1_dEEvlllT_PT11_llS4_llS2_PT12_llPT13_lli.private_seg_size, 0
	.set _ZN12_GLOBAL__N_127rocblas_gemm_batched_kernelIdLi16ELi16ELi32ELi32ELi8ELi32ELi8ELi8ELi32ELc67ELc84EKdS1_dEEvlllT_PT11_llS4_llS2_PT12_llPT13_lli.uses_vcc, 1
	.set _ZN12_GLOBAL__N_127rocblas_gemm_batched_kernelIdLi16ELi16ELi32ELi32ELi8ELi32ELi8ELi8ELi32ELc67ELc84EKdS1_dEEvlllT_PT11_llS4_llS2_PT12_llPT13_lli.uses_flat_scratch, 0
	.set _ZN12_GLOBAL__N_127rocblas_gemm_batched_kernelIdLi16ELi16ELi32ELi32ELi8ELi32ELi8ELi8ELi32ELc67ELc84EKdS1_dEEvlllT_PT11_llS4_llS2_PT12_llPT13_lli.has_dyn_sized_stack, 0
	.set _ZN12_GLOBAL__N_127rocblas_gemm_batched_kernelIdLi16ELi16ELi32ELi32ELi8ELi32ELi8ELi8ELi32ELc67ELc84EKdS1_dEEvlllT_PT11_llS4_llS2_PT12_llPT13_lli.has_recursion, 0
	.set _ZN12_GLOBAL__N_127rocblas_gemm_batched_kernelIdLi16ELi16ELi32ELi32ELi8ELi32ELi8ELi8ELi32ELc67ELc84EKdS1_dEEvlllT_PT11_llS4_llS2_PT12_llPT13_lli.has_indirect_call, 0
	.section	.AMDGPU.csdata,"",@progbits
; Kernel info:
; codeLenInByte = 1628
; TotalNumSgprs: 32
; NumVgprs: 38
; ScratchSize: 0
; MemoryBound: 0
; FloatMode: 240
; IeeeMode: 1
; LDSByteSize: 4096 bytes/workgroup (compile time only)
; SGPRBlocks: 0
; VGPRBlocks: 4
; NumSGPRsForWavesPerEU: 32
; NumVGPRsForWavesPerEU: 38
; Occupancy: 16
; WaveLimiterHint : 1
; COMPUTE_PGM_RSRC2:SCRATCH_EN: 0
; COMPUTE_PGM_RSRC2:USER_SGPR: 6
; COMPUTE_PGM_RSRC2:TRAP_HANDLER: 0
; COMPUTE_PGM_RSRC2:TGID_X_EN: 1
; COMPUTE_PGM_RSRC2:TGID_Y_EN: 1
; COMPUTE_PGM_RSRC2:TGID_Z_EN: 1
; COMPUTE_PGM_RSRC2:TIDIG_COMP_CNT: 1
	.section	.text._ZN12_GLOBAL__N_127rocblas_gemm_batched_kernelIdLi16ELi16ELi32ELi32ELi8ELi32ELi8ELi8ELi32ELc78ELc67EKdS1_dEEvlllT_PT11_llS4_llS2_PT12_llPT13_lli,"axG",@progbits,_ZN12_GLOBAL__N_127rocblas_gemm_batched_kernelIdLi16ELi16ELi32ELi32ELi8ELi32ELi8ELi8ELi32ELc78ELc67EKdS1_dEEvlllT_PT11_llS4_llS2_PT12_llPT13_lli,comdat
	.globl	_ZN12_GLOBAL__N_127rocblas_gemm_batched_kernelIdLi16ELi16ELi32ELi32ELi8ELi32ELi8ELi8ELi32ELc78ELc67EKdS1_dEEvlllT_PT11_llS4_llS2_PT12_llPT13_lli ; -- Begin function _ZN12_GLOBAL__N_127rocblas_gemm_batched_kernelIdLi16ELi16ELi32ELi32ELi8ELi32ELi8ELi8ELi32ELc78ELc67EKdS1_dEEvlllT_PT11_llS4_llS2_PT12_llPT13_lli
	.p2align	8
	.type	_ZN12_GLOBAL__N_127rocblas_gemm_batched_kernelIdLi16ELi16ELi32ELi32ELi8ELi32ELi8ELi8ELi32ELc78ELc67EKdS1_dEEvlllT_PT11_llS4_llS2_PT12_llPT13_lli,@function
_ZN12_GLOBAL__N_127rocblas_gemm_batched_kernelIdLi16ELi16ELi32ELi32ELi8ELi32ELi8ELi8ELi32ELc78ELc67EKdS1_dEEvlllT_PT11_llS4_llS2_PT12_llPT13_lli: ; @_ZN12_GLOBAL__N_127rocblas_gemm_batched_kernelIdLi16ELi16ELi32ELi32ELi8ELi32ELi8ELi8ELi32ELc78ELc67EKdS1_dEEvlllT_PT11_llS4_llS2_PT12_llPT13_lli
; %bb.0:
	s_load_dwordx16 s[12:27], s[4:5], 0x10
	s_mov_b32 s0, s7
	v_mov_b32_e32 v3, 0
	s_ashr_i32 s7, s6, 31
	s_ashr_i32 s1, s0, 31
	s_lshl_b64 s[10:11], s[6:7], 5
	s_lshl_b64 s[28:29], s[0:1], 5
	s_waitcnt lgkmcnt(0)
	v_cmp_lt_i64_e64 s2, s[12:13], 1
	s_and_b32 vcc_lo, exec_lo, s2
	s_cbranch_vccnz .LBB76_3
; %bb.1:
	v_lshl_add_u32 v5, v1, 4, v0
	v_and_b32_e32 v6, 7, v0
	s_mul_i32 s1, s27, s8
	s_mul_hi_u32 s2, s26, s8
	s_mul_i32 s0, s26, s8
	v_lshrrev_b32_e32 v2, 3, v5
	v_and_b32_e32 v8, 31, v5
	v_lshrrev_b32_e32 v7, 5, v5
	v_lshlrev_b32_e32 v9, 3, v6
	s_add_i32 s1, s2, s1
	v_mad_u64_u32 v[3:4], null, s24, v6, v[2:3]
	v_lshlrev_b32_e32 v10, 3, v8
	v_lshl_or_b32 v9, v2, 6, v9
	s_lshl_b64 s[0:1], s[0:1], 3
	s_mul_i32 s3, s21, s8
	s_add_u32 s0, s22, s0
	v_lshl_or_b32 v16, v7, 8, v10
	v_mad_u64_u32 v[4:5], null, s25, v6, v[4:5]
	v_mad_u64_u32 v[5:6], null, s18, v7, s[10:11]
	v_add_co_u32 v3, vcc_lo, v3, s28
	s_addc_u32 s1, s23, s1
	s_mul_hi_u32 s6, s20, s8
	v_add_co_ci_u32_e64 v4, null, s29, v4, vcc_lo
	v_mov_b32_e32 v2, v6
	s_add_i32 s3, s6, s3
	s_mul_i32 s2, s20, s8
	v_lshlrev_b64 v[3:4], 3, v[3:4]
	s_lshl_b64 s[2:3], s[2:3], 3
	v_add_nc_u32_e32 v17, 0x800, v9
	v_lshlrev_b32_e32 v14, 3, v0
	v_lshl_add_u32 v15, v1, 6, 0x800
	s_mov_b64 s[6:7], 0
	v_mad_u64_u32 v[6:7], null, s19, v7, v[2:3]
	v_add_co_u32 v10, vcc_lo, s0, v3
	v_add_co_ci_u32_e64 v11, null, s1, v4, vcc_lo
	v_add_co_u32 v2, vcc_lo, v5, v8
	v_add_co_ci_u32_e64 v3, null, 0, v6, vcc_lo
	s_lshl_b64 s[0:1], s[24:25], 6
	s_add_u32 s2, s16, s2
	s_addc_u32 s3, s17, s3
	v_lshlrev_b64 v[12:13], 3, v[2:3]
	v_mov_b32_e32 v2, 0
	v_mov_b32_e32 v4, 0
	;; [unrolled: 1-line block ×5, first 2 shown]
	v_add_co_u32 v12, vcc_lo, s2, v12
	v_mov_b32_e32 v5, 0
	v_mov_b32_e32 v7, 0
	;; [unrolled: 1-line block ×3, first 2 shown]
	v_add_co_ci_u32_e64 v13, null, s3, v13, vcc_lo
	s_lshl_b64 s[2:3], s[18:19], 6
.LBB76_2:                               ; =>This Inner Loop Header: Depth=1
	global_load_dwordx2 v[18:19], v[12:13], off
	global_load_dwordx2 v[20:21], v[10:11], off
	s_add_u32 s6, s6, 8
	s_addc_u32 s7, s7, 0
	v_add_co_u32 v10, vcc_lo, v10, s0
	v_cmp_lt_i64_e64 s9, s[6:7], s[12:13]
	v_add_co_ci_u32_e64 v11, null, s1, v11, vcc_lo
	v_add_co_u32 v12, vcc_lo, v12, s2
	v_add_co_ci_u32_e64 v13, null, s3, v13, vcc_lo
	s_and_b32 vcc_lo, exec_lo, s9
	s_waitcnt vmcnt(1)
	ds_write_b64 v16, v[18:19]
	s_waitcnt vmcnt(0)
	ds_write_b64 v17, v[20:21]
	s_waitcnt lgkmcnt(0)
	s_barrier
	buffer_gl0_inv
	ds_read_b128 v[18:21], v15
	ds_read2_b64 v[22:25], v14 offset1:16
	ds_read_b128 v[26:29], v15 offset:1024
	ds_read_b128 v[30:33], v15 offset:16
	;; [unrolled: 1-line block ×3, first 2 shown]
	s_waitcnt lgkmcnt(3)
	v_fma_f64 v[8:9], v[22:23], v[18:19], v[8:9]
	v_fma_f64 v[6:7], v[24:25], v[18:19], v[6:7]
	s_waitcnt lgkmcnt(2)
	v_fma_f64 v[18:19], v[22:23], v[26:27], v[4:5]
	v_fma_f64 v[22:23], v[24:25], v[26:27], v[2:3]
	ds_read2_b64 v[2:5], v14 offset0:32 offset1:48
	s_waitcnt lgkmcnt(0)
	v_fma_f64 v[8:9], v[2:3], v[20:21], v[8:9]
	v_fma_f64 v[6:7], v[4:5], v[20:21], v[6:7]
	;; [unrolled: 1-line block ×4, first 2 shown]
	ds_read2_b64 v[2:5], v14 offset0:64 offset1:80
	s_waitcnt lgkmcnt(0)
	v_fma_f64 v[22:23], v[2:3], v[30:31], v[8:9]
	v_fma_f64 v[24:25], v[4:5], v[30:31], v[6:7]
	;; [unrolled: 1-line block ×4, first 2 shown]
	ds_read2_b64 v[2:5], v14 offset0:96 offset1:112
	ds_read_b128 v[6:9], v15 offset:32
	ds_read2_b64 v[18:21], v14 offset0:128 offset1:144
	s_waitcnt lgkmcnt(2)
	v_fma_f64 v[30:31], v[2:3], v[32:33], v[22:23]
	v_fma_f64 v[32:33], v[4:5], v[32:33], v[24:25]
	;; [unrolled: 1-line block ×4, first 2 shown]
	ds_read_b128 v[2:5], v15 offset:1056
	ds_read_b128 v[22:25], v15 offset:48
	;; [unrolled: 1-line block ×3, first 2 shown]
	s_waitcnt lgkmcnt(3)
	v_fma_f64 v[30:31], v[18:19], v[6:7], v[30:31]
	v_fma_f64 v[6:7], v[20:21], v[6:7], v[32:33]
	s_waitcnt lgkmcnt(2)
	v_fma_f64 v[32:33], v[18:19], v[2:3], v[34:35]
	v_fma_f64 v[2:3], v[20:21], v[2:3], v[36:37]
	ds_read2_b64 v[18:21], v14 offset0:160 offset1:176
	s_waitcnt lgkmcnt(0)
	v_fma_f64 v[30:31], v[18:19], v[8:9], v[30:31]
	v_fma_f64 v[6:7], v[20:21], v[8:9], v[6:7]
	;; [unrolled: 1-line block ×4, first 2 shown]
	ds_read2_b64 v[2:5], v14 offset0:192 offset1:208
	s_waitcnt lgkmcnt(0)
	v_fma_f64 v[30:31], v[2:3], v[22:23], v[30:31]
	v_fma_f64 v[6:7], v[4:5], v[22:23], v[6:7]
	;; [unrolled: 1-line block ×4, first 2 shown]
	ds_read2_b64 v[18:21], v14 offset0:224 offset1:240
	s_waitcnt lgkmcnt(0)
	s_barrier
	buffer_gl0_inv
	v_fma_f64 v[8:9], v[18:19], v[24:25], v[30:31]
	v_fma_f64 v[6:7], v[20:21], v[24:25], v[6:7]
	;; [unrolled: 1-line block ×4, first 2 shown]
	s_cbranch_vccnz .LBB76_2
	s_branch .LBB76_4
.LBB76_3:
	v_mov_b32_e32 v8, 0
	v_mov_b32_e32 v6, 0
	;; [unrolled: 1-line block ×8, first 2 shown]
.LBB76_4:
	s_clause 0x1
	s_load_dwordx8 s[16:23], s[4:5], 0x50
	s_load_dwordx8 s[0:7], s[4:5], 0x70
	s_waitcnt lgkmcnt(0)
	v_cmp_neq_f64_e64 s6, s[16:17], 0
	s_mul_i32 s5, s5, s8
	s_mul_hi_u32 s7, s4, s8
	s_mul_i32 s4, s4, s8
	s_add_i32 s5, s7, s5
	v_add_co_u32 v10, s7, s28, v1
	v_add_co_ci_u32_e64 v13, null, s29, 0, s7
	v_add_co_u32 v0, s7, s10, v0
	v_add_co_ci_u32_e64 v1, null, s11, 0, s7
	v_mul_lo_u32 v11, v13, s2
	v_mul_lo_u32 v12, v10, s3
	s_lshl_b64 s[4:5], s[4:5], 3
	v_lshlrev_b64 v[0:1], 3, v[0:1]
	s_add_u32 s0, s0, s4
	s_addc_u32 s1, s1, s5
	s_and_b32 vcc_lo, exec_lo, s6
	s_cbranch_vccnz .LBB76_8
; %bb.5:
	v_mad_u64_u32 v[14:15], null, v10, s2, 0
	v_mul_f64 v[16:17], s[14:15], v[8:9]
	v_mul_f64 v[18:19], s[14:15], v[6:7]
	;; [unrolled: 1-line block ×4, first 2 shown]
	s_lshl_b64 s[4:5], s[2:3], 7
	v_add3_u32 v15, v15, v12, v11
	v_lshlrev_b64 v[14:15], 3, v[14:15]
	v_add_co_u32 v14, vcc_lo, s0, v14
	v_add_co_ci_u32_e64 v15, null, s1, v15, vcc_lo
	v_add_co_u32 v24, vcc_lo, v14, s4
	v_add_co_ci_u32_e64 v25, null, s5, v15, vcc_lo
	;; [unrolled: 2-line block ×4, first 2 shown]
	global_store_dwordx2 v[14:15], v[16:17], off
	global_store_dwordx2 v[14:15], v[18:19], off offset:128
	global_store_dwordx2 v[24:25], v[20:21], off
	global_store_dwordx2 v[24:25], v[22:23], off offset:128
	s_cbranch_execnz .LBB76_7
.LBB76_6:
	v_mul_lo_u32 v15, v13, s20
	v_mul_lo_u32 v16, v10, s21
	v_mad_u64_u32 v[13:14], null, v10, s20, 0
	s_mul_i32 s5, s23, s8
	s_mul_hi_u32 s6, s22, s8
	s_mul_i32 s4, s22, s8
	s_add_i32 s5, s6, s5
	v_mad_u64_u32 v[17:18], null, v10, s2, 0
	v_add3_u32 v14, v14, v16, v15
	s_lshl_b64 s[4:5], s[4:5], 3
	s_add_u32 s4, s18, s4
	s_addc_u32 s5, s19, s5
	v_lshlrev_b64 v[13:14], 3, v[13:14]
	v_add3_u32 v18, v18, v12, v11
	v_lshlrev_b64 v[10:11], 3, v[17:18]
	v_add_co_u32 v19, vcc_lo, s4, v13
	v_add_co_ci_u32_e64 v20, null, s5, v14, vcc_lo
	v_add_co_u32 v13, vcc_lo, v19, v0
	v_add_co_ci_u32_e64 v14, null, v20, v1, vcc_lo
	v_add_co_u32 v12, vcc_lo, s0, v10
	global_load_dwordx2 v[15:16], v[13:14], off
	s_waitcnt vmcnt(0)
	v_mul_f64 v[15:16], s[16:17], v[15:16]
	v_fma_f64 v[8:9], s[14:15], v[8:9], v[15:16]
	v_add_co_ci_u32_e64 v15, null, s1, v11, vcc_lo
	v_add_co_u32 v10, vcc_lo, v12, v0
	s_lshl_b64 s[0:1], s[20:21], 7
	v_add_co_ci_u32_e64 v11, null, v15, v1, vcc_lo
	global_store_dwordx2 v[10:11], v[8:9], off
	global_load_dwordx2 v[8:9], v[13:14], off offset:128
	s_waitcnt vmcnt(0)
	v_mul_f64 v[8:9], s[16:17], v[8:9]
	v_fma_f64 v[6:7], s[14:15], v[6:7], v[8:9]
	v_add_co_u32 v8, vcc_lo, v19, s0
	v_add_co_ci_u32_e64 v9, null, s1, v20, vcc_lo
	s_lshl_b64 s[0:1], s[2:3], 7
	v_add_co_u32 v8, vcc_lo, v8, v0
	v_add_co_ci_u32_e64 v9, null, v9, v1, vcc_lo
	global_store_dwordx2 v[10:11], v[6:7], off offset:128
	global_load_dwordx2 v[6:7], v[8:9], off
	s_waitcnt vmcnt(0)
	v_mul_f64 v[6:7], s[16:17], v[6:7]
	v_fma_f64 v[4:5], s[14:15], v[4:5], v[6:7]
	v_add_co_u32 v6, vcc_lo, v12, s0
	v_add_co_ci_u32_e64 v7, null, s1, v15, vcc_lo
	v_add_co_u32 v0, vcc_lo, v6, v0
	v_add_co_ci_u32_e64 v1, null, v7, v1, vcc_lo
	global_store_dwordx2 v[0:1], v[4:5], off
	global_load_dwordx2 v[4:5], v[8:9], off offset:128
	s_waitcnt vmcnt(0)
	v_mul_f64 v[4:5], s[16:17], v[4:5]
	v_fma_f64 v[2:3], s[14:15], v[2:3], v[4:5]
	global_store_dwordx2 v[0:1], v[2:3], off offset:128
.LBB76_7:
	s_endpgm
.LBB76_8:
	s_branch .LBB76_6
	.section	.rodata,"a",@progbits
	.p2align	6, 0x0
	.amdhsa_kernel _ZN12_GLOBAL__N_127rocblas_gemm_batched_kernelIdLi16ELi16ELi32ELi32ELi8ELi32ELi8ELi8ELi32ELc78ELc67EKdS1_dEEvlllT_PT11_llS4_llS2_PT12_llPT13_lli
		.amdhsa_group_segment_fixed_size 4096
		.amdhsa_private_segment_fixed_size 0
		.amdhsa_kernarg_size 140
		.amdhsa_user_sgpr_count 6
		.amdhsa_user_sgpr_private_segment_buffer 1
		.amdhsa_user_sgpr_dispatch_ptr 0
		.amdhsa_user_sgpr_queue_ptr 0
		.amdhsa_user_sgpr_kernarg_segment_ptr 1
		.amdhsa_user_sgpr_dispatch_id 0
		.amdhsa_user_sgpr_flat_scratch_init 0
		.amdhsa_user_sgpr_private_segment_size 0
		.amdhsa_wavefront_size32 1
		.amdhsa_uses_dynamic_stack 0
		.amdhsa_system_sgpr_private_segment_wavefront_offset 0
		.amdhsa_system_sgpr_workgroup_id_x 1
		.amdhsa_system_sgpr_workgroup_id_y 1
		.amdhsa_system_sgpr_workgroup_id_z 1
		.amdhsa_system_sgpr_workgroup_info 0
		.amdhsa_system_vgpr_workitem_id 1
		.amdhsa_next_free_vgpr 38
		.amdhsa_next_free_sgpr 30
		.amdhsa_reserve_vcc 1
		.amdhsa_reserve_flat_scratch 0
		.amdhsa_float_round_mode_32 0
		.amdhsa_float_round_mode_16_64 0
		.amdhsa_float_denorm_mode_32 3
		.amdhsa_float_denorm_mode_16_64 3
		.amdhsa_dx10_clamp 1
		.amdhsa_ieee_mode 1
		.amdhsa_fp16_overflow 0
		.amdhsa_workgroup_processor_mode 1
		.amdhsa_memory_ordered 1
		.amdhsa_forward_progress 1
		.amdhsa_shared_vgpr_count 0
		.amdhsa_exception_fp_ieee_invalid_op 0
		.amdhsa_exception_fp_denorm_src 0
		.amdhsa_exception_fp_ieee_div_zero 0
		.amdhsa_exception_fp_ieee_overflow 0
		.amdhsa_exception_fp_ieee_underflow 0
		.amdhsa_exception_fp_ieee_inexact 0
		.amdhsa_exception_int_div_zero 0
	.end_amdhsa_kernel
	.section	.text._ZN12_GLOBAL__N_127rocblas_gemm_batched_kernelIdLi16ELi16ELi32ELi32ELi8ELi32ELi8ELi8ELi32ELc78ELc67EKdS1_dEEvlllT_PT11_llS4_llS2_PT12_llPT13_lli,"axG",@progbits,_ZN12_GLOBAL__N_127rocblas_gemm_batched_kernelIdLi16ELi16ELi32ELi32ELi8ELi32ELi8ELi8ELi32ELc78ELc67EKdS1_dEEvlllT_PT11_llS4_llS2_PT12_llPT13_lli,comdat
.Lfunc_end76:
	.size	_ZN12_GLOBAL__N_127rocblas_gemm_batched_kernelIdLi16ELi16ELi32ELi32ELi8ELi32ELi8ELi8ELi32ELc78ELc67EKdS1_dEEvlllT_PT11_llS4_llS2_PT12_llPT13_lli, .Lfunc_end76-_ZN12_GLOBAL__N_127rocblas_gemm_batched_kernelIdLi16ELi16ELi32ELi32ELi8ELi32ELi8ELi8ELi32ELc78ELc67EKdS1_dEEvlllT_PT11_llS4_llS2_PT12_llPT13_lli
                                        ; -- End function
	.set _ZN12_GLOBAL__N_127rocblas_gemm_batched_kernelIdLi16ELi16ELi32ELi32ELi8ELi32ELi8ELi8ELi32ELc78ELc67EKdS1_dEEvlllT_PT11_llS4_llS2_PT12_llPT13_lli.num_vgpr, 38
	.set _ZN12_GLOBAL__N_127rocblas_gemm_batched_kernelIdLi16ELi16ELi32ELi32ELi8ELi32ELi8ELi8ELi32ELc78ELc67EKdS1_dEEvlllT_PT11_llS4_llS2_PT12_llPT13_lli.num_agpr, 0
	.set _ZN12_GLOBAL__N_127rocblas_gemm_batched_kernelIdLi16ELi16ELi32ELi32ELi8ELi32ELi8ELi8ELi32ELc78ELc67EKdS1_dEEvlllT_PT11_llS4_llS2_PT12_llPT13_lli.numbered_sgpr, 30
	.set _ZN12_GLOBAL__N_127rocblas_gemm_batched_kernelIdLi16ELi16ELi32ELi32ELi8ELi32ELi8ELi8ELi32ELc78ELc67EKdS1_dEEvlllT_PT11_llS4_llS2_PT12_llPT13_lli.num_named_barrier, 0
	.set _ZN12_GLOBAL__N_127rocblas_gemm_batched_kernelIdLi16ELi16ELi32ELi32ELi8ELi32ELi8ELi8ELi32ELc78ELc67EKdS1_dEEvlllT_PT11_llS4_llS2_PT12_llPT13_lli.private_seg_size, 0
	.set _ZN12_GLOBAL__N_127rocblas_gemm_batched_kernelIdLi16ELi16ELi32ELi32ELi8ELi32ELi8ELi8ELi32ELc78ELc67EKdS1_dEEvlllT_PT11_llS4_llS2_PT12_llPT13_lli.uses_vcc, 1
	.set _ZN12_GLOBAL__N_127rocblas_gemm_batched_kernelIdLi16ELi16ELi32ELi32ELi8ELi32ELi8ELi8ELi32ELc78ELc67EKdS1_dEEvlllT_PT11_llS4_llS2_PT12_llPT13_lli.uses_flat_scratch, 0
	.set _ZN12_GLOBAL__N_127rocblas_gemm_batched_kernelIdLi16ELi16ELi32ELi32ELi8ELi32ELi8ELi8ELi32ELc78ELc67EKdS1_dEEvlllT_PT11_llS4_llS2_PT12_llPT13_lli.has_dyn_sized_stack, 0
	.set _ZN12_GLOBAL__N_127rocblas_gemm_batched_kernelIdLi16ELi16ELi32ELi32ELi8ELi32ELi8ELi8ELi32ELc78ELc67EKdS1_dEEvlllT_PT11_llS4_llS2_PT12_llPT13_lli.has_recursion, 0
	.set _ZN12_GLOBAL__N_127rocblas_gemm_batched_kernelIdLi16ELi16ELi32ELi32ELi8ELi32ELi8ELi8ELi32ELc78ELc67EKdS1_dEEvlllT_PT11_llS4_llS2_PT12_llPT13_lli.has_indirect_call, 0
	.section	.AMDGPU.csdata,"",@progbits
; Kernel info:
; codeLenInByte = 1588
; TotalNumSgprs: 32
; NumVgprs: 38
; ScratchSize: 0
; MemoryBound: 0
; FloatMode: 240
; IeeeMode: 1
; LDSByteSize: 4096 bytes/workgroup (compile time only)
; SGPRBlocks: 0
; VGPRBlocks: 4
; NumSGPRsForWavesPerEU: 32
; NumVGPRsForWavesPerEU: 38
; Occupancy: 16
; WaveLimiterHint : 1
; COMPUTE_PGM_RSRC2:SCRATCH_EN: 0
; COMPUTE_PGM_RSRC2:USER_SGPR: 6
; COMPUTE_PGM_RSRC2:TRAP_HANDLER: 0
; COMPUTE_PGM_RSRC2:TGID_X_EN: 1
; COMPUTE_PGM_RSRC2:TGID_Y_EN: 1
; COMPUTE_PGM_RSRC2:TGID_Z_EN: 1
; COMPUTE_PGM_RSRC2:TIDIG_COMP_CNT: 1
	.section	.text._ZN12_GLOBAL__N_127rocblas_gemm_batched_kernelIdLi16ELi16ELi32ELi32ELi8ELi32ELi8ELi8ELi32ELc84ELc67EKdS1_dEEvlllT_PT11_llS4_llS2_PT12_llPT13_lli,"axG",@progbits,_ZN12_GLOBAL__N_127rocblas_gemm_batched_kernelIdLi16ELi16ELi32ELi32ELi8ELi32ELi8ELi8ELi32ELc84ELc67EKdS1_dEEvlllT_PT11_llS4_llS2_PT12_llPT13_lli,comdat
	.globl	_ZN12_GLOBAL__N_127rocblas_gemm_batched_kernelIdLi16ELi16ELi32ELi32ELi8ELi32ELi8ELi8ELi32ELc84ELc67EKdS1_dEEvlllT_PT11_llS4_llS2_PT12_llPT13_lli ; -- Begin function _ZN12_GLOBAL__N_127rocblas_gemm_batched_kernelIdLi16ELi16ELi32ELi32ELi8ELi32ELi8ELi8ELi32ELc84ELc67EKdS1_dEEvlllT_PT11_llS4_llS2_PT12_llPT13_lli
	.p2align	8
	.type	_ZN12_GLOBAL__N_127rocblas_gemm_batched_kernelIdLi16ELi16ELi32ELi32ELi8ELi32ELi8ELi8ELi32ELc84ELc67EKdS1_dEEvlllT_PT11_llS4_llS2_PT12_llPT13_lli,@function
_ZN12_GLOBAL__N_127rocblas_gemm_batched_kernelIdLi16ELi16ELi32ELi32ELi8ELi32ELi8ELi8ELi32ELc84ELc67EKdS1_dEEvlllT_PT11_llS4_llS2_PT12_llPT13_lli: ; @_ZN12_GLOBAL__N_127rocblas_gemm_batched_kernelIdLi16ELi16ELi32ELi32ELi8ELi32ELi8ELi8ELi32ELc84ELc67EKdS1_dEEvlllT_PT11_llS4_llS2_PT12_llPT13_lli
; %bb.0:
	s_load_dwordx16 s[12:27], s[4:5], 0x10
	s_mov_b32 s0, s7
	v_mov_b32_e32 v3, 0
	s_ashr_i32 s7, s6, 31
	s_ashr_i32 s1, s0, 31
	s_lshl_b64 s[10:11], s[6:7], 5
	s_lshl_b64 s[28:29], s[0:1], 5
	s_waitcnt lgkmcnt(0)
	v_cmp_lt_i64_e64 s2, s[12:13], 1
	s_and_b32 vcc_lo, exec_lo, s2
	s_cbranch_vccnz .LBB77_3
; %bb.1:
	v_lshl_add_u32 v5, v1, 4, v0
	v_and_b32_e32 v6, 7, v0
	s_mul_i32 s0, s27, s8
	s_mul_hi_u32 s1, s26, s8
	v_lshlrev_b32_e32 v14, 3, v0
	v_lshrrev_b32_e32 v2, 3, v5
	v_and_b32_e32 v7, 31, v5
	v_lshlrev_b32_e32 v8, 3, v6
	s_add_i32 s1, s1, s0
	v_lshrrev_b32_e32 v9, 5, v5
	v_mad_u64_u32 v[3:4], null, s24, v6, v[2:3]
	v_lshlrev_b32_e32 v5, 3, v7
	v_add_co_u32 v7, s0, s10, v7
	v_lshl_or_b32 v8, v2, 6, v8
	v_add_co_ci_u32_e64 v10, null, s11, 0, s0
	v_mov_b32_e32 v2, v4
	v_lshl_or_b32 v15, v9, 8, v5
	v_add_nc_u32_e32 v16, 0x800, v8
	v_mul_lo_u32 v8, s19, v7
	v_mul_lo_u32 v10, s18, v10
	v_mad_u64_u32 v[4:5], null, s25, v6, v[2:3]
	v_mad_u64_u32 v[5:6], null, s18, v7, 0
	s_mul_i32 s0, s26, s8
	v_add_co_u32 v2, vcc_lo, v3, s28
	s_lshl_b64 s[0:1], s[0:1], 3
	v_add_co_ci_u32_e64 v3, null, s29, v4, vcc_lo
	v_add3_u32 v6, v6, v10, v8
	s_add_u32 s2, s22, s0
	s_addc_u32 s3, s23, s1
	s_mul_i32 s0, s21, s8
	s_mul_hi_u32 s1, s20, s8
	v_lshlrev_b64 v[4:5], 3, v[5:6]
	s_add_i32 s1, s1, s0
	s_mul_i32 s0, s20, s8
	v_lshlrev_b64 v[2:3], 3, v[2:3]
	s_lshl_b64 s[0:1], s[0:1], 3
	v_lshlrev_b32_e32 v6, 3, v9
	v_add_co_u32 v4, vcc_lo, v4, s0
	v_add_co_ci_u32_e64 v5, null, s1, v5, vcc_lo
	v_add_co_u32 v10, vcc_lo, s2, v2
	v_add_co_ci_u32_e64 v11, null, s3, v3, vcc_lo
	v_add_co_u32 v12, vcc_lo, v4, v6
	v_add_co_ci_u32_e64 v13, null, 0, v5, vcc_lo
	v_mov_b32_e32 v2, 0
	v_add_co_u32 v12, vcc_lo, s16, v12
	v_mov_b32_e32 v4, 0
	v_mov_b32_e32 v6, 0
	;; [unrolled: 1-line block ×3, first 2 shown]
	v_lshl_add_u32 v17, v1, 6, 0x800
	v_mov_b32_e32 v3, 0
	v_mov_b32_e32 v5, 0
	;; [unrolled: 1-line block ×4, first 2 shown]
	v_add_co_ci_u32_e64 v13, null, s17, v13, vcc_lo
	s_lshl_b64 s[0:1], s[24:25], 6
	s_mov_b64 s[2:3], 0
.LBB77_2:                               ; =>This Inner Loop Header: Depth=1
	global_load_dwordx2 v[18:19], v[12:13], off
	global_load_dwordx2 v[20:21], v[10:11], off
	s_add_u32 s2, s2, 8
	s_addc_u32 s3, s3, 0
	v_add_co_u32 v10, vcc_lo, v10, s0
	v_cmp_lt_i64_e64 s6, s[2:3], s[12:13]
	v_add_co_ci_u32_e64 v11, null, s1, v11, vcc_lo
	v_add_co_u32 v12, vcc_lo, v12, 64
	v_add_co_ci_u32_e64 v13, null, 0, v13, vcc_lo
	s_and_b32 vcc_lo, exec_lo, s6
	s_waitcnt vmcnt(1)
	ds_write_b64 v15, v[18:19]
	s_waitcnt vmcnt(0)
	ds_write_b64 v16, v[20:21]
	s_waitcnt lgkmcnt(0)
	s_barrier
	buffer_gl0_inv
	ds_read_b128 v[18:21], v17
	ds_read2_b64 v[22:25], v14 offset1:16
	ds_read_b128 v[26:29], v17 offset:1024
	ds_read_b128 v[30:33], v17 offset:16
	ds_read_b128 v[34:37], v17 offset:1040
	s_waitcnt lgkmcnt(3)
	v_fma_f64 v[8:9], v[22:23], v[18:19], v[8:9]
	v_fma_f64 v[6:7], v[24:25], v[18:19], v[6:7]
	s_waitcnt lgkmcnt(2)
	v_fma_f64 v[18:19], v[22:23], v[26:27], v[4:5]
	v_fma_f64 v[22:23], v[24:25], v[26:27], v[2:3]
	ds_read2_b64 v[2:5], v14 offset0:32 offset1:48
	s_waitcnt lgkmcnt(0)
	v_fma_f64 v[8:9], v[2:3], v[20:21], v[8:9]
	v_fma_f64 v[6:7], v[4:5], v[20:21], v[6:7]
	;; [unrolled: 1-line block ×4, first 2 shown]
	ds_read2_b64 v[2:5], v14 offset0:64 offset1:80
	s_waitcnt lgkmcnt(0)
	v_fma_f64 v[22:23], v[2:3], v[30:31], v[8:9]
	v_fma_f64 v[24:25], v[4:5], v[30:31], v[6:7]
	v_fma_f64 v[26:27], v[2:3], v[34:35], v[18:19]
	v_fma_f64 v[28:29], v[4:5], v[34:35], v[20:21]
	ds_read2_b64 v[2:5], v14 offset0:96 offset1:112
	ds_read_b128 v[6:9], v17 offset:32
	ds_read2_b64 v[18:21], v14 offset0:128 offset1:144
	s_waitcnt lgkmcnt(2)
	v_fma_f64 v[30:31], v[2:3], v[32:33], v[22:23]
	v_fma_f64 v[32:33], v[4:5], v[32:33], v[24:25]
	;; [unrolled: 1-line block ×4, first 2 shown]
	ds_read_b128 v[2:5], v17 offset:1056
	ds_read_b128 v[22:25], v17 offset:48
	;; [unrolled: 1-line block ×3, first 2 shown]
	s_waitcnt lgkmcnt(3)
	v_fma_f64 v[30:31], v[18:19], v[6:7], v[30:31]
	v_fma_f64 v[6:7], v[20:21], v[6:7], v[32:33]
	s_waitcnt lgkmcnt(2)
	v_fma_f64 v[32:33], v[18:19], v[2:3], v[34:35]
	v_fma_f64 v[2:3], v[20:21], v[2:3], v[36:37]
	ds_read2_b64 v[18:21], v14 offset0:160 offset1:176
	s_waitcnt lgkmcnt(0)
	v_fma_f64 v[30:31], v[18:19], v[8:9], v[30:31]
	v_fma_f64 v[6:7], v[20:21], v[8:9], v[6:7]
	;; [unrolled: 1-line block ×4, first 2 shown]
	ds_read2_b64 v[2:5], v14 offset0:192 offset1:208
	s_waitcnt lgkmcnt(0)
	v_fma_f64 v[30:31], v[2:3], v[22:23], v[30:31]
	v_fma_f64 v[6:7], v[4:5], v[22:23], v[6:7]
	;; [unrolled: 1-line block ×4, first 2 shown]
	ds_read2_b64 v[18:21], v14 offset0:224 offset1:240
	s_waitcnt lgkmcnt(0)
	s_barrier
	buffer_gl0_inv
	v_fma_f64 v[8:9], v[18:19], v[24:25], v[30:31]
	v_fma_f64 v[6:7], v[20:21], v[24:25], v[6:7]
	;; [unrolled: 1-line block ×4, first 2 shown]
	s_cbranch_vccnz .LBB77_2
	s_branch .LBB77_4
.LBB77_3:
	v_mov_b32_e32 v8, 0
	v_mov_b32_e32 v6, 0
	;; [unrolled: 1-line block ×8, first 2 shown]
.LBB77_4:
	s_clause 0x1
	s_load_dwordx8 s[16:23], s[4:5], 0x50
	s_load_dwordx8 s[0:7], s[4:5], 0x70
	s_waitcnt lgkmcnt(0)
	v_cmp_neq_f64_e64 s6, s[16:17], 0
	s_mul_i32 s5, s5, s8
	s_mul_hi_u32 s7, s4, s8
	s_mul_i32 s4, s4, s8
	s_add_i32 s5, s7, s5
	v_add_co_u32 v10, s7, s28, v1
	v_add_co_ci_u32_e64 v13, null, s29, 0, s7
	v_add_co_u32 v0, s7, s10, v0
	v_add_co_ci_u32_e64 v1, null, s11, 0, s7
	v_mul_lo_u32 v11, v13, s2
	v_mul_lo_u32 v12, v10, s3
	s_lshl_b64 s[4:5], s[4:5], 3
	v_lshlrev_b64 v[0:1], 3, v[0:1]
	s_add_u32 s0, s0, s4
	s_addc_u32 s1, s1, s5
	s_and_b32 vcc_lo, exec_lo, s6
	s_cbranch_vccnz .LBB77_8
; %bb.5:
	v_mad_u64_u32 v[14:15], null, v10, s2, 0
	v_mul_f64 v[16:17], s[14:15], v[8:9]
	v_mul_f64 v[18:19], s[14:15], v[6:7]
	;; [unrolled: 1-line block ×4, first 2 shown]
	s_lshl_b64 s[4:5], s[2:3], 7
	v_add3_u32 v15, v15, v12, v11
	v_lshlrev_b64 v[14:15], 3, v[14:15]
	v_add_co_u32 v14, vcc_lo, s0, v14
	v_add_co_ci_u32_e64 v15, null, s1, v15, vcc_lo
	v_add_co_u32 v24, vcc_lo, v14, s4
	v_add_co_ci_u32_e64 v25, null, s5, v15, vcc_lo
	;; [unrolled: 2-line block ×4, first 2 shown]
	global_store_dwordx2 v[14:15], v[16:17], off
	global_store_dwordx2 v[14:15], v[18:19], off offset:128
	global_store_dwordx2 v[24:25], v[20:21], off
	global_store_dwordx2 v[24:25], v[22:23], off offset:128
	s_cbranch_execnz .LBB77_7
.LBB77_6:
	v_mul_lo_u32 v15, v13, s20
	v_mul_lo_u32 v16, v10, s21
	v_mad_u64_u32 v[13:14], null, v10, s20, 0
	s_mul_i32 s5, s23, s8
	s_mul_hi_u32 s6, s22, s8
	s_mul_i32 s4, s22, s8
	s_add_i32 s5, s6, s5
	v_mad_u64_u32 v[17:18], null, v10, s2, 0
	v_add3_u32 v14, v14, v16, v15
	s_lshl_b64 s[4:5], s[4:5], 3
	s_add_u32 s4, s18, s4
	s_addc_u32 s5, s19, s5
	v_lshlrev_b64 v[13:14], 3, v[13:14]
	v_add3_u32 v18, v18, v12, v11
	v_lshlrev_b64 v[10:11], 3, v[17:18]
	v_add_co_u32 v19, vcc_lo, s4, v13
	v_add_co_ci_u32_e64 v20, null, s5, v14, vcc_lo
	v_add_co_u32 v13, vcc_lo, v19, v0
	v_add_co_ci_u32_e64 v14, null, v20, v1, vcc_lo
	v_add_co_u32 v12, vcc_lo, s0, v10
	global_load_dwordx2 v[15:16], v[13:14], off
	s_waitcnt vmcnt(0)
	v_mul_f64 v[15:16], s[16:17], v[15:16]
	v_fma_f64 v[8:9], s[14:15], v[8:9], v[15:16]
	v_add_co_ci_u32_e64 v15, null, s1, v11, vcc_lo
	v_add_co_u32 v10, vcc_lo, v12, v0
	s_lshl_b64 s[0:1], s[20:21], 7
	v_add_co_ci_u32_e64 v11, null, v15, v1, vcc_lo
	global_store_dwordx2 v[10:11], v[8:9], off
	global_load_dwordx2 v[8:9], v[13:14], off offset:128
	s_waitcnt vmcnt(0)
	v_mul_f64 v[8:9], s[16:17], v[8:9]
	v_fma_f64 v[6:7], s[14:15], v[6:7], v[8:9]
	v_add_co_u32 v8, vcc_lo, v19, s0
	v_add_co_ci_u32_e64 v9, null, s1, v20, vcc_lo
	s_lshl_b64 s[0:1], s[2:3], 7
	v_add_co_u32 v8, vcc_lo, v8, v0
	v_add_co_ci_u32_e64 v9, null, v9, v1, vcc_lo
	global_store_dwordx2 v[10:11], v[6:7], off offset:128
	global_load_dwordx2 v[6:7], v[8:9], off
	s_waitcnt vmcnt(0)
	v_mul_f64 v[6:7], s[16:17], v[6:7]
	v_fma_f64 v[4:5], s[14:15], v[4:5], v[6:7]
	v_add_co_u32 v6, vcc_lo, v12, s0
	v_add_co_ci_u32_e64 v7, null, s1, v15, vcc_lo
	v_add_co_u32 v0, vcc_lo, v6, v0
	v_add_co_ci_u32_e64 v1, null, v7, v1, vcc_lo
	global_store_dwordx2 v[0:1], v[4:5], off
	global_load_dwordx2 v[4:5], v[8:9], off offset:128
	s_waitcnt vmcnt(0)
	v_mul_f64 v[4:5], s[16:17], v[4:5]
	v_fma_f64 v[2:3], s[14:15], v[2:3], v[4:5]
	global_store_dwordx2 v[0:1], v[2:3], off offset:128
.LBB77_7:
	s_endpgm
.LBB77_8:
	s_branch .LBB77_6
	.section	.rodata,"a",@progbits
	.p2align	6, 0x0
	.amdhsa_kernel _ZN12_GLOBAL__N_127rocblas_gemm_batched_kernelIdLi16ELi16ELi32ELi32ELi8ELi32ELi8ELi8ELi32ELc84ELc67EKdS1_dEEvlllT_PT11_llS4_llS2_PT12_llPT13_lli
		.amdhsa_group_segment_fixed_size 4096
		.amdhsa_private_segment_fixed_size 0
		.amdhsa_kernarg_size 140
		.amdhsa_user_sgpr_count 6
		.amdhsa_user_sgpr_private_segment_buffer 1
		.amdhsa_user_sgpr_dispatch_ptr 0
		.amdhsa_user_sgpr_queue_ptr 0
		.amdhsa_user_sgpr_kernarg_segment_ptr 1
		.amdhsa_user_sgpr_dispatch_id 0
		.amdhsa_user_sgpr_flat_scratch_init 0
		.amdhsa_user_sgpr_private_segment_size 0
		.amdhsa_wavefront_size32 1
		.amdhsa_uses_dynamic_stack 0
		.amdhsa_system_sgpr_private_segment_wavefront_offset 0
		.amdhsa_system_sgpr_workgroup_id_x 1
		.amdhsa_system_sgpr_workgroup_id_y 1
		.amdhsa_system_sgpr_workgroup_id_z 1
		.amdhsa_system_sgpr_workgroup_info 0
		.amdhsa_system_vgpr_workitem_id 1
		.amdhsa_next_free_vgpr 38
		.amdhsa_next_free_sgpr 30
		.amdhsa_reserve_vcc 1
		.amdhsa_reserve_flat_scratch 0
		.amdhsa_float_round_mode_32 0
		.amdhsa_float_round_mode_16_64 0
		.amdhsa_float_denorm_mode_32 3
		.amdhsa_float_denorm_mode_16_64 3
		.amdhsa_dx10_clamp 1
		.amdhsa_ieee_mode 1
		.amdhsa_fp16_overflow 0
		.amdhsa_workgroup_processor_mode 1
		.amdhsa_memory_ordered 1
		.amdhsa_forward_progress 1
		.amdhsa_shared_vgpr_count 0
		.amdhsa_exception_fp_ieee_invalid_op 0
		.amdhsa_exception_fp_denorm_src 0
		.amdhsa_exception_fp_ieee_div_zero 0
		.amdhsa_exception_fp_ieee_overflow 0
		.amdhsa_exception_fp_ieee_underflow 0
		.amdhsa_exception_fp_ieee_inexact 0
		.amdhsa_exception_int_div_zero 0
	.end_amdhsa_kernel
	.section	.text._ZN12_GLOBAL__N_127rocblas_gemm_batched_kernelIdLi16ELi16ELi32ELi32ELi8ELi32ELi8ELi8ELi32ELc84ELc67EKdS1_dEEvlllT_PT11_llS4_llS2_PT12_llPT13_lli,"axG",@progbits,_ZN12_GLOBAL__N_127rocblas_gemm_batched_kernelIdLi16ELi16ELi32ELi32ELi8ELi32ELi8ELi8ELi32ELc84ELc67EKdS1_dEEvlllT_PT11_llS4_llS2_PT12_llPT13_lli,comdat
.Lfunc_end77:
	.size	_ZN12_GLOBAL__N_127rocblas_gemm_batched_kernelIdLi16ELi16ELi32ELi32ELi8ELi32ELi8ELi8ELi32ELc84ELc67EKdS1_dEEvlllT_PT11_llS4_llS2_PT12_llPT13_lli, .Lfunc_end77-_ZN12_GLOBAL__N_127rocblas_gemm_batched_kernelIdLi16ELi16ELi32ELi32ELi8ELi32ELi8ELi8ELi32ELc84ELc67EKdS1_dEEvlllT_PT11_llS4_llS2_PT12_llPT13_lli
                                        ; -- End function
	.set _ZN12_GLOBAL__N_127rocblas_gemm_batched_kernelIdLi16ELi16ELi32ELi32ELi8ELi32ELi8ELi8ELi32ELc84ELc67EKdS1_dEEvlllT_PT11_llS4_llS2_PT12_llPT13_lli.num_vgpr, 38
	.set _ZN12_GLOBAL__N_127rocblas_gemm_batched_kernelIdLi16ELi16ELi32ELi32ELi8ELi32ELi8ELi8ELi32ELc84ELc67EKdS1_dEEvlllT_PT11_llS4_llS2_PT12_llPT13_lli.num_agpr, 0
	.set _ZN12_GLOBAL__N_127rocblas_gemm_batched_kernelIdLi16ELi16ELi32ELi32ELi8ELi32ELi8ELi8ELi32ELc84ELc67EKdS1_dEEvlllT_PT11_llS4_llS2_PT12_llPT13_lli.numbered_sgpr, 30
	.set _ZN12_GLOBAL__N_127rocblas_gemm_batched_kernelIdLi16ELi16ELi32ELi32ELi8ELi32ELi8ELi8ELi32ELc84ELc67EKdS1_dEEvlllT_PT11_llS4_llS2_PT12_llPT13_lli.num_named_barrier, 0
	.set _ZN12_GLOBAL__N_127rocblas_gemm_batched_kernelIdLi16ELi16ELi32ELi32ELi8ELi32ELi8ELi8ELi32ELc84ELc67EKdS1_dEEvlllT_PT11_llS4_llS2_PT12_llPT13_lli.private_seg_size, 0
	.set _ZN12_GLOBAL__N_127rocblas_gemm_batched_kernelIdLi16ELi16ELi32ELi32ELi8ELi32ELi8ELi8ELi32ELc84ELc67EKdS1_dEEvlllT_PT11_llS4_llS2_PT12_llPT13_lli.uses_vcc, 1
	.set _ZN12_GLOBAL__N_127rocblas_gemm_batched_kernelIdLi16ELi16ELi32ELi32ELi8ELi32ELi8ELi8ELi32ELc84ELc67EKdS1_dEEvlllT_PT11_llS4_llS2_PT12_llPT13_lli.uses_flat_scratch, 0
	.set _ZN12_GLOBAL__N_127rocblas_gemm_batched_kernelIdLi16ELi16ELi32ELi32ELi8ELi32ELi8ELi8ELi32ELc84ELc67EKdS1_dEEvlllT_PT11_llS4_llS2_PT12_llPT13_lli.has_dyn_sized_stack, 0
	.set _ZN12_GLOBAL__N_127rocblas_gemm_batched_kernelIdLi16ELi16ELi32ELi32ELi8ELi32ELi8ELi8ELi32ELc84ELc67EKdS1_dEEvlllT_PT11_llS4_llS2_PT12_llPT13_lli.has_recursion, 0
	.set _ZN12_GLOBAL__N_127rocblas_gemm_batched_kernelIdLi16ELi16ELi32ELi32ELi8ELi32ELi8ELi8ELi32ELc84ELc67EKdS1_dEEvlllT_PT11_llS4_llS2_PT12_llPT13_lli.has_indirect_call, 0
	.section	.AMDGPU.csdata,"",@progbits
; Kernel info:
; codeLenInByte = 1628
; TotalNumSgprs: 32
; NumVgprs: 38
; ScratchSize: 0
; MemoryBound: 0
; FloatMode: 240
; IeeeMode: 1
; LDSByteSize: 4096 bytes/workgroup (compile time only)
; SGPRBlocks: 0
; VGPRBlocks: 4
; NumSGPRsForWavesPerEU: 32
; NumVGPRsForWavesPerEU: 38
; Occupancy: 16
; WaveLimiterHint : 1
; COMPUTE_PGM_RSRC2:SCRATCH_EN: 0
; COMPUTE_PGM_RSRC2:USER_SGPR: 6
; COMPUTE_PGM_RSRC2:TRAP_HANDLER: 0
; COMPUTE_PGM_RSRC2:TGID_X_EN: 1
; COMPUTE_PGM_RSRC2:TGID_Y_EN: 1
; COMPUTE_PGM_RSRC2:TGID_Z_EN: 1
; COMPUTE_PGM_RSRC2:TIDIG_COMP_CNT: 1
	.section	.text._ZN12_GLOBAL__N_135rocblas_gemm_batched_general_kernelIdLi16ELi16ELi32ELi32ELi8ELi32ELi8ELi8ELi32ELc78ELc78EKdS1_dEEvlllT_PT11_llS4_llS2_PT12_llPT13_lli,"axG",@progbits,_ZN12_GLOBAL__N_135rocblas_gemm_batched_general_kernelIdLi16ELi16ELi32ELi32ELi8ELi32ELi8ELi8ELi32ELc78ELc78EKdS1_dEEvlllT_PT11_llS4_llS2_PT12_llPT13_lli,comdat
	.globl	_ZN12_GLOBAL__N_135rocblas_gemm_batched_general_kernelIdLi16ELi16ELi32ELi32ELi8ELi32ELi8ELi8ELi32ELc78ELc78EKdS1_dEEvlllT_PT11_llS4_llS2_PT12_llPT13_lli ; -- Begin function _ZN12_GLOBAL__N_135rocblas_gemm_batched_general_kernelIdLi16ELi16ELi32ELi32ELi8ELi32ELi8ELi8ELi32ELc78ELc78EKdS1_dEEvlllT_PT11_llS4_llS2_PT12_llPT13_lli
	.p2align	8
	.type	_ZN12_GLOBAL__N_135rocblas_gemm_batched_general_kernelIdLi16ELi16ELi32ELi32ELi8ELi32ELi8ELi8ELi32ELc78ELc78EKdS1_dEEvlllT_PT11_llS4_llS2_PT12_llPT13_lli,@function
_ZN12_GLOBAL__N_135rocblas_gemm_batched_general_kernelIdLi16ELi16ELi32ELi32ELi8ELi32ELi8ELi8ELi32ELc78ELc78EKdS1_dEEvlllT_PT11_llS4_llS2_PT12_llPT13_lli: ; @_ZN12_GLOBAL__N_135rocblas_gemm_batched_general_kernelIdLi16ELi16ELi32ELi32ELi8ELi32ELi8ELi8ELi32ELc78ELc78EKdS1_dEEvlllT_PT11_llS4_llS2_PT12_llPT13_lli
; %bb.0:
	s_clause 0x1
	s_load_dwordx16 s[12:27], s[4:5], 0x0
	s_load_dwordx16 s[36:51], s[4:5], 0x40
	s_mov_b32 s0, s7
	s_ashr_i32 s7, s6, 31
	s_ashr_i32 s1, s0, 31
	s_lshl_b64 s[10:11], s[6:7], 5
	s_waitcnt lgkmcnt(0)
	v_cmp_lt_i64_e64 s2, s[16:17], 1
	s_and_b32 vcc_lo, exec_lo, s2
	s_lshl_b64 s[2:3], s[0:1], 5
	s_cbranch_vccnz .LBB78_7
; %bb.1:
	v_lshl_add_u32 v2, v1, 4, v0
	v_mov_b32_e32 v3, s11
	s_mul_i32 s9, s39, s8
	s_mul_hi_u32 s28, s38, s8
	v_and_b32_e32 v18, 7, v0
	v_lshrrev_b32_e32 v10, 3, v2
	v_lshrrev_b32_e32 v19, 5, v2
	v_and_b32_e32 v6, 31, v2
	s_add_i32 s29, s28, s9
	s_mul_i32 s28, s38, s8
	v_add_co_u32 v4, s0, v10, s2
	v_or_b32_e32 v2, s10, v6
	v_lshlrev_b32_e32 v12, 3, v6
	v_mad_u64_u32 v[6:7], null, s22, v19, 0
	v_add_co_ci_u32_e64 v5, null, 0, s3, s0
	v_mul_lo_u32 v13, s37, v4
	v_mad_u64_u32 v[8:9], null, s36, v4, 0
	v_mul_lo_u32 v14, s36, v5
	v_cmp_gt_i64_e64 s0, s[12:13], v[2:3]
	v_mov_b32_e32 v2, v7
	v_cmp_gt_i64_e64 s1, s[14:15], v[4:5]
	s_lshl_b64 s[28:29], s[28:29], 3
	s_mul_i32 s9, s25, s8
	s_mul_hi_u32 s25, s24, s8
	v_mad_u64_u32 v[2:3], null, s23, v19, v[2:3]
	v_add3_u32 v9, v9, v14, v13
	v_lshlrev_b32_e32 v11, 3, v18
	s_add_i32 s25, s25, s9
	s_mul_i32 s24, s24, s8
	s_lshl_b64 s[6:7], s[6:7], 8
	v_lshlrev_b64 v[3:4], 3, v[8:9]
	v_mov_b32_e32 v7, v2
	s_lshl_b64 s[24:25], s[24:25], 3
	v_lshl_or_b32 v10, v10, 6, v11
	s_add_u32 s6, s6, s24
	s_addc_u32 s7, s7, s25
	v_add_co_u32 v5, vcc_lo, v3, s28
	v_lshlrev_b64 v[2:3], 3, v[6:7]
	v_add_co_ci_u32_e64 v4, null, s29, v4, vcc_lo
	v_add_co_u32 v5, vcc_lo, v5, v11
	v_add_nc_u32_e32 v21, 0x800, v10
	v_add_co_ci_u32_e64 v4, null, 0, v4, vcc_lo
	v_add_co_u32 v2, vcc_lo, s6, v2
	v_add_co_ci_u32_e64 v3, null, s7, v3, vcc_lo
	v_add_co_u32 v10, vcc_lo, s26, v5
	v_lshl_or_b32 v20, v19, 8, v12
	v_add_co_ci_u32_e64 v11, null, s27, v4, vcc_lo
	v_add_co_u32 v12, vcc_lo, v2, v12
	v_add_co_ci_u32_e64 v13, null, 0, v3, vcc_lo
	v_mov_b32_e32 v2, 0
	v_add_co_u32 v12, vcc_lo, s20, v12
	v_mov_b32_e32 v4, 0
	v_mov_b32_e32 v6, 0
	;; [unrolled: 1-line block ×3, first 2 shown]
	v_lshlrev_b32_e32 v22, 3, v0
	v_lshl_add_u32 v23, v1, 6, 0x800
	v_mov_b32_e32 v3, 0
	v_mov_b32_e32 v5, 0
	;; [unrolled: 1-line block ×4, first 2 shown]
	v_add_co_ci_u32_e64 v13, null, s21, v13, vcc_lo
	s_lshl_b64 s[6:7], s[22:23], 6
	s_mov_b64 s[20:21], 0
	s_branch .LBB78_3
.LBB78_2:                               ;   in Loop: Header=BB78_3 Depth=1
	s_or_b32 exec_lo, exec_lo, s9
	s_waitcnt vmcnt(0)
	ds_write_b64 v21, v[16:17]
	s_waitcnt lgkmcnt(0)
	s_barrier
	buffer_gl0_inv
	ds_read_b128 v[14:17], v23
	ds_read2_b64 v[24:27], v22 offset1:16
	ds_read_b128 v[28:31], v23 offset:1024
	ds_read_b128 v[32:35], v23 offset:16
	ds_read2_b64 v[36:39], v22 offset0:32 offset1:48
	ds_read_b128 v[40:43], v23 offset:1040
	s_add_u32 s20, s20, 8
	s_addc_u32 s21, s21, 0
	v_add_co_u32 v10, vcc_lo, v10, 64
	v_cmp_lt_i64_e64 s9, s[20:21], s[16:17]
	v_add_co_ci_u32_e64 v11, null, 0, v11, vcc_lo
	v_add_co_u32 v12, vcc_lo, v12, s6
	v_add_co_ci_u32_e64 v13, null, s7, v13, vcc_lo
	s_and_b32 vcc_lo, exec_lo, s9
	s_waitcnt lgkmcnt(4)
	v_fma_f64 v[8:9], v[24:25], v[14:15], v[8:9]
	v_fma_f64 v[6:7], v[26:27], v[14:15], v[6:7]
	s_waitcnt lgkmcnt(3)
	v_fma_f64 v[14:15], v[24:25], v[28:29], v[4:5]
	v_fma_f64 v[24:25], v[26:27], v[28:29], v[2:3]
	ds_read2_b64 v[2:5], v22 offset0:64 offset1:80
	s_waitcnt lgkmcnt(2)
	v_fma_f64 v[26:27], v[36:37], v[16:17], v[8:9]
	v_fma_f64 v[16:17], v[38:39], v[16:17], v[6:7]
	;; [unrolled: 1-line block ×4, first 2 shown]
	ds_read2_b64 v[6:9], v22 offset0:96 offset1:112
	s_waitcnt lgkmcnt(1)
	v_fma_f64 v[26:27], v[2:3], v[32:33], v[26:27]
	v_fma_f64 v[28:29], v[4:5], v[32:33], v[16:17]
	;; [unrolled: 1-line block ×4, first 2 shown]
	ds_read_b128 v[2:5], v23 offset:32
	ds_read2_b64 v[14:17], v22 offset0:128 offset1:144
	s_waitcnt lgkmcnt(2)
	v_fma_f64 v[36:37], v[6:7], v[34:35], v[26:27]
	v_fma_f64 v[38:39], v[8:9], v[34:35], v[28:29]
	;; [unrolled: 1-line block ×4, first 2 shown]
	ds_read_b128 v[6:9], v23 offset:1056
	ds_read_b128 v[24:27], v23 offset:48
	ds_read2_b64 v[28:31], v22 offset0:160 offset1:176
	ds_read_b128 v[32:35], v23 offset:1072
	s_waitcnt lgkmcnt(4)
	v_fma_f64 v[36:37], v[14:15], v[2:3], v[36:37]
	v_fma_f64 v[2:3], v[16:17], v[2:3], v[38:39]
	s_waitcnt lgkmcnt(3)
	v_fma_f64 v[38:39], v[14:15], v[6:7], v[40:41]
	v_fma_f64 v[6:7], v[16:17], v[6:7], v[42:43]
	ds_read2_b64 v[14:17], v22 offset0:192 offset1:208
	s_waitcnt lgkmcnt(2)
	v_fma_f64 v[36:37], v[28:29], v[4:5], v[36:37]
	v_fma_f64 v[2:3], v[30:31], v[4:5], v[2:3]
	;; [unrolled: 1-line block ×4, first 2 shown]
	ds_read2_b64 v[28:31], v22 offset0:224 offset1:240
	s_waitcnt lgkmcnt(0)
	s_barrier
	buffer_gl0_inv
	v_fma_f64 v[8:9], v[14:15], v[24:25], v[36:37]
	v_fma_f64 v[2:3], v[16:17], v[24:25], v[2:3]
	;; [unrolled: 1-line block ×8, first 2 shown]
	s_cbranch_vccz .LBB78_8
.LBB78_3:                               ; =>This Inner Loop Header: Depth=1
	v_add_co_u32 v14, s9, v19, s20
	v_add_co_ci_u32_e64 v15, null, 0, s21, s9
	v_cmp_gt_i64_e32 vcc_lo, s[16:17], v[14:15]
	v_mov_b32_e32 v14, 0
	v_mov_b32_e32 v15, 0
	s_and_b32 s22, s0, vcc_lo
	s_and_saveexec_b32 s9, s22
	s_cbranch_execz .LBB78_5
; %bb.4:                                ;   in Loop: Header=BB78_3 Depth=1
	global_load_dwordx2 v[14:15], v[12:13], off
.LBB78_5:                               ;   in Loop: Header=BB78_3 Depth=1
	s_or_b32 exec_lo, exec_lo, s9
	v_add_co_u32 v16, s9, v18, s20
	v_add_co_ci_u32_e64 v17, null, 0, s21, s9
	s_waitcnt vmcnt(0)
	ds_write_b64 v20, v[14:15]
	v_cmp_gt_i64_e32 vcc_lo, s[16:17], v[16:17]
	v_mov_b32_e32 v16, 0
	v_mov_b32_e32 v17, 0
	s_and_b32 s22, vcc_lo, s1
	s_and_saveexec_b32 s9, s22
	s_cbranch_execz .LBB78_2
; %bb.6:                                ;   in Loop: Header=BB78_3 Depth=1
	global_load_dwordx2 v[16:17], v[10:11], off
	s_branch .LBB78_2
.LBB78_7:
	v_mov_b32_e32 v8, 0
	v_mov_b32_e32 v6, 0
	;; [unrolled: 1-line block ×8, first 2 shown]
.LBB78_8:
	s_load_dwordx2 s[0:1], s[4:5], 0x80
	v_cmp_neq_f64_e64 s6, s[40:41], 0
	v_add_co_u32 v10, s2, s2, v1
	v_add_co_ci_u32_e64 v11, null, s3, 0, s2
	s_waitcnt lgkmcnt(0)
	s_mul_i32 s1, s1, s8
	s_mul_hi_u32 s2, s0, s8
	s_mul_i32 s0, s0, s8
	s_add_i32 s1, s2, s1
	s_lshl_b64 s[4:5], s[0:1], 3
	v_cmp_gt_i64_e64 s0, s[14:15], v[10:11]
	s_add_u32 s3, s48, s4
	s_addc_u32 s4, s49, s5
	s_and_b32 vcc_lo, exec_lo, s6
	s_cbranch_vccnz .LBB78_21
; %bb.9:
	s_and_saveexec_b32 s5, s0
	s_cbranch_execz .LBB78_19
; %bb.10:
	v_mul_lo_u32 v1, v11, s50
	v_mul_lo_u32 v14, v10, s51
	v_mad_u64_u32 v[12:13], null, v10, s50, 0
	v_add3_u32 v13, v13, v14, v1
	v_add_co_u32 v14, s1, s10, v0
	v_add_co_ci_u32_e64 v15, null, s11, 0, s1
	v_lshlrev_b64 v[16:17], 3, v[12:13]
	v_cmp_gt_i64_e32 vcc_lo, s[12:13], v[14:15]
	v_lshlrev_b64 v[12:13], 3, v[14:15]
	v_add_co_u32 v1, s1, s3, v16
	v_add_co_ci_u32_e64 v16, null, s4, v17, s1
	s_and_saveexec_b32 s2, vcc_lo
	s_cbranch_execz .LBB78_12
; %bb.11:
	v_mul_f64 v[17:18], s[18:19], v[8:9]
	v_add_co_u32 v19, s1, v1, v12
	v_add_co_ci_u32_e64 v20, null, v16, v13, s1
	global_store_dwordx2 v[19:20], v[17:18], off
.LBB78_12:
	s_or_b32 exec_lo, exec_lo, s2
	v_add_co_u32 v14, s1, v14, 16
	v_add_co_ci_u32_e64 v15, null, 0, v15, s1
	v_cmp_gt_i64_e64 s1, s[12:13], v[14:15]
	s_and_saveexec_b32 s6, s1
	s_cbranch_execz .LBB78_14
; %bb.13:
	v_mul_f64 v[14:15], s[18:19], v[6:7]
	v_add_co_u32 v17, s2, v1, v12
	v_add_co_ci_u32_e64 v18, null, v16, v13, s2
	global_store_dwordx2 v[17:18], v[14:15], off offset:128
.LBB78_14:
	s_or_b32 exec_lo, exec_lo, s6
	v_add_co_u32 v14, s2, v10, 16
	v_add_co_ci_u32_e64 v15, null, 0, v11, s2
	v_cmp_gt_i64_e64 s2, s[14:15], v[14:15]
	s_and_b32 exec_lo, exec_lo, s2
	s_cbranch_execz .LBB78_19
; %bb.15:
	s_lshl_b64 s[6:7], s[50:51], 7
	v_add_co_u32 v1, s2, v1, s6
	v_add_co_ci_u32_e64 v14, null, s7, v16, s2
	v_add_co_u32 v12, s2, v1, v12
	v_add_co_ci_u32_e64 v13, null, v14, v13, s2
	s_and_saveexec_b32 s2, vcc_lo
	s_cbranch_execz .LBB78_17
; %bb.16:
	v_mul_f64 v[14:15], s[18:19], v[4:5]
	global_store_dwordx2 v[12:13], v[14:15], off
.LBB78_17:
	s_or_b32 exec_lo, exec_lo, s2
	s_and_b32 exec_lo, exec_lo, s1
	s_cbranch_execz .LBB78_19
; %bb.18:
	v_mul_f64 v[14:15], s[18:19], v[2:3]
	global_store_dwordx2 v[12:13], v[14:15], off offset:128
.LBB78_19:
	s_or_b32 exec_lo, exec_lo, s5
	s_cbranch_execz .LBB78_22
.LBB78_20:
	s_endpgm
.LBB78_21:
.LBB78_22:
	s_and_saveexec_b32 s1, s0
	s_cbranch_execz .LBB78_20
; %bb.23:
	v_mul_lo_u32 v1, v11, s44
	v_mul_lo_u32 v12, v10, s45
	v_mad_u64_u32 v[14:15], null, v10, s44, 0
	v_mul_lo_u32 v18, v11, s50
	v_mul_lo_u32 v19, v10, s51
	v_mad_u64_u32 v[16:17], null, v10, s50, 0
	s_mul_i32 s0, s47, s8
	s_mul_hi_u32 s1, s46, s8
	v_add3_u32 v15, v15, v12, v1
	s_add_i32 s1, s1, s0
	s_mul_i32 s0, s46, s8
	v_add_co_u32 v12, s2, s10, v0
	v_add3_u32 v17, v17, v19, v18
	v_lshlrev_b64 v[0:1], 3, v[14:15]
	s_lshl_b64 s[0:1], s[0:1], 3
	v_add_co_ci_u32_e64 v13, null, s11, 0, s2
	v_lshlrev_b64 v[16:17], 3, v[16:17]
	s_add_u32 s0, s42, s0
	s_addc_u32 s1, s43, s1
	v_add_co_u32 v14, s0, s0, v0
	v_add_co_ci_u32_e64 v15, null, s1, v1, s0
	v_add_co_u32 v16, s0, s3, v16
	v_cmp_gt_i64_e32 vcc_lo, s[12:13], v[12:13]
	v_lshlrev_b64 v[0:1], 3, v[12:13]
	v_add_co_ci_u32_e64 v17, null, s4, v17, s0
	s_and_saveexec_b32 s1, vcc_lo
	s_cbranch_execz .LBB78_25
; %bb.24:
	v_add_co_u32 v18, s0, v14, v0
	v_add_co_ci_u32_e64 v19, null, v15, v1, s0
	global_load_dwordx2 v[18:19], v[18:19], off
	s_waitcnt vmcnt(0)
	v_mul_f64 v[18:19], s[40:41], v[18:19]
	v_fma_f64 v[8:9], s[18:19], v[8:9], v[18:19]
	v_add_co_u32 v18, s0, v16, v0
	v_add_co_ci_u32_e64 v19, null, v17, v1, s0
	global_store_dwordx2 v[18:19], v[8:9], off
.LBB78_25:
	s_or_b32 exec_lo, exec_lo, s1
	v_add_co_u32 v8, s0, v12, 16
	v_add_co_ci_u32_e64 v9, null, 0, v13, s0
	v_cmp_gt_i64_e64 s0, s[12:13], v[8:9]
	s_and_saveexec_b32 s2, s0
	s_cbranch_execz .LBB78_27
; %bb.26:
	v_add_co_u32 v8, s1, v14, v0
	v_add_co_ci_u32_e64 v9, null, v15, v1, s1
	global_load_dwordx2 v[8:9], v[8:9], off offset:128
	s_waitcnt vmcnt(0)
	v_mul_f64 v[8:9], s[40:41], v[8:9]
	v_fma_f64 v[6:7], s[18:19], v[6:7], v[8:9]
	v_add_co_u32 v8, s1, v16, v0
	v_add_co_ci_u32_e64 v9, null, v17, v1, s1
	global_store_dwordx2 v[8:9], v[6:7], off offset:128
.LBB78_27:
	s_or_b32 exec_lo, exec_lo, s2
	v_add_co_u32 v6, s1, v10, 16
	v_add_co_ci_u32_e64 v7, null, 0, v11, s1
	v_cmp_gt_i64_e64 s1, s[14:15], v[6:7]
	s_and_b32 exec_lo, exec_lo, s1
	s_cbranch_execz .LBB78_20
; %bb.28:
	s_lshl_b64 s[2:3], s[44:45], 7
	v_add_co_u32 v6, s1, v14, s2
	v_add_co_ci_u32_e64 v7, null, s3, v15, s1
	s_lshl_b64 s[2:3], s[50:51], 7
	v_add_co_u32 v8, s1, v16, s2
	v_add_co_ci_u32_e64 v9, null, s3, v17, s1
	v_add_co_u32 v6, s1, v6, v0
	v_add_co_ci_u32_e64 v7, null, v7, v1, s1
	;; [unrolled: 2-line block ×3, first 2 shown]
	s_and_saveexec_b32 s1, vcc_lo
	s_cbranch_execz .LBB78_30
; %bb.29:
	global_load_dwordx2 v[8:9], v[6:7], off
	s_waitcnt vmcnt(0)
	v_mul_f64 v[8:9], s[40:41], v[8:9]
	v_fma_f64 v[4:5], s[18:19], v[4:5], v[8:9]
	global_store_dwordx2 v[0:1], v[4:5], off
.LBB78_30:
	s_or_b32 exec_lo, exec_lo, s1
	s_and_b32 exec_lo, exec_lo, s0
	s_cbranch_execz .LBB78_20
; %bb.31:
	global_load_dwordx2 v[4:5], v[6:7], off offset:128
	s_waitcnt vmcnt(0)
	v_mul_f64 v[4:5], s[40:41], v[4:5]
	v_fma_f64 v[2:3], s[18:19], v[2:3], v[4:5]
	global_store_dwordx2 v[0:1], v[2:3], off offset:128
	s_endpgm
	.section	.rodata,"a",@progbits
	.p2align	6, 0x0
	.amdhsa_kernel _ZN12_GLOBAL__N_135rocblas_gemm_batched_general_kernelIdLi16ELi16ELi32ELi32ELi8ELi32ELi8ELi8ELi32ELc78ELc78EKdS1_dEEvlllT_PT11_llS4_llS2_PT12_llPT13_lli
		.amdhsa_group_segment_fixed_size 4096
		.amdhsa_private_segment_fixed_size 0
		.amdhsa_kernarg_size 140
		.amdhsa_user_sgpr_count 6
		.amdhsa_user_sgpr_private_segment_buffer 1
		.amdhsa_user_sgpr_dispatch_ptr 0
		.amdhsa_user_sgpr_queue_ptr 0
		.amdhsa_user_sgpr_kernarg_segment_ptr 1
		.amdhsa_user_sgpr_dispatch_id 0
		.amdhsa_user_sgpr_flat_scratch_init 0
		.amdhsa_user_sgpr_private_segment_size 0
		.amdhsa_wavefront_size32 1
		.amdhsa_uses_dynamic_stack 0
		.amdhsa_system_sgpr_private_segment_wavefront_offset 0
		.amdhsa_system_sgpr_workgroup_id_x 1
		.amdhsa_system_sgpr_workgroup_id_y 1
		.amdhsa_system_sgpr_workgroup_id_z 1
		.amdhsa_system_sgpr_workgroup_info 0
		.amdhsa_system_vgpr_workitem_id 1
		.amdhsa_next_free_vgpr 44
		.amdhsa_next_free_sgpr 52
		.amdhsa_reserve_vcc 1
		.amdhsa_reserve_flat_scratch 0
		.amdhsa_float_round_mode_32 0
		.amdhsa_float_round_mode_16_64 0
		.amdhsa_float_denorm_mode_32 3
		.amdhsa_float_denorm_mode_16_64 3
		.amdhsa_dx10_clamp 1
		.amdhsa_ieee_mode 1
		.amdhsa_fp16_overflow 0
		.amdhsa_workgroup_processor_mode 1
		.amdhsa_memory_ordered 1
		.amdhsa_forward_progress 1
		.amdhsa_shared_vgpr_count 0
		.amdhsa_exception_fp_ieee_invalid_op 0
		.amdhsa_exception_fp_denorm_src 0
		.amdhsa_exception_fp_ieee_div_zero 0
		.amdhsa_exception_fp_ieee_overflow 0
		.amdhsa_exception_fp_ieee_underflow 0
		.amdhsa_exception_fp_ieee_inexact 0
		.amdhsa_exception_int_div_zero 0
	.end_amdhsa_kernel
	.section	.text._ZN12_GLOBAL__N_135rocblas_gemm_batched_general_kernelIdLi16ELi16ELi32ELi32ELi8ELi32ELi8ELi8ELi32ELc78ELc78EKdS1_dEEvlllT_PT11_llS4_llS2_PT12_llPT13_lli,"axG",@progbits,_ZN12_GLOBAL__N_135rocblas_gemm_batched_general_kernelIdLi16ELi16ELi32ELi32ELi8ELi32ELi8ELi8ELi32ELc78ELc78EKdS1_dEEvlllT_PT11_llS4_llS2_PT12_llPT13_lli,comdat
.Lfunc_end78:
	.size	_ZN12_GLOBAL__N_135rocblas_gemm_batched_general_kernelIdLi16ELi16ELi32ELi32ELi8ELi32ELi8ELi8ELi32ELc78ELc78EKdS1_dEEvlllT_PT11_llS4_llS2_PT12_llPT13_lli, .Lfunc_end78-_ZN12_GLOBAL__N_135rocblas_gemm_batched_general_kernelIdLi16ELi16ELi32ELi32ELi8ELi32ELi8ELi8ELi32ELc78ELc78EKdS1_dEEvlllT_PT11_llS4_llS2_PT12_llPT13_lli
                                        ; -- End function
	.set _ZN12_GLOBAL__N_135rocblas_gemm_batched_general_kernelIdLi16ELi16ELi32ELi32ELi8ELi32ELi8ELi8ELi32ELc78ELc78EKdS1_dEEvlllT_PT11_llS4_llS2_PT12_llPT13_lli.num_vgpr, 44
	.set _ZN12_GLOBAL__N_135rocblas_gemm_batched_general_kernelIdLi16ELi16ELi32ELi32ELi8ELi32ELi8ELi8ELi32ELc78ELc78EKdS1_dEEvlllT_PT11_llS4_llS2_PT12_llPT13_lli.num_agpr, 0
	.set _ZN12_GLOBAL__N_135rocblas_gemm_batched_general_kernelIdLi16ELi16ELi32ELi32ELi8ELi32ELi8ELi8ELi32ELc78ELc78EKdS1_dEEvlllT_PT11_llS4_llS2_PT12_llPT13_lli.numbered_sgpr, 52
	.set _ZN12_GLOBAL__N_135rocblas_gemm_batched_general_kernelIdLi16ELi16ELi32ELi32ELi8ELi32ELi8ELi8ELi32ELc78ELc78EKdS1_dEEvlllT_PT11_llS4_llS2_PT12_llPT13_lli.num_named_barrier, 0
	.set _ZN12_GLOBAL__N_135rocblas_gemm_batched_general_kernelIdLi16ELi16ELi32ELi32ELi8ELi32ELi8ELi8ELi32ELc78ELc78EKdS1_dEEvlllT_PT11_llS4_llS2_PT12_llPT13_lli.private_seg_size, 0
	.set _ZN12_GLOBAL__N_135rocblas_gemm_batched_general_kernelIdLi16ELi16ELi32ELi32ELi8ELi32ELi8ELi8ELi32ELc78ELc78EKdS1_dEEvlllT_PT11_llS4_llS2_PT12_llPT13_lli.uses_vcc, 1
	.set _ZN12_GLOBAL__N_135rocblas_gemm_batched_general_kernelIdLi16ELi16ELi32ELi32ELi8ELi32ELi8ELi8ELi32ELc78ELc78EKdS1_dEEvlllT_PT11_llS4_llS2_PT12_llPT13_lli.uses_flat_scratch, 0
	.set _ZN12_GLOBAL__N_135rocblas_gemm_batched_general_kernelIdLi16ELi16ELi32ELi32ELi8ELi32ELi8ELi8ELi32ELc78ELc78EKdS1_dEEvlllT_PT11_llS4_llS2_PT12_llPT13_lli.has_dyn_sized_stack, 0
	.set _ZN12_GLOBAL__N_135rocblas_gemm_batched_general_kernelIdLi16ELi16ELi32ELi32ELi8ELi32ELi8ELi8ELi32ELc78ELc78EKdS1_dEEvlllT_PT11_llS4_llS2_PT12_llPT13_lli.has_recursion, 0
	.set _ZN12_GLOBAL__N_135rocblas_gemm_batched_general_kernelIdLi16ELi16ELi32ELi32ELi8ELi32ELi8ELi8ELi32ELc78ELc78EKdS1_dEEvlllT_PT11_llS4_llS2_PT12_llPT13_lli.has_indirect_call, 0
	.section	.AMDGPU.csdata,"",@progbits
; Kernel info:
; codeLenInByte = 2080
; TotalNumSgprs: 54
; NumVgprs: 44
; ScratchSize: 0
; MemoryBound: 0
; FloatMode: 240
; IeeeMode: 1
; LDSByteSize: 4096 bytes/workgroup (compile time only)
; SGPRBlocks: 0
; VGPRBlocks: 5
; NumSGPRsForWavesPerEU: 54
; NumVGPRsForWavesPerEU: 44
; Occupancy: 16
; WaveLimiterHint : 0
; COMPUTE_PGM_RSRC2:SCRATCH_EN: 0
; COMPUTE_PGM_RSRC2:USER_SGPR: 6
; COMPUTE_PGM_RSRC2:TRAP_HANDLER: 0
; COMPUTE_PGM_RSRC2:TGID_X_EN: 1
; COMPUTE_PGM_RSRC2:TGID_Y_EN: 1
; COMPUTE_PGM_RSRC2:TGID_Z_EN: 1
; COMPUTE_PGM_RSRC2:TIDIG_COMP_CNT: 1
	.section	.text._ZN12_GLOBAL__N_135rocblas_gemm_batched_general_kernelIdLi16ELi16ELi32ELi32ELi8ELi32ELi8ELi8ELi32ELc84ELc78EKdS1_dEEvlllT_PT11_llS4_llS2_PT12_llPT13_lli,"axG",@progbits,_ZN12_GLOBAL__N_135rocblas_gemm_batched_general_kernelIdLi16ELi16ELi32ELi32ELi8ELi32ELi8ELi8ELi32ELc84ELc78EKdS1_dEEvlllT_PT11_llS4_llS2_PT12_llPT13_lli,comdat
	.globl	_ZN12_GLOBAL__N_135rocblas_gemm_batched_general_kernelIdLi16ELi16ELi32ELi32ELi8ELi32ELi8ELi8ELi32ELc84ELc78EKdS1_dEEvlllT_PT11_llS4_llS2_PT12_llPT13_lli ; -- Begin function _ZN12_GLOBAL__N_135rocblas_gemm_batched_general_kernelIdLi16ELi16ELi32ELi32ELi8ELi32ELi8ELi8ELi32ELc84ELc78EKdS1_dEEvlllT_PT11_llS4_llS2_PT12_llPT13_lli
	.p2align	8
	.type	_ZN12_GLOBAL__N_135rocblas_gemm_batched_general_kernelIdLi16ELi16ELi32ELi32ELi8ELi32ELi8ELi8ELi32ELc84ELc78EKdS1_dEEvlllT_PT11_llS4_llS2_PT12_llPT13_lli,@function
_ZN12_GLOBAL__N_135rocblas_gemm_batched_general_kernelIdLi16ELi16ELi32ELi32ELi8ELi32ELi8ELi8ELi32ELc84ELc78EKdS1_dEEvlllT_PT11_llS4_llS2_PT12_llPT13_lli: ; @_ZN12_GLOBAL__N_135rocblas_gemm_batched_general_kernelIdLi16ELi16ELi32ELi32ELi8ELi32ELi8ELi8ELi32ELc84ELc78EKdS1_dEEvlllT_PT11_llS4_llS2_PT12_llPT13_lli
; %bb.0:
	s_clause 0x1
	s_load_dwordx16 s[12:27], s[4:5], 0x0
	s_load_dwordx16 s[36:51], s[4:5], 0x40
	s_mov_b32 s0, s7
	s_ashr_i32 s7, s6, 31
	s_ashr_i32 s1, s0, 31
	s_lshl_b64 s[6:7], s[6:7], 5
	s_waitcnt lgkmcnt(0)
	v_cmp_lt_i64_e64 s2, s[16:17], 1
	s_and_b32 vcc_lo, exec_lo, s2
	s_lshl_b64 s[2:3], s[0:1], 5
	s_cbranch_vccnz .LBB79_7
; %bb.1:
	v_lshl_add_u32 v2, v1, 4, v0
	v_and_b32_e32 v18, 7, v0
	v_mov_b32_e32 v3, s7
	s_mul_hi_u32 s10, s38, s8
	v_lshlrev_b32_e32 v22, 3, v0
	v_lshrrev_b32_e32 v7, 3, v2
	v_and_b32_e32 v6, 31, v2
	v_lshrrev_b32_e32 v19, 5, v2
	v_lshlrev_b32_e32 v9, 3, v18
	v_lshl_add_u32 v23, v1, 6, 0x800
	v_add_co_u32 v4, s0, v7, s2
	v_or_b32_e32 v2, s6, v6
	v_lshlrev_b32_e32 v8, 3, v6
	v_add_co_ci_u32_e64 v5, null, 0, s3, s0
	v_add_co_u32 v6, s9, s6, v6
	v_cmp_gt_i64_e64 s0, s[12:13], v[2:3]
	v_lshl_or_b32 v20, v19, 8, v8
	v_cmp_gt_i64_e64 s1, s[14:15], v[4:5]
	v_mul_lo_u32 v8, s37, v4
	v_mul_lo_u32 v5, s36, v5
	v_mad_u64_u32 v[2:3], null, s36, v4, 0
	v_lshl_or_b32 v4, v7, 6, v9
	v_add_co_ci_u32_e64 v7, null, s7, 0, s9
	s_mul_i32 s9, s39, s8
	v_add_nc_u32_e32 v21, 0x800, v4
	v_add3_u32 v3, v3, v5, v8
	v_mul_lo_u32 v8, s23, v6
	v_mul_lo_u32 v7, s22, v7
	v_mad_u64_u32 v[4:5], null, s22, v6, 0
	v_lshlrev_b64 v[2:3], 3, v[2:3]
	s_add_i32 s11, s10, s9
	s_mul_i32 s10, s38, s8
	s_mul_i32 s9, s25, s8
	s_lshl_b64 s[10:11], s[10:11], 3
	v_add3_u32 v5, v5, v7, v8
	v_add_co_u32 v6, vcc_lo, v2, s10
	v_add_co_ci_u32_e64 v7, null, s11, v3, vcc_lo
	s_mul_hi_u32 s10, s24, s8
	v_lshlrev_b64 v[2:3], 3, v[4:5]
	s_add_i32 s11, s10, s9
	s_mul_i32 s10, s24, s8
	v_add_co_u32 v4, vcc_lo, v6, v9
	s_lshl_b64 s[10:11], s[10:11], 3
	v_add_co_ci_u32_e64 v5, null, 0, v7, vcc_lo
	v_add_co_u32 v2, vcc_lo, v2, s10
	v_lshlrev_b32_e32 v6, 3, v19
	v_add_co_ci_u32_e64 v3, null, s11, v3, vcc_lo
	v_add_co_u32 v10, vcc_lo, s26, v4
	v_add_co_ci_u32_e64 v11, null, s27, v5, vcc_lo
	v_add_co_u32 v12, vcc_lo, v2, v6
	v_add_co_ci_u32_e64 v13, null, 0, v3, vcc_lo
	v_mov_b32_e32 v2, 0
	v_add_co_u32 v12, vcc_lo, s20, v12
	v_mov_b32_e32 v4, 0
	v_mov_b32_e32 v6, 0
	;; [unrolled: 1-line block ×7, first 2 shown]
	v_add_co_ci_u32_e64 v13, null, s21, v13, vcc_lo
	s_mov_b64 s[10:11], 0
	s_branch .LBB79_3
.LBB79_2:                               ;   in Loop: Header=BB79_3 Depth=1
	s_or_b32 exec_lo, exec_lo, s9
	s_waitcnt vmcnt(0)
	ds_write_b64 v21, v[16:17]
	s_waitcnt lgkmcnt(0)
	s_barrier
	buffer_gl0_inv
	ds_read_b128 v[14:17], v23
	ds_read2_b64 v[24:27], v22 offset1:16
	ds_read_b128 v[28:31], v23 offset:1024
	ds_read_b128 v[32:35], v23 offset:16
	ds_read2_b64 v[36:39], v22 offset0:32 offset1:48
	ds_read_b128 v[40:43], v23 offset:1040
	s_add_u32 s10, s10, 8
	s_addc_u32 s11, s11, 0
	v_add_co_u32 v10, vcc_lo, v10, 64
	v_cmp_lt_i64_e64 s9, s[10:11], s[16:17]
	v_add_co_ci_u32_e64 v11, null, 0, v11, vcc_lo
	v_add_co_u32 v12, vcc_lo, v12, 64
	v_add_co_ci_u32_e64 v13, null, 0, v13, vcc_lo
	s_and_b32 vcc_lo, exec_lo, s9
	s_waitcnt lgkmcnt(4)
	v_fma_f64 v[8:9], v[24:25], v[14:15], v[8:9]
	v_fma_f64 v[6:7], v[26:27], v[14:15], v[6:7]
	s_waitcnt lgkmcnt(3)
	v_fma_f64 v[14:15], v[24:25], v[28:29], v[4:5]
	v_fma_f64 v[24:25], v[26:27], v[28:29], v[2:3]
	ds_read2_b64 v[2:5], v22 offset0:64 offset1:80
	s_waitcnt lgkmcnt(2)
	v_fma_f64 v[26:27], v[36:37], v[16:17], v[8:9]
	v_fma_f64 v[16:17], v[38:39], v[16:17], v[6:7]
	;; [unrolled: 1-line block ×4, first 2 shown]
	ds_read2_b64 v[6:9], v22 offset0:96 offset1:112
	s_waitcnt lgkmcnt(1)
	v_fma_f64 v[26:27], v[2:3], v[32:33], v[26:27]
	v_fma_f64 v[28:29], v[4:5], v[32:33], v[16:17]
	v_fma_f64 v[30:31], v[2:3], v[40:41], v[14:15]
	v_fma_f64 v[24:25], v[4:5], v[40:41], v[24:25]
	ds_read_b128 v[2:5], v23 offset:32
	ds_read2_b64 v[14:17], v22 offset0:128 offset1:144
	s_waitcnt lgkmcnt(2)
	v_fma_f64 v[36:37], v[6:7], v[34:35], v[26:27]
	v_fma_f64 v[38:39], v[8:9], v[34:35], v[28:29]
	;; [unrolled: 1-line block ×4, first 2 shown]
	ds_read_b128 v[6:9], v23 offset:1056
	ds_read_b128 v[24:27], v23 offset:48
	ds_read2_b64 v[28:31], v22 offset0:160 offset1:176
	ds_read_b128 v[32:35], v23 offset:1072
	s_waitcnt lgkmcnt(4)
	v_fma_f64 v[36:37], v[14:15], v[2:3], v[36:37]
	v_fma_f64 v[2:3], v[16:17], v[2:3], v[38:39]
	s_waitcnt lgkmcnt(3)
	v_fma_f64 v[38:39], v[14:15], v[6:7], v[40:41]
	v_fma_f64 v[6:7], v[16:17], v[6:7], v[42:43]
	ds_read2_b64 v[14:17], v22 offset0:192 offset1:208
	s_waitcnt lgkmcnt(2)
	v_fma_f64 v[36:37], v[28:29], v[4:5], v[36:37]
	v_fma_f64 v[2:3], v[30:31], v[4:5], v[2:3]
	;; [unrolled: 1-line block ×4, first 2 shown]
	ds_read2_b64 v[28:31], v22 offset0:224 offset1:240
	s_waitcnt lgkmcnt(0)
	s_barrier
	buffer_gl0_inv
	v_fma_f64 v[8:9], v[14:15], v[24:25], v[36:37]
	v_fma_f64 v[2:3], v[16:17], v[24:25], v[2:3]
	;; [unrolled: 1-line block ×8, first 2 shown]
	s_cbranch_vccz .LBB79_8
.LBB79_3:                               ; =>This Inner Loop Header: Depth=1
	v_add_co_u32 v14, s9, v19, s10
	v_add_co_ci_u32_e64 v15, null, 0, s11, s9
	v_cmp_gt_i64_e32 vcc_lo, s[16:17], v[14:15]
	v_mov_b32_e32 v14, 0
	v_mov_b32_e32 v15, 0
	s_and_b32 s20, s0, vcc_lo
	s_and_saveexec_b32 s9, s20
	s_cbranch_execz .LBB79_5
; %bb.4:                                ;   in Loop: Header=BB79_3 Depth=1
	global_load_dwordx2 v[14:15], v[12:13], off
.LBB79_5:                               ;   in Loop: Header=BB79_3 Depth=1
	s_or_b32 exec_lo, exec_lo, s9
	v_add_co_u32 v16, s9, v18, s10
	v_add_co_ci_u32_e64 v17, null, 0, s11, s9
	s_waitcnt vmcnt(0)
	ds_write_b64 v20, v[14:15]
	v_cmp_gt_i64_e32 vcc_lo, s[16:17], v[16:17]
	v_mov_b32_e32 v16, 0
	v_mov_b32_e32 v17, 0
	s_and_b32 s20, vcc_lo, s1
	s_and_saveexec_b32 s9, s20
	s_cbranch_execz .LBB79_2
; %bb.6:                                ;   in Loop: Header=BB79_3 Depth=1
	global_load_dwordx2 v[16:17], v[10:11], off
	s_branch .LBB79_2
.LBB79_7:
	v_mov_b32_e32 v8, 0
	v_mov_b32_e32 v6, 0
	;; [unrolled: 1-line block ×8, first 2 shown]
.LBB79_8:
	s_load_dwordx2 s[0:1], s[4:5], 0x80
	v_cmp_neq_f64_e64 s9, s[40:41], 0
	v_add_co_u32 v10, s2, s2, v1
	v_add_co_ci_u32_e64 v11, null, s3, 0, s2
	s_waitcnt lgkmcnt(0)
	s_mul_i32 s1, s1, s8
	s_mul_hi_u32 s2, s0, s8
	s_mul_i32 s0, s0, s8
	s_add_i32 s1, s2, s1
	s_lshl_b64 s[4:5], s[0:1], 3
	v_cmp_gt_i64_e64 s0, s[14:15], v[10:11]
	s_add_u32 s3, s48, s4
	s_addc_u32 s4, s49, s5
	s_and_b32 vcc_lo, exec_lo, s9
	s_cbranch_vccnz .LBB79_21
; %bb.9:
	s_and_saveexec_b32 s5, s0
	s_cbranch_execz .LBB79_19
; %bb.10:
	v_mul_lo_u32 v1, v11, s50
	v_mul_lo_u32 v14, v10, s51
	v_mad_u64_u32 v[12:13], null, v10, s50, 0
	v_add3_u32 v13, v13, v14, v1
	v_add_co_u32 v14, s1, s6, v0
	v_add_co_ci_u32_e64 v15, null, s7, 0, s1
	v_lshlrev_b64 v[16:17], 3, v[12:13]
	v_cmp_gt_i64_e32 vcc_lo, s[12:13], v[14:15]
	v_lshlrev_b64 v[12:13], 3, v[14:15]
	v_add_co_u32 v1, s1, s3, v16
	v_add_co_ci_u32_e64 v16, null, s4, v17, s1
	s_and_saveexec_b32 s2, vcc_lo
	s_cbranch_execz .LBB79_12
; %bb.11:
	v_mul_f64 v[17:18], s[18:19], v[8:9]
	v_add_co_u32 v19, s1, v1, v12
	v_add_co_ci_u32_e64 v20, null, v16, v13, s1
	global_store_dwordx2 v[19:20], v[17:18], off
.LBB79_12:
	s_or_b32 exec_lo, exec_lo, s2
	v_add_co_u32 v14, s1, v14, 16
	v_add_co_ci_u32_e64 v15, null, 0, v15, s1
	v_cmp_gt_i64_e64 s1, s[12:13], v[14:15]
	s_and_saveexec_b32 s9, s1
	s_cbranch_execz .LBB79_14
; %bb.13:
	v_mul_f64 v[14:15], s[18:19], v[6:7]
	v_add_co_u32 v17, s2, v1, v12
	v_add_co_ci_u32_e64 v18, null, v16, v13, s2
	global_store_dwordx2 v[17:18], v[14:15], off offset:128
.LBB79_14:
	s_or_b32 exec_lo, exec_lo, s9
	v_add_co_u32 v14, s2, v10, 16
	v_add_co_ci_u32_e64 v15, null, 0, v11, s2
	v_cmp_gt_i64_e64 s2, s[14:15], v[14:15]
	s_and_b32 exec_lo, exec_lo, s2
	s_cbranch_execz .LBB79_19
; %bb.15:
	s_lshl_b64 s[10:11], s[50:51], 7
	v_add_co_u32 v1, s2, v1, s10
	v_add_co_ci_u32_e64 v14, null, s11, v16, s2
	v_add_co_u32 v12, s2, v1, v12
	v_add_co_ci_u32_e64 v13, null, v14, v13, s2
	s_and_saveexec_b32 s2, vcc_lo
	s_cbranch_execz .LBB79_17
; %bb.16:
	v_mul_f64 v[14:15], s[18:19], v[4:5]
	global_store_dwordx2 v[12:13], v[14:15], off
.LBB79_17:
	s_or_b32 exec_lo, exec_lo, s2
	s_and_b32 exec_lo, exec_lo, s1
	s_cbranch_execz .LBB79_19
; %bb.18:
	v_mul_f64 v[14:15], s[18:19], v[2:3]
	global_store_dwordx2 v[12:13], v[14:15], off offset:128
.LBB79_19:
	s_or_b32 exec_lo, exec_lo, s5
	s_cbranch_execz .LBB79_22
.LBB79_20:
	s_endpgm
.LBB79_21:
.LBB79_22:
	s_and_saveexec_b32 s1, s0
	s_cbranch_execz .LBB79_20
; %bb.23:
	v_mul_lo_u32 v1, v11, s44
	v_mul_lo_u32 v12, v10, s45
	v_mad_u64_u32 v[14:15], null, v10, s44, 0
	v_mul_lo_u32 v18, v11, s50
	v_mul_lo_u32 v19, v10, s51
	v_mad_u64_u32 v[16:17], null, v10, s50, 0
	s_mul_i32 s0, s47, s8
	s_mul_hi_u32 s1, s46, s8
	v_add3_u32 v15, v15, v12, v1
	s_add_i32 s1, s1, s0
	s_mul_i32 s0, s46, s8
	v_add_co_u32 v12, s2, s6, v0
	v_add3_u32 v17, v17, v19, v18
	v_lshlrev_b64 v[0:1], 3, v[14:15]
	s_lshl_b64 s[0:1], s[0:1], 3
	v_add_co_ci_u32_e64 v13, null, s7, 0, s2
	v_lshlrev_b64 v[16:17], 3, v[16:17]
	s_add_u32 s0, s42, s0
	s_addc_u32 s1, s43, s1
	v_add_co_u32 v14, s0, s0, v0
	v_add_co_ci_u32_e64 v15, null, s1, v1, s0
	v_add_co_u32 v16, s0, s3, v16
	v_cmp_gt_i64_e32 vcc_lo, s[12:13], v[12:13]
	v_lshlrev_b64 v[0:1], 3, v[12:13]
	v_add_co_ci_u32_e64 v17, null, s4, v17, s0
	s_and_saveexec_b32 s1, vcc_lo
	s_cbranch_execz .LBB79_25
; %bb.24:
	v_add_co_u32 v18, s0, v14, v0
	v_add_co_ci_u32_e64 v19, null, v15, v1, s0
	global_load_dwordx2 v[18:19], v[18:19], off
	s_waitcnt vmcnt(0)
	v_mul_f64 v[18:19], s[40:41], v[18:19]
	v_fma_f64 v[8:9], s[18:19], v[8:9], v[18:19]
	v_add_co_u32 v18, s0, v16, v0
	v_add_co_ci_u32_e64 v19, null, v17, v1, s0
	global_store_dwordx2 v[18:19], v[8:9], off
.LBB79_25:
	s_or_b32 exec_lo, exec_lo, s1
	v_add_co_u32 v8, s0, v12, 16
	v_add_co_ci_u32_e64 v9, null, 0, v13, s0
	v_cmp_gt_i64_e64 s0, s[12:13], v[8:9]
	s_and_saveexec_b32 s2, s0
	s_cbranch_execz .LBB79_27
; %bb.26:
	v_add_co_u32 v8, s1, v14, v0
	v_add_co_ci_u32_e64 v9, null, v15, v1, s1
	global_load_dwordx2 v[8:9], v[8:9], off offset:128
	s_waitcnt vmcnt(0)
	v_mul_f64 v[8:9], s[40:41], v[8:9]
	v_fma_f64 v[6:7], s[18:19], v[6:7], v[8:9]
	v_add_co_u32 v8, s1, v16, v0
	v_add_co_ci_u32_e64 v9, null, v17, v1, s1
	global_store_dwordx2 v[8:9], v[6:7], off offset:128
.LBB79_27:
	s_or_b32 exec_lo, exec_lo, s2
	v_add_co_u32 v6, s1, v10, 16
	v_add_co_ci_u32_e64 v7, null, 0, v11, s1
	v_cmp_gt_i64_e64 s1, s[14:15], v[6:7]
	s_and_b32 exec_lo, exec_lo, s1
	s_cbranch_execz .LBB79_20
; %bb.28:
	s_lshl_b64 s[2:3], s[44:45], 7
	v_add_co_u32 v6, s1, v14, s2
	v_add_co_ci_u32_e64 v7, null, s3, v15, s1
	s_lshl_b64 s[2:3], s[50:51], 7
	v_add_co_u32 v8, s1, v16, s2
	v_add_co_ci_u32_e64 v9, null, s3, v17, s1
	v_add_co_u32 v6, s1, v6, v0
	v_add_co_ci_u32_e64 v7, null, v7, v1, s1
	;; [unrolled: 2-line block ×3, first 2 shown]
	s_and_saveexec_b32 s1, vcc_lo
	s_cbranch_execz .LBB79_30
; %bb.29:
	global_load_dwordx2 v[8:9], v[6:7], off
	s_waitcnt vmcnt(0)
	v_mul_f64 v[8:9], s[40:41], v[8:9]
	v_fma_f64 v[4:5], s[18:19], v[4:5], v[8:9]
	global_store_dwordx2 v[0:1], v[4:5], off
.LBB79_30:
	s_or_b32 exec_lo, exec_lo, s1
	s_and_b32 exec_lo, exec_lo, s0
	s_cbranch_execz .LBB79_20
; %bb.31:
	global_load_dwordx2 v[4:5], v[6:7], off offset:128
	s_waitcnt vmcnt(0)
	v_mul_f64 v[4:5], s[40:41], v[4:5]
	v_fma_f64 v[2:3], s[18:19], v[2:3], v[4:5]
	global_store_dwordx2 v[0:1], v[2:3], off offset:128
	s_endpgm
	.section	.rodata,"a",@progbits
	.p2align	6, 0x0
	.amdhsa_kernel _ZN12_GLOBAL__N_135rocblas_gemm_batched_general_kernelIdLi16ELi16ELi32ELi32ELi8ELi32ELi8ELi8ELi32ELc84ELc78EKdS1_dEEvlllT_PT11_llS4_llS2_PT12_llPT13_lli
		.amdhsa_group_segment_fixed_size 4096
		.amdhsa_private_segment_fixed_size 0
		.amdhsa_kernarg_size 140
		.amdhsa_user_sgpr_count 6
		.amdhsa_user_sgpr_private_segment_buffer 1
		.amdhsa_user_sgpr_dispatch_ptr 0
		.amdhsa_user_sgpr_queue_ptr 0
		.amdhsa_user_sgpr_kernarg_segment_ptr 1
		.amdhsa_user_sgpr_dispatch_id 0
		.amdhsa_user_sgpr_flat_scratch_init 0
		.amdhsa_user_sgpr_private_segment_size 0
		.amdhsa_wavefront_size32 1
		.amdhsa_uses_dynamic_stack 0
		.amdhsa_system_sgpr_private_segment_wavefront_offset 0
		.amdhsa_system_sgpr_workgroup_id_x 1
		.amdhsa_system_sgpr_workgroup_id_y 1
		.amdhsa_system_sgpr_workgroup_id_z 1
		.amdhsa_system_sgpr_workgroup_info 0
		.amdhsa_system_vgpr_workitem_id 1
		.amdhsa_next_free_vgpr 44
		.amdhsa_next_free_sgpr 52
		.amdhsa_reserve_vcc 1
		.amdhsa_reserve_flat_scratch 0
		.amdhsa_float_round_mode_32 0
		.amdhsa_float_round_mode_16_64 0
		.amdhsa_float_denorm_mode_32 3
		.amdhsa_float_denorm_mode_16_64 3
		.amdhsa_dx10_clamp 1
		.amdhsa_ieee_mode 1
		.amdhsa_fp16_overflow 0
		.amdhsa_workgroup_processor_mode 1
		.amdhsa_memory_ordered 1
		.amdhsa_forward_progress 1
		.amdhsa_shared_vgpr_count 0
		.amdhsa_exception_fp_ieee_invalid_op 0
		.amdhsa_exception_fp_denorm_src 0
		.amdhsa_exception_fp_ieee_div_zero 0
		.amdhsa_exception_fp_ieee_overflow 0
		.amdhsa_exception_fp_ieee_underflow 0
		.amdhsa_exception_fp_ieee_inexact 0
		.amdhsa_exception_int_div_zero 0
	.end_amdhsa_kernel
	.section	.text._ZN12_GLOBAL__N_135rocblas_gemm_batched_general_kernelIdLi16ELi16ELi32ELi32ELi8ELi32ELi8ELi8ELi32ELc84ELc78EKdS1_dEEvlllT_PT11_llS4_llS2_PT12_llPT13_lli,"axG",@progbits,_ZN12_GLOBAL__N_135rocblas_gemm_batched_general_kernelIdLi16ELi16ELi32ELi32ELi8ELi32ELi8ELi8ELi32ELc84ELc78EKdS1_dEEvlllT_PT11_llS4_llS2_PT12_llPT13_lli,comdat
.Lfunc_end79:
	.size	_ZN12_GLOBAL__N_135rocblas_gemm_batched_general_kernelIdLi16ELi16ELi32ELi32ELi8ELi32ELi8ELi8ELi32ELc84ELc78EKdS1_dEEvlllT_PT11_llS4_llS2_PT12_llPT13_lli, .Lfunc_end79-_ZN12_GLOBAL__N_135rocblas_gemm_batched_general_kernelIdLi16ELi16ELi32ELi32ELi8ELi32ELi8ELi8ELi32ELc84ELc78EKdS1_dEEvlllT_PT11_llS4_llS2_PT12_llPT13_lli
                                        ; -- End function
	.set _ZN12_GLOBAL__N_135rocblas_gemm_batched_general_kernelIdLi16ELi16ELi32ELi32ELi8ELi32ELi8ELi8ELi32ELc84ELc78EKdS1_dEEvlllT_PT11_llS4_llS2_PT12_llPT13_lli.num_vgpr, 44
	.set _ZN12_GLOBAL__N_135rocblas_gemm_batched_general_kernelIdLi16ELi16ELi32ELi32ELi8ELi32ELi8ELi8ELi32ELc84ELc78EKdS1_dEEvlllT_PT11_llS4_llS2_PT12_llPT13_lli.num_agpr, 0
	.set _ZN12_GLOBAL__N_135rocblas_gemm_batched_general_kernelIdLi16ELi16ELi32ELi32ELi8ELi32ELi8ELi8ELi32ELc84ELc78EKdS1_dEEvlllT_PT11_llS4_llS2_PT12_llPT13_lli.numbered_sgpr, 52
	.set _ZN12_GLOBAL__N_135rocblas_gemm_batched_general_kernelIdLi16ELi16ELi32ELi32ELi8ELi32ELi8ELi8ELi32ELc84ELc78EKdS1_dEEvlllT_PT11_llS4_llS2_PT12_llPT13_lli.num_named_barrier, 0
	.set _ZN12_GLOBAL__N_135rocblas_gemm_batched_general_kernelIdLi16ELi16ELi32ELi32ELi8ELi32ELi8ELi8ELi32ELc84ELc78EKdS1_dEEvlllT_PT11_llS4_llS2_PT12_llPT13_lli.private_seg_size, 0
	.set _ZN12_GLOBAL__N_135rocblas_gemm_batched_general_kernelIdLi16ELi16ELi32ELi32ELi8ELi32ELi8ELi8ELi32ELc84ELc78EKdS1_dEEvlllT_PT11_llS4_llS2_PT12_llPT13_lli.uses_vcc, 1
	.set _ZN12_GLOBAL__N_135rocblas_gemm_batched_general_kernelIdLi16ELi16ELi32ELi32ELi8ELi32ELi8ELi8ELi32ELc84ELc78EKdS1_dEEvlllT_PT11_llS4_llS2_PT12_llPT13_lli.uses_flat_scratch, 0
	.set _ZN12_GLOBAL__N_135rocblas_gemm_batched_general_kernelIdLi16ELi16ELi32ELi32ELi8ELi32ELi8ELi8ELi32ELc84ELc78EKdS1_dEEvlllT_PT11_llS4_llS2_PT12_llPT13_lli.has_dyn_sized_stack, 0
	.set _ZN12_GLOBAL__N_135rocblas_gemm_batched_general_kernelIdLi16ELi16ELi32ELi32ELi8ELi32ELi8ELi8ELi32ELc84ELc78EKdS1_dEEvlllT_PT11_llS4_llS2_PT12_llPT13_lli.has_recursion, 0
	.set _ZN12_GLOBAL__N_135rocblas_gemm_batched_general_kernelIdLi16ELi16ELi32ELi32ELi8ELi32ELi8ELi8ELi32ELc84ELc78EKdS1_dEEvlllT_PT11_llS4_llS2_PT12_llPT13_lli.has_indirect_call, 0
	.section	.AMDGPU.csdata,"",@progbits
; Kernel info:
; codeLenInByte = 2092
; TotalNumSgprs: 54
; NumVgprs: 44
; ScratchSize: 0
; MemoryBound: 0
; FloatMode: 240
; IeeeMode: 1
; LDSByteSize: 4096 bytes/workgroup (compile time only)
; SGPRBlocks: 0
; VGPRBlocks: 5
; NumSGPRsForWavesPerEU: 54
; NumVGPRsForWavesPerEU: 44
; Occupancy: 16
; WaveLimiterHint : 0
; COMPUTE_PGM_RSRC2:SCRATCH_EN: 0
; COMPUTE_PGM_RSRC2:USER_SGPR: 6
; COMPUTE_PGM_RSRC2:TRAP_HANDLER: 0
; COMPUTE_PGM_RSRC2:TGID_X_EN: 1
; COMPUTE_PGM_RSRC2:TGID_Y_EN: 1
; COMPUTE_PGM_RSRC2:TGID_Z_EN: 1
; COMPUTE_PGM_RSRC2:TIDIG_COMP_CNT: 1
	.section	.text._ZN12_GLOBAL__N_135rocblas_gemm_batched_general_kernelIdLi16ELi16ELi32ELi32ELi8ELi32ELi8ELi8ELi32ELc78ELc84EKdS1_dEEvlllT_PT11_llS4_llS2_PT12_llPT13_lli,"axG",@progbits,_ZN12_GLOBAL__N_135rocblas_gemm_batched_general_kernelIdLi16ELi16ELi32ELi32ELi8ELi32ELi8ELi8ELi32ELc78ELc84EKdS1_dEEvlllT_PT11_llS4_llS2_PT12_llPT13_lli,comdat
	.globl	_ZN12_GLOBAL__N_135rocblas_gemm_batched_general_kernelIdLi16ELi16ELi32ELi32ELi8ELi32ELi8ELi8ELi32ELc78ELc84EKdS1_dEEvlllT_PT11_llS4_llS2_PT12_llPT13_lli ; -- Begin function _ZN12_GLOBAL__N_135rocblas_gemm_batched_general_kernelIdLi16ELi16ELi32ELi32ELi8ELi32ELi8ELi8ELi32ELc78ELc84EKdS1_dEEvlllT_PT11_llS4_llS2_PT12_llPT13_lli
	.p2align	8
	.type	_ZN12_GLOBAL__N_135rocblas_gemm_batched_general_kernelIdLi16ELi16ELi32ELi32ELi8ELi32ELi8ELi8ELi32ELc78ELc84EKdS1_dEEvlllT_PT11_llS4_llS2_PT12_llPT13_lli,@function
_ZN12_GLOBAL__N_135rocblas_gemm_batched_general_kernelIdLi16ELi16ELi32ELi32ELi8ELi32ELi8ELi8ELi32ELc78ELc84EKdS1_dEEvlllT_PT11_llS4_llS2_PT12_llPT13_lli: ; @_ZN12_GLOBAL__N_135rocblas_gemm_batched_general_kernelIdLi16ELi16ELi32ELi32ELi8ELi32ELi8ELi8ELi32ELc78ELc84EKdS1_dEEvlllT_PT11_llS4_llS2_PT12_llPT13_lli
; %bb.0:
	s_clause 0x1
	s_load_dwordx16 s[12:27], s[4:5], 0x0
	s_load_dwordx16 s[36:51], s[4:5], 0x40
	s_mov_b32 s28, s7
	s_ashr_i32 s7, s6, 31
	s_ashr_i32 s29, s28, 31
	s_lshl_b64 s[10:11], s[6:7], 5
	s_lshl_b64 s[2:3], s[28:29], 5
	s_waitcnt lgkmcnt(0)
	v_cmp_lt_i64_e64 s0, s[16:17], 1
	s_and_b32 vcc_lo, exec_lo, s0
	s_cbranch_vccnz .LBB80_7
; %bb.1:
	v_lshl_add_u32 v9, v1, 4, v0
	v_and_b32_e32 v18, 7, v0
	v_mov_b32_e32 v3, s11
	s_mul_i32 s9, s39, s8
	s_mul_hi_u32 s30, s38, s8
	v_and_b32_e32 v6, 31, v9
	v_mad_u64_u32 v[4:5], null, s36, v18, 0
	v_lshrrev_b32_e32 v8, 3, v9
	v_lshlrev_b32_e32 v10, 3, v18
	v_or_b32_e32 v2, s10, v6
	v_lshlrev_b32_e32 v12, 3, v6
	v_lshrrev_b32_e32 v19, 5, v9
	v_add_co_u32 v6, s0, v8, s2
	v_add_co_ci_u32_e64 v7, null, 0, s3, s0
	v_cmp_gt_i64_e64 s0, s[12:13], v[2:3]
	v_mov_b32_e32 v2, v5
	v_lshl_or_b32 v5, v8, 6, v10
	v_cmp_gt_i64_e64 s1, s[14:15], v[6:7]
	v_mad_u64_u32 v[6:7], null, s22, v19, 0
	v_mad_u64_u32 v[2:3], null, s37, v18, v[2:3]
	v_add_nc_u32_e32 v21, 0x800, v5
	s_add_i32 s31, s30, s9
	s_mul_i32 s30, s38, s8
	s_lshl_b64 s[28:29], s[28:29], 8
	s_lshl_b64 s[30:31], s[30:31], 3
	v_lshl_or_b32 v20, v19, 8, v12
	v_mov_b32_e32 v5, v2
	v_mov_b32_e32 v2, v7
	s_add_u32 s9, s28, s30
	s_addc_u32 s28, s29, s31
	v_lshlrev_b32_e32 v22, 3, v0
	v_lshlrev_b64 v[3:4], 3, v[4:5]
	v_lshl_add_u32 v23, v1, 6, 0x800
	v_mad_u64_u32 v[7:8], null, s23, v19, v[2:3]
	v_add_co_u32 v2, vcc_lo, s9, v3
	v_add_co_ci_u32_e64 v3, null, s28, v4, vcc_lo
	v_and_b32_e32 v4, 0x1ff8, v9
	s_mul_i32 s9, s25, s8
	s_mul_hi_u32 s25, s24, s8
	s_mul_i32 s24, s24, s8
	s_add_i32 s25, s25, s9
	v_add_co_u32 v4, vcc_lo, v2, v4
	v_add_co_ci_u32_e64 v5, null, 0, v3, vcc_lo
	v_lshlrev_b64 v[2:3], 3, v[6:7]
	s_lshl_b64 s[24:25], s[24:25], 3
	s_lshl_b64 s[28:29], s[6:7], 8
	s_lshl_b64 s[6:7], s[36:37], 6
	s_add_u32 s9, s28, s24
	s_addc_u32 s24, s29, s25
	v_add_co_u32 v2, vcc_lo, s9, v2
	v_add_co_ci_u32_e64 v3, null, s24, v3, vcc_lo
	v_add_co_u32 v10, vcc_lo, s26, v4
	v_add_co_ci_u32_e64 v11, null, s27, v5, vcc_lo
	v_add_co_u32 v12, vcc_lo, v2, v12
	v_add_co_ci_u32_e64 v13, null, 0, v3, vcc_lo
	v_mov_b32_e32 v2, 0
	v_add_co_u32 v12, vcc_lo, s20, v12
	v_mov_b32_e32 v4, 0
	v_mov_b32_e32 v6, 0
	v_mov_b32_e32 v8, 0
	v_mov_b32_e32 v3, 0
	v_mov_b32_e32 v5, 0
	v_mov_b32_e32 v7, 0
	v_mov_b32_e32 v9, 0
	v_add_co_ci_u32_e64 v13, null, s21, v13, vcc_lo
	s_lshl_b64 s[20:21], s[22:23], 6
	s_mov_b64 s[22:23], 0
	s_branch .LBB80_3
.LBB80_2:                               ;   in Loop: Header=BB80_3 Depth=1
	s_or_b32 exec_lo, exec_lo, s9
	s_waitcnt vmcnt(0)
	ds_write_b64 v21, v[16:17]
	s_waitcnt lgkmcnt(0)
	s_barrier
	buffer_gl0_inv
	ds_read_b128 v[14:17], v23
	ds_read2_b64 v[24:27], v22 offset1:16
	ds_read_b128 v[28:31], v23 offset:1024
	ds_read_b128 v[32:35], v23 offset:16
	ds_read2_b64 v[36:39], v22 offset0:32 offset1:48
	ds_read_b128 v[40:43], v23 offset:1040
	s_add_u32 s22, s22, 8
	s_addc_u32 s23, s23, 0
	v_add_co_u32 v10, vcc_lo, v10, s6
	v_cmp_lt_i64_e64 s9, s[22:23], s[16:17]
	v_add_co_ci_u32_e64 v11, null, s7, v11, vcc_lo
	v_add_co_u32 v12, vcc_lo, v12, s20
	v_add_co_ci_u32_e64 v13, null, s21, v13, vcc_lo
	s_and_b32 vcc_lo, exec_lo, s9
	s_waitcnt lgkmcnt(4)
	v_fma_f64 v[8:9], v[24:25], v[14:15], v[8:9]
	v_fma_f64 v[6:7], v[26:27], v[14:15], v[6:7]
	s_waitcnt lgkmcnt(3)
	v_fma_f64 v[14:15], v[24:25], v[28:29], v[4:5]
	v_fma_f64 v[24:25], v[26:27], v[28:29], v[2:3]
	ds_read2_b64 v[2:5], v22 offset0:64 offset1:80
	s_waitcnt lgkmcnt(2)
	v_fma_f64 v[26:27], v[36:37], v[16:17], v[8:9]
	v_fma_f64 v[16:17], v[38:39], v[16:17], v[6:7]
	;; [unrolled: 1-line block ×4, first 2 shown]
	ds_read2_b64 v[6:9], v22 offset0:96 offset1:112
	s_waitcnt lgkmcnt(1)
	v_fma_f64 v[26:27], v[2:3], v[32:33], v[26:27]
	v_fma_f64 v[28:29], v[4:5], v[32:33], v[16:17]
	;; [unrolled: 1-line block ×4, first 2 shown]
	ds_read_b128 v[2:5], v23 offset:32
	ds_read2_b64 v[14:17], v22 offset0:128 offset1:144
	s_waitcnt lgkmcnt(2)
	v_fma_f64 v[36:37], v[6:7], v[34:35], v[26:27]
	v_fma_f64 v[38:39], v[8:9], v[34:35], v[28:29]
	v_fma_f64 v[40:41], v[6:7], v[42:43], v[30:31]
	v_fma_f64 v[42:43], v[8:9], v[42:43], v[24:25]
	ds_read_b128 v[6:9], v23 offset:1056
	ds_read_b128 v[24:27], v23 offset:48
	ds_read2_b64 v[28:31], v22 offset0:160 offset1:176
	ds_read_b128 v[32:35], v23 offset:1072
	s_waitcnt lgkmcnt(4)
	v_fma_f64 v[36:37], v[14:15], v[2:3], v[36:37]
	v_fma_f64 v[2:3], v[16:17], v[2:3], v[38:39]
	s_waitcnt lgkmcnt(3)
	v_fma_f64 v[38:39], v[14:15], v[6:7], v[40:41]
	v_fma_f64 v[6:7], v[16:17], v[6:7], v[42:43]
	ds_read2_b64 v[14:17], v22 offset0:192 offset1:208
	s_waitcnt lgkmcnt(2)
	v_fma_f64 v[36:37], v[28:29], v[4:5], v[36:37]
	v_fma_f64 v[2:3], v[30:31], v[4:5], v[2:3]
	;; [unrolled: 1-line block ×4, first 2 shown]
	ds_read2_b64 v[28:31], v22 offset0:224 offset1:240
	s_waitcnt lgkmcnt(0)
	s_barrier
	buffer_gl0_inv
	v_fma_f64 v[8:9], v[14:15], v[24:25], v[36:37]
	v_fma_f64 v[2:3], v[16:17], v[24:25], v[2:3]
	;; [unrolled: 1-line block ×8, first 2 shown]
	s_cbranch_vccz .LBB80_8
.LBB80_3:                               ; =>This Inner Loop Header: Depth=1
	v_add_co_u32 v14, s9, v19, s22
	v_add_co_ci_u32_e64 v15, null, 0, s23, s9
	v_cmp_gt_i64_e32 vcc_lo, s[16:17], v[14:15]
	v_mov_b32_e32 v14, 0
	v_mov_b32_e32 v15, 0
	s_and_b32 s24, s0, vcc_lo
	s_and_saveexec_b32 s9, s24
	s_cbranch_execz .LBB80_5
; %bb.4:                                ;   in Loop: Header=BB80_3 Depth=1
	global_load_dwordx2 v[14:15], v[12:13], off
.LBB80_5:                               ;   in Loop: Header=BB80_3 Depth=1
	s_or_b32 exec_lo, exec_lo, s9
	v_add_co_u32 v16, s9, v18, s22
	v_add_co_ci_u32_e64 v17, null, 0, s23, s9
	s_waitcnt vmcnt(0)
	ds_write_b64 v20, v[14:15]
	v_cmp_gt_i64_e32 vcc_lo, s[16:17], v[16:17]
	v_mov_b32_e32 v16, 0
	v_mov_b32_e32 v17, 0
	s_and_b32 s24, vcc_lo, s1
	s_and_saveexec_b32 s9, s24
	s_cbranch_execz .LBB80_2
; %bb.6:                                ;   in Loop: Header=BB80_3 Depth=1
	global_load_dwordx2 v[16:17], v[10:11], off
	s_branch .LBB80_2
.LBB80_7:
	v_mov_b32_e32 v8, 0
	v_mov_b32_e32 v6, 0
	;; [unrolled: 1-line block ×8, first 2 shown]
.LBB80_8:
	s_load_dwordx2 s[0:1], s[4:5], 0x80
	v_cmp_neq_f64_e64 s6, s[40:41], 0
	v_add_co_u32 v10, s2, s2, v1
	v_add_co_ci_u32_e64 v11, null, s3, 0, s2
	s_waitcnt lgkmcnt(0)
	s_mul_i32 s1, s1, s8
	s_mul_hi_u32 s2, s0, s8
	s_mul_i32 s0, s0, s8
	s_add_i32 s1, s2, s1
	s_lshl_b64 s[4:5], s[0:1], 3
	v_cmp_gt_i64_e64 s0, s[14:15], v[10:11]
	s_add_u32 s3, s48, s4
	s_addc_u32 s4, s49, s5
	s_and_b32 vcc_lo, exec_lo, s6
	s_cbranch_vccnz .LBB80_21
; %bb.9:
	s_and_saveexec_b32 s5, s0
	s_cbranch_execz .LBB80_19
; %bb.10:
	v_mul_lo_u32 v1, v11, s50
	v_mul_lo_u32 v14, v10, s51
	v_mad_u64_u32 v[12:13], null, v10, s50, 0
	v_add3_u32 v13, v13, v14, v1
	v_add_co_u32 v14, s1, s10, v0
	v_add_co_ci_u32_e64 v15, null, s11, 0, s1
	v_lshlrev_b64 v[16:17], 3, v[12:13]
	v_cmp_gt_i64_e32 vcc_lo, s[12:13], v[14:15]
	v_lshlrev_b64 v[12:13], 3, v[14:15]
	v_add_co_u32 v1, s1, s3, v16
	v_add_co_ci_u32_e64 v16, null, s4, v17, s1
	s_and_saveexec_b32 s2, vcc_lo
	s_cbranch_execz .LBB80_12
; %bb.11:
	v_mul_f64 v[17:18], s[18:19], v[8:9]
	v_add_co_u32 v19, s1, v1, v12
	v_add_co_ci_u32_e64 v20, null, v16, v13, s1
	global_store_dwordx2 v[19:20], v[17:18], off
.LBB80_12:
	s_or_b32 exec_lo, exec_lo, s2
	v_add_co_u32 v14, s1, v14, 16
	v_add_co_ci_u32_e64 v15, null, 0, v15, s1
	v_cmp_gt_i64_e64 s1, s[12:13], v[14:15]
	s_and_saveexec_b32 s6, s1
	s_cbranch_execz .LBB80_14
; %bb.13:
	v_mul_f64 v[14:15], s[18:19], v[6:7]
	v_add_co_u32 v17, s2, v1, v12
	v_add_co_ci_u32_e64 v18, null, v16, v13, s2
	global_store_dwordx2 v[17:18], v[14:15], off offset:128
.LBB80_14:
	s_or_b32 exec_lo, exec_lo, s6
	v_add_co_u32 v14, s2, v10, 16
	v_add_co_ci_u32_e64 v15, null, 0, v11, s2
	v_cmp_gt_i64_e64 s2, s[14:15], v[14:15]
	s_and_b32 exec_lo, exec_lo, s2
	s_cbranch_execz .LBB80_19
; %bb.15:
	s_lshl_b64 s[6:7], s[50:51], 7
	v_add_co_u32 v1, s2, v1, s6
	v_add_co_ci_u32_e64 v14, null, s7, v16, s2
	v_add_co_u32 v12, s2, v1, v12
	v_add_co_ci_u32_e64 v13, null, v14, v13, s2
	s_and_saveexec_b32 s2, vcc_lo
	s_cbranch_execz .LBB80_17
; %bb.16:
	v_mul_f64 v[14:15], s[18:19], v[4:5]
	global_store_dwordx2 v[12:13], v[14:15], off
.LBB80_17:
	s_or_b32 exec_lo, exec_lo, s2
	s_and_b32 exec_lo, exec_lo, s1
	s_cbranch_execz .LBB80_19
; %bb.18:
	v_mul_f64 v[14:15], s[18:19], v[2:3]
	global_store_dwordx2 v[12:13], v[14:15], off offset:128
.LBB80_19:
	s_or_b32 exec_lo, exec_lo, s5
	s_cbranch_execz .LBB80_22
.LBB80_20:
	s_endpgm
.LBB80_21:
.LBB80_22:
	s_and_saveexec_b32 s1, s0
	s_cbranch_execz .LBB80_20
; %bb.23:
	v_mul_lo_u32 v1, v11, s44
	v_mul_lo_u32 v12, v10, s45
	v_mad_u64_u32 v[14:15], null, v10, s44, 0
	v_mul_lo_u32 v18, v11, s50
	v_mul_lo_u32 v19, v10, s51
	v_mad_u64_u32 v[16:17], null, v10, s50, 0
	s_mul_i32 s0, s47, s8
	s_mul_hi_u32 s1, s46, s8
	v_add3_u32 v15, v15, v12, v1
	s_add_i32 s1, s1, s0
	s_mul_i32 s0, s46, s8
	v_add_co_u32 v12, s2, s10, v0
	v_add3_u32 v17, v17, v19, v18
	v_lshlrev_b64 v[0:1], 3, v[14:15]
	s_lshl_b64 s[0:1], s[0:1], 3
	v_add_co_ci_u32_e64 v13, null, s11, 0, s2
	v_lshlrev_b64 v[16:17], 3, v[16:17]
	s_add_u32 s0, s42, s0
	s_addc_u32 s1, s43, s1
	v_add_co_u32 v14, s0, s0, v0
	v_add_co_ci_u32_e64 v15, null, s1, v1, s0
	v_add_co_u32 v16, s0, s3, v16
	v_cmp_gt_i64_e32 vcc_lo, s[12:13], v[12:13]
	v_lshlrev_b64 v[0:1], 3, v[12:13]
	v_add_co_ci_u32_e64 v17, null, s4, v17, s0
	s_and_saveexec_b32 s1, vcc_lo
	s_cbranch_execz .LBB80_25
; %bb.24:
	v_add_co_u32 v18, s0, v14, v0
	v_add_co_ci_u32_e64 v19, null, v15, v1, s0
	global_load_dwordx2 v[18:19], v[18:19], off
	s_waitcnt vmcnt(0)
	v_mul_f64 v[18:19], s[40:41], v[18:19]
	v_fma_f64 v[8:9], s[18:19], v[8:9], v[18:19]
	v_add_co_u32 v18, s0, v16, v0
	v_add_co_ci_u32_e64 v19, null, v17, v1, s0
	global_store_dwordx2 v[18:19], v[8:9], off
.LBB80_25:
	s_or_b32 exec_lo, exec_lo, s1
	v_add_co_u32 v8, s0, v12, 16
	v_add_co_ci_u32_e64 v9, null, 0, v13, s0
	v_cmp_gt_i64_e64 s0, s[12:13], v[8:9]
	s_and_saveexec_b32 s2, s0
	s_cbranch_execz .LBB80_27
; %bb.26:
	v_add_co_u32 v8, s1, v14, v0
	v_add_co_ci_u32_e64 v9, null, v15, v1, s1
	global_load_dwordx2 v[8:9], v[8:9], off offset:128
	s_waitcnt vmcnt(0)
	v_mul_f64 v[8:9], s[40:41], v[8:9]
	v_fma_f64 v[6:7], s[18:19], v[6:7], v[8:9]
	v_add_co_u32 v8, s1, v16, v0
	v_add_co_ci_u32_e64 v9, null, v17, v1, s1
	global_store_dwordx2 v[8:9], v[6:7], off offset:128
.LBB80_27:
	s_or_b32 exec_lo, exec_lo, s2
	v_add_co_u32 v6, s1, v10, 16
	v_add_co_ci_u32_e64 v7, null, 0, v11, s1
	v_cmp_gt_i64_e64 s1, s[14:15], v[6:7]
	s_and_b32 exec_lo, exec_lo, s1
	s_cbranch_execz .LBB80_20
; %bb.28:
	s_lshl_b64 s[2:3], s[44:45], 7
	v_add_co_u32 v6, s1, v14, s2
	v_add_co_ci_u32_e64 v7, null, s3, v15, s1
	s_lshl_b64 s[2:3], s[50:51], 7
	v_add_co_u32 v8, s1, v16, s2
	v_add_co_ci_u32_e64 v9, null, s3, v17, s1
	v_add_co_u32 v6, s1, v6, v0
	v_add_co_ci_u32_e64 v7, null, v7, v1, s1
	;; [unrolled: 2-line block ×3, first 2 shown]
	s_and_saveexec_b32 s1, vcc_lo
	s_cbranch_execz .LBB80_30
; %bb.29:
	global_load_dwordx2 v[8:9], v[6:7], off
	s_waitcnt vmcnt(0)
	v_mul_f64 v[8:9], s[40:41], v[8:9]
	v_fma_f64 v[4:5], s[18:19], v[4:5], v[8:9]
	global_store_dwordx2 v[0:1], v[4:5], off
.LBB80_30:
	s_or_b32 exec_lo, exec_lo, s1
	s_and_b32 exec_lo, exec_lo, s0
	s_cbranch_execz .LBB80_20
; %bb.31:
	global_load_dwordx2 v[4:5], v[6:7], off offset:128
	s_waitcnt vmcnt(0)
	v_mul_f64 v[4:5], s[40:41], v[4:5]
	v_fma_f64 v[2:3], s[18:19], v[2:3], v[4:5]
	global_store_dwordx2 v[0:1], v[2:3], off offset:128
	s_endpgm
	.section	.rodata,"a",@progbits
	.p2align	6, 0x0
	.amdhsa_kernel _ZN12_GLOBAL__N_135rocblas_gemm_batched_general_kernelIdLi16ELi16ELi32ELi32ELi8ELi32ELi8ELi8ELi32ELc78ELc84EKdS1_dEEvlllT_PT11_llS4_llS2_PT12_llPT13_lli
		.amdhsa_group_segment_fixed_size 4096
		.amdhsa_private_segment_fixed_size 0
		.amdhsa_kernarg_size 140
		.amdhsa_user_sgpr_count 6
		.amdhsa_user_sgpr_private_segment_buffer 1
		.amdhsa_user_sgpr_dispatch_ptr 0
		.amdhsa_user_sgpr_queue_ptr 0
		.amdhsa_user_sgpr_kernarg_segment_ptr 1
		.amdhsa_user_sgpr_dispatch_id 0
		.amdhsa_user_sgpr_flat_scratch_init 0
		.amdhsa_user_sgpr_private_segment_size 0
		.amdhsa_wavefront_size32 1
		.amdhsa_uses_dynamic_stack 0
		.amdhsa_system_sgpr_private_segment_wavefront_offset 0
		.amdhsa_system_sgpr_workgroup_id_x 1
		.amdhsa_system_sgpr_workgroup_id_y 1
		.amdhsa_system_sgpr_workgroup_id_z 1
		.amdhsa_system_sgpr_workgroup_info 0
		.amdhsa_system_vgpr_workitem_id 1
		.amdhsa_next_free_vgpr 44
		.amdhsa_next_free_sgpr 52
		.amdhsa_reserve_vcc 1
		.amdhsa_reserve_flat_scratch 0
		.amdhsa_float_round_mode_32 0
		.amdhsa_float_round_mode_16_64 0
		.amdhsa_float_denorm_mode_32 3
		.amdhsa_float_denorm_mode_16_64 3
		.amdhsa_dx10_clamp 1
		.amdhsa_ieee_mode 1
		.amdhsa_fp16_overflow 0
		.amdhsa_workgroup_processor_mode 1
		.amdhsa_memory_ordered 1
		.amdhsa_forward_progress 1
		.amdhsa_shared_vgpr_count 0
		.amdhsa_exception_fp_ieee_invalid_op 0
		.amdhsa_exception_fp_denorm_src 0
		.amdhsa_exception_fp_ieee_div_zero 0
		.amdhsa_exception_fp_ieee_overflow 0
		.amdhsa_exception_fp_ieee_underflow 0
		.amdhsa_exception_fp_ieee_inexact 0
		.amdhsa_exception_int_div_zero 0
	.end_amdhsa_kernel
	.section	.text._ZN12_GLOBAL__N_135rocblas_gemm_batched_general_kernelIdLi16ELi16ELi32ELi32ELi8ELi32ELi8ELi8ELi32ELc78ELc84EKdS1_dEEvlllT_PT11_llS4_llS2_PT12_llPT13_lli,"axG",@progbits,_ZN12_GLOBAL__N_135rocblas_gemm_batched_general_kernelIdLi16ELi16ELi32ELi32ELi8ELi32ELi8ELi8ELi32ELc78ELc84EKdS1_dEEvlllT_PT11_llS4_llS2_PT12_llPT13_lli,comdat
.Lfunc_end80:
	.size	_ZN12_GLOBAL__N_135rocblas_gemm_batched_general_kernelIdLi16ELi16ELi32ELi32ELi8ELi32ELi8ELi8ELi32ELc78ELc84EKdS1_dEEvlllT_PT11_llS4_llS2_PT12_llPT13_lli, .Lfunc_end80-_ZN12_GLOBAL__N_135rocblas_gemm_batched_general_kernelIdLi16ELi16ELi32ELi32ELi8ELi32ELi8ELi8ELi32ELc78ELc84EKdS1_dEEvlllT_PT11_llS4_llS2_PT12_llPT13_lli
                                        ; -- End function
	.set _ZN12_GLOBAL__N_135rocblas_gemm_batched_general_kernelIdLi16ELi16ELi32ELi32ELi8ELi32ELi8ELi8ELi32ELc78ELc84EKdS1_dEEvlllT_PT11_llS4_llS2_PT12_llPT13_lli.num_vgpr, 44
	.set _ZN12_GLOBAL__N_135rocblas_gemm_batched_general_kernelIdLi16ELi16ELi32ELi32ELi8ELi32ELi8ELi8ELi32ELc78ELc84EKdS1_dEEvlllT_PT11_llS4_llS2_PT12_llPT13_lli.num_agpr, 0
	.set _ZN12_GLOBAL__N_135rocblas_gemm_batched_general_kernelIdLi16ELi16ELi32ELi32ELi8ELi32ELi8ELi8ELi32ELc78ELc84EKdS1_dEEvlllT_PT11_llS4_llS2_PT12_llPT13_lli.numbered_sgpr, 52
	.set _ZN12_GLOBAL__N_135rocblas_gemm_batched_general_kernelIdLi16ELi16ELi32ELi32ELi8ELi32ELi8ELi8ELi32ELc78ELc84EKdS1_dEEvlllT_PT11_llS4_llS2_PT12_llPT13_lli.num_named_barrier, 0
	.set _ZN12_GLOBAL__N_135rocblas_gemm_batched_general_kernelIdLi16ELi16ELi32ELi32ELi8ELi32ELi8ELi8ELi32ELc78ELc84EKdS1_dEEvlllT_PT11_llS4_llS2_PT12_llPT13_lli.private_seg_size, 0
	.set _ZN12_GLOBAL__N_135rocblas_gemm_batched_general_kernelIdLi16ELi16ELi32ELi32ELi8ELi32ELi8ELi8ELi32ELc78ELc84EKdS1_dEEvlllT_PT11_llS4_llS2_PT12_llPT13_lli.uses_vcc, 1
	.set _ZN12_GLOBAL__N_135rocblas_gemm_batched_general_kernelIdLi16ELi16ELi32ELi32ELi8ELi32ELi8ELi8ELi32ELc78ELc84EKdS1_dEEvlllT_PT11_llS4_llS2_PT12_llPT13_lli.uses_flat_scratch, 0
	.set _ZN12_GLOBAL__N_135rocblas_gemm_batched_general_kernelIdLi16ELi16ELi32ELi32ELi8ELi32ELi8ELi8ELi32ELc78ELc84EKdS1_dEEvlllT_PT11_llS4_llS2_PT12_llPT13_lli.has_dyn_sized_stack, 0
	.set _ZN12_GLOBAL__N_135rocblas_gemm_batched_general_kernelIdLi16ELi16ELi32ELi32ELi8ELi32ELi8ELi8ELi32ELc78ELc84EKdS1_dEEvlllT_PT11_llS4_llS2_PT12_llPT13_lli.has_recursion, 0
	.set _ZN12_GLOBAL__N_135rocblas_gemm_batched_general_kernelIdLi16ELi16ELi32ELi32ELi8ELi32ELi8ELi8ELi32ELc78ELc84EKdS1_dEEvlllT_PT11_llS4_llS2_PT12_llPT13_lli.has_indirect_call, 0
	.section	.AMDGPU.csdata,"",@progbits
; Kernel info:
; codeLenInByte = 2092
; TotalNumSgprs: 54
; NumVgprs: 44
; ScratchSize: 0
; MemoryBound: 0
; FloatMode: 240
; IeeeMode: 1
; LDSByteSize: 4096 bytes/workgroup (compile time only)
; SGPRBlocks: 0
; VGPRBlocks: 5
; NumSGPRsForWavesPerEU: 54
; NumVGPRsForWavesPerEU: 44
; Occupancy: 16
; WaveLimiterHint : 0
; COMPUTE_PGM_RSRC2:SCRATCH_EN: 0
; COMPUTE_PGM_RSRC2:USER_SGPR: 6
; COMPUTE_PGM_RSRC2:TRAP_HANDLER: 0
; COMPUTE_PGM_RSRC2:TGID_X_EN: 1
; COMPUTE_PGM_RSRC2:TGID_Y_EN: 1
; COMPUTE_PGM_RSRC2:TGID_Z_EN: 1
; COMPUTE_PGM_RSRC2:TIDIG_COMP_CNT: 1
	.section	.text._ZN12_GLOBAL__N_135rocblas_gemm_batched_general_kernelIdLi16ELi16ELi32ELi32ELi8ELi32ELi8ELi8ELi32ELc84ELc84EKdS1_dEEvlllT_PT11_llS4_llS2_PT12_llPT13_lli,"axG",@progbits,_ZN12_GLOBAL__N_135rocblas_gemm_batched_general_kernelIdLi16ELi16ELi32ELi32ELi8ELi32ELi8ELi8ELi32ELc84ELc84EKdS1_dEEvlllT_PT11_llS4_llS2_PT12_llPT13_lli,comdat
	.globl	_ZN12_GLOBAL__N_135rocblas_gemm_batched_general_kernelIdLi16ELi16ELi32ELi32ELi8ELi32ELi8ELi8ELi32ELc84ELc84EKdS1_dEEvlllT_PT11_llS4_llS2_PT12_llPT13_lli ; -- Begin function _ZN12_GLOBAL__N_135rocblas_gemm_batched_general_kernelIdLi16ELi16ELi32ELi32ELi8ELi32ELi8ELi8ELi32ELc84ELc84EKdS1_dEEvlllT_PT11_llS4_llS2_PT12_llPT13_lli
	.p2align	8
	.type	_ZN12_GLOBAL__N_135rocblas_gemm_batched_general_kernelIdLi16ELi16ELi32ELi32ELi8ELi32ELi8ELi8ELi32ELc84ELc84EKdS1_dEEvlllT_PT11_llS4_llS2_PT12_llPT13_lli,@function
_ZN12_GLOBAL__N_135rocblas_gemm_batched_general_kernelIdLi16ELi16ELi32ELi32ELi8ELi32ELi8ELi8ELi32ELc84ELc84EKdS1_dEEvlllT_PT11_llS4_llS2_PT12_llPT13_lli: ; @_ZN12_GLOBAL__N_135rocblas_gemm_batched_general_kernelIdLi16ELi16ELi32ELi32ELi8ELi32ELi8ELi8ELi32ELc84ELc84EKdS1_dEEvlllT_PT11_llS4_llS2_PT12_llPT13_lli
; %bb.0:
	s_clause 0x1
	s_load_dwordx16 s[12:27], s[4:5], 0x0
	s_load_dwordx16 s[36:51], s[4:5], 0x40
	s_mov_b32 s10, s7
	s_ashr_i32 s7, s6, 31
	s_ashr_i32 s11, s10, 31
	s_lshl_b64 s[6:7], s[6:7], 5
	s_lshl_b64 s[2:3], s[10:11], 5
	s_waitcnt lgkmcnt(0)
	v_cmp_lt_i64_e64 s0, s[16:17], 1
	s_and_b32 vcc_lo, exec_lo, s0
	s_cbranch_vccnz .LBB81_7
; %bb.1:
	v_lshl_add_u32 v8, v1, 4, v0
	v_and_b32_e32 v18, 7, v0
	v_mov_b32_e32 v3, s7
	s_mul_i32 s9, s39, s8
	s_mul_hi_u32 s28, s38, s8
	v_and_b32_e32 v9, 31, v8
	v_mad_u64_u32 v[4:5], null, s36, v18, 0
	v_lshrrev_b32_e32 v10, 3, v8
	s_lshl_b64 s[10:11], s[10:11], 8
	v_or_b32_e32 v2, s6, v9
	v_lshlrev_b32_e32 v11, 3, v18
	v_lshrrev_b32_e32 v19, 5, v8
	v_add_co_u32 v6, s0, v10, s2
	v_add_co_ci_u32_e64 v7, null, 0, s3, s0
	v_cmp_gt_i64_e64 s0, s[12:13], v[2:3]
	v_mov_b32_e32 v2, v5
	v_lshl_or_b32 v10, v10, 6, v11
	v_cmp_gt_i64_e64 s1, s[14:15], v[6:7]
	v_lshlrev_b32_e32 v12, 3, v9
	v_lshlrev_b32_e32 v22, 3, v0
	v_mad_u64_u32 v[2:3], null, s37, v18, v[2:3]
	v_add_co_u32 v3, s29, s6, v9
	v_add_co_ci_u32_e64 v6, null, s7, 0, s29
	s_add_i32 s29, s28, s9
	v_mul_lo_u32 v7, s23, v3
	v_mov_b32_e32 v5, v2
	v_mul_lo_u32 v6, s22, v6
	v_mad_u64_u32 v[2:3], null, s22, v3, 0
	s_mul_i32 s28, s38, s8
	v_lshlrev_b64 v[4:5], 3, v[4:5]
	s_lshl_b64 s[22:23], s[28:29], 3
	v_add_nc_u32_e32 v21, 0x800, v10
	s_add_u32 s9, s10, s22
	s_addc_u32 s10, s11, s23
	v_add3_u32 v3, v3, v6, v7
	v_add_co_u32 v4, vcc_lo, s9, v4
	v_and_b32_e32 v6, 0x1ff8, v8
	v_add_co_ci_u32_e64 v5, null, s10, v5, vcc_lo
	s_mul_i32 s9, s25, s8
	s_mul_hi_u32 s10, s24, s8
	v_lshlrev_b64 v[2:3], 3, v[2:3]
	s_add_i32 s11, s10, s9
	s_mul_i32 s10, s24, s8
	v_add_co_u32 v4, vcc_lo, v4, v6
	s_lshl_b64 s[10:11], s[10:11], 3
	v_add_co_ci_u32_e64 v5, null, 0, v5, vcc_lo
	v_add_co_u32 v2, vcc_lo, v2, s10
	v_lshlrev_b32_e32 v6, 3, v19
	v_add_co_ci_u32_e64 v3, null, s11, v3, vcc_lo
	v_add_co_u32 v10, vcc_lo, s26, v4
	v_lshl_or_b32 v20, v19, 8, v12
	v_add_co_ci_u32_e64 v11, null, s27, v5, vcc_lo
	v_add_co_u32 v12, vcc_lo, v2, v6
	v_add_co_ci_u32_e64 v13, null, 0, v3, vcc_lo
	v_mov_b32_e32 v2, 0
	v_add_co_u32 v12, vcc_lo, s20, v12
	v_mov_b32_e32 v4, 0
	v_mov_b32_e32 v6, 0
	;; [unrolled: 1-line block ×3, first 2 shown]
	v_lshl_add_u32 v23, v1, 6, 0x800
	v_mov_b32_e32 v3, 0
	v_mov_b32_e32 v5, 0
	;; [unrolled: 1-line block ×4, first 2 shown]
	v_add_co_ci_u32_e64 v13, null, s21, v13, vcc_lo
	s_lshl_b64 s[10:11], s[36:37], 6
	s_mov_b64 s[20:21], 0
	s_branch .LBB81_3
.LBB81_2:                               ;   in Loop: Header=BB81_3 Depth=1
	s_or_b32 exec_lo, exec_lo, s9
	s_waitcnt vmcnt(0)
	ds_write_b64 v21, v[16:17]
	s_waitcnt lgkmcnt(0)
	s_barrier
	buffer_gl0_inv
	ds_read_b128 v[14:17], v23
	ds_read2_b64 v[24:27], v22 offset1:16
	ds_read_b128 v[28:31], v23 offset:1024
	ds_read_b128 v[32:35], v23 offset:16
	ds_read2_b64 v[36:39], v22 offset0:32 offset1:48
	ds_read_b128 v[40:43], v23 offset:1040
	s_add_u32 s20, s20, 8
	s_addc_u32 s21, s21, 0
	v_add_co_u32 v10, vcc_lo, v10, s10
	v_cmp_lt_i64_e64 s9, s[20:21], s[16:17]
	v_add_co_ci_u32_e64 v11, null, s11, v11, vcc_lo
	v_add_co_u32 v12, vcc_lo, v12, 64
	v_add_co_ci_u32_e64 v13, null, 0, v13, vcc_lo
	s_and_b32 vcc_lo, exec_lo, s9
	s_waitcnt lgkmcnt(4)
	v_fma_f64 v[8:9], v[24:25], v[14:15], v[8:9]
	v_fma_f64 v[6:7], v[26:27], v[14:15], v[6:7]
	s_waitcnt lgkmcnt(3)
	v_fma_f64 v[14:15], v[24:25], v[28:29], v[4:5]
	v_fma_f64 v[24:25], v[26:27], v[28:29], v[2:3]
	ds_read2_b64 v[2:5], v22 offset0:64 offset1:80
	s_waitcnt lgkmcnt(2)
	v_fma_f64 v[26:27], v[36:37], v[16:17], v[8:9]
	v_fma_f64 v[16:17], v[38:39], v[16:17], v[6:7]
	v_fma_f64 v[14:15], v[36:37], v[30:31], v[14:15]
	v_fma_f64 v[24:25], v[38:39], v[30:31], v[24:25]
	ds_read2_b64 v[6:9], v22 offset0:96 offset1:112
	s_waitcnt lgkmcnt(1)
	v_fma_f64 v[26:27], v[2:3], v[32:33], v[26:27]
	v_fma_f64 v[28:29], v[4:5], v[32:33], v[16:17]
	;; [unrolled: 1-line block ×4, first 2 shown]
	ds_read_b128 v[2:5], v23 offset:32
	ds_read2_b64 v[14:17], v22 offset0:128 offset1:144
	s_waitcnt lgkmcnt(2)
	v_fma_f64 v[36:37], v[6:7], v[34:35], v[26:27]
	v_fma_f64 v[38:39], v[8:9], v[34:35], v[28:29]
	;; [unrolled: 1-line block ×4, first 2 shown]
	ds_read_b128 v[6:9], v23 offset:1056
	ds_read_b128 v[24:27], v23 offset:48
	ds_read2_b64 v[28:31], v22 offset0:160 offset1:176
	ds_read_b128 v[32:35], v23 offset:1072
	s_waitcnt lgkmcnt(4)
	v_fma_f64 v[36:37], v[14:15], v[2:3], v[36:37]
	v_fma_f64 v[2:3], v[16:17], v[2:3], v[38:39]
	s_waitcnt lgkmcnt(3)
	v_fma_f64 v[38:39], v[14:15], v[6:7], v[40:41]
	v_fma_f64 v[6:7], v[16:17], v[6:7], v[42:43]
	ds_read2_b64 v[14:17], v22 offset0:192 offset1:208
	s_waitcnt lgkmcnt(2)
	v_fma_f64 v[36:37], v[28:29], v[4:5], v[36:37]
	v_fma_f64 v[2:3], v[30:31], v[4:5], v[2:3]
	;; [unrolled: 1-line block ×4, first 2 shown]
	ds_read2_b64 v[28:31], v22 offset0:224 offset1:240
	s_waitcnt lgkmcnt(0)
	s_barrier
	buffer_gl0_inv
	v_fma_f64 v[8:9], v[14:15], v[24:25], v[36:37]
	v_fma_f64 v[2:3], v[16:17], v[24:25], v[2:3]
	v_fma_f64 v[4:5], v[14:15], v[32:33], v[4:5]
	v_fma_f64 v[14:15], v[16:17], v[32:33], v[6:7]
	v_fma_f64 v[8:9], v[28:29], v[26:27], v[8:9]
	v_fma_f64 v[6:7], v[30:31], v[26:27], v[2:3]
	v_fma_f64 v[4:5], v[28:29], v[34:35], v[4:5]
	v_fma_f64 v[2:3], v[30:31], v[34:35], v[14:15]
	s_cbranch_vccz .LBB81_8
.LBB81_3:                               ; =>This Inner Loop Header: Depth=1
	v_add_co_u32 v14, s9, v19, s20
	v_add_co_ci_u32_e64 v15, null, 0, s21, s9
	v_cmp_gt_i64_e32 vcc_lo, s[16:17], v[14:15]
	v_mov_b32_e32 v14, 0
	v_mov_b32_e32 v15, 0
	s_and_b32 s22, s0, vcc_lo
	s_and_saveexec_b32 s9, s22
	s_cbranch_execz .LBB81_5
; %bb.4:                                ;   in Loop: Header=BB81_3 Depth=1
	global_load_dwordx2 v[14:15], v[12:13], off
.LBB81_5:                               ;   in Loop: Header=BB81_3 Depth=1
	s_or_b32 exec_lo, exec_lo, s9
	v_add_co_u32 v16, s9, v18, s20
	v_add_co_ci_u32_e64 v17, null, 0, s21, s9
	s_waitcnt vmcnt(0)
	ds_write_b64 v20, v[14:15]
	v_cmp_gt_i64_e32 vcc_lo, s[16:17], v[16:17]
	v_mov_b32_e32 v16, 0
	v_mov_b32_e32 v17, 0
	s_and_b32 s22, vcc_lo, s1
	s_and_saveexec_b32 s9, s22
	s_cbranch_execz .LBB81_2
; %bb.6:                                ;   in Loop: Header=BB81_3 Depth=1
	global_load_dwordx2 v[16:17], v[10:11], off
	s_branch .LBB81_2
.LBB81_7:
	v_mov_b32_e32 v8, 0
	v_mov_b32_e32 v6, 0
	;; [unrolled: 1-line block ×8, first 2 shown]
.LBB81_8:
	s_load_dwordx2 s[0:1], s[4:5], 0x80
	v_cmp_neq_f64_e64 s9, s[40:41], 0
	v_add_co_u32 v10, s2, s2, v1
	v_add_co_ci_u32_e64 v11, null, s3, 0, s2
	s_waitcnt lgkmcnt(0)
	s_mul_i32 s1, s1, s8
	s_mul_hi_u32 s2, s0, s8
	s_mul_i32 s0, s0, s8
	s_add_i32 s1, s2, s1
	s_lshl_b64 s[4:5], s[0:1], 3
	v_cmp_gt_i64_e64 s0, s[14:15], v[10:11]
	s_add_u32 s3, s48, s4
	s_addc_u32 s4, s49, s5
	s_and_b32 vcc_lo, exec_lo, s9
	s_cbranch_vccnz .LBB81_21
; %bb.9:
	s_and_saveexec_b32 s5, s0
	s_cbranch_execz .LBB81_19
; %bb.10:
	v_mul_lo_u32 v1, v11, s50
	v_mul_lo_u32 v14, v10, s51
	v_mad_u64_u32 v[12:13], null, v10, s50, 0
	v_add3_u32 v13, v13, v14, v1
	v_add_co_u32 v14, s1, s6, v0
	v_add_co_ci_u32_e64 v15, null, s7, 0, s1
	v_lshlrev_b64 v[16:17], 3, v[12:13]
	v_cmp_gt_i64_e32 vcc_lo, s[12:13], v[14:15]
	v_lshlrev_b64 v[12:13], 3, v[14:15]
	v_add_co_u32 v1, s1, s3, v16
	v_add_co_ci_u32_e64 v16, null, s4, v17, s1
	s_and_saveexec_b32 s2, vcc_lo
	s_cbranch_execz .LBB81_12
; %bb.11:
	v_mul_f64 v[17:18], s[18:19], v[8:9]
	v_add_co_u32 v19, s1, v1, v12
	v_add_co_ci_u32_e64 v20, null, v16, v13, s1
	global_store_dwordx2 v[19:20], v[17:18], off
.LBB81_12:
	s_or_b32 exec_lo, exec_lo, s2
	v_add_co_u32 v14, s1, v14, 16
	v_add_co_ci_u32_e64 v15, null, 0, v15, s1
	v_cmp_gt_i64_e64 s1, s[12:13], v[14:15]
	s_and_saveexec_b32 s9, s1
	s_cbranch_execz .LBB81_14
; %bb.13:
	v_mul_f64 v[14:15], s[18:19], v[6:7]
	v_add_co_u32 v17, s2, v1, v12
	v_add_co_ci_u32_e64 v18, null, v16, v13, s2
	global_store_dwordx2 v[17:18], v[14:15], off offset:128
.LBB81_14:
	s_or_b32 exec_lo, exec_lo, s9
	v_add_co_u32 v14, s2, v10, 16
	v_add_co_ci_u32_e64 v15, null, 0, v11, s2
	v_cmp_gt_i64_e64 s2, s[14:15], v[14:15]
	s_and_b32 exec_lo, exec_lo, s2
	s_cbranch_execz .LBB81_19
; %bb.15:
	s_lshl_b64 s[10:11], s[50:51], 7
	v_add_co_u32 v1, s2, v1, s10
	v_add_co_ci_u32_e64 v14, null, s11, v16, s2
	v_add_co_u32 v12, s2, v1, v12
	v_add_co_ci_u32_e64 v13, null, v14, v13, s2
	s_and_saveexec_b32 s2, vcc_lo
	s_cbranch_execz .LBB81_17
; %bb.16:
	v_mul_f64 v[14:15], s[18:19], v[4:5]
	global_store_dwordx2 v[12:13], v[14:15], off
.LBB81_17:
	s_or_b32 exec_lo, exec_lo, s2
	s_and_b32 exec_lo, exec_lo, s1
	s_cbranch_execz .LBB81_19
; %bb.18:
	v_mul_f64 v[14:15], s[18:19], v[2:3]
	global_store_dwordx2 v[12:13], v[14:15], off offset:128
.LBB81_19:
	s_or_b32 exec_lo, exec_lo, s5
	s_cbranch_execz .LBB81_22
.LBB81_20:
	s_endpgm
.LBB81_21:
.LBB81_22:
	s_and_saveexec_b32 s1, s0
	s_cbranch_execz .LBB81_20
; %bb.23:
	v_mul_lo_u32 v1, v11, s44
	v_mul_lo_u32 v12, v10, s45
	v_mad_u64_u32 v[14:15], null, v10, s44, 0
	v_mul_lo_u32 v18, v11, s50
	v_mul_lo_u32 v19, v10, s51
	v_mad_u64_u32 v[16:17], null, v10, s50, 0
	s_mul_i32 s0, s47, s8
	s_mul_hi_u32 s1, s46, s8
	v_add3_u32 v15, v15, v12, v1
	s_add_i32 s1, s1, s0
	s_mul_i32 s0, s46, s8
	v_add_co_u32 v12, s2, s6, v0
	v_add3_u32 v17, v17, v19, v18
	v_lshlrev_b64 v[0:1], 3, v[14:15]
	s_lshl_b64 s[0:1], s[0:1], 3
	v_add_co_ci_u32_e64 v13, null, s7, 0, s2
	v_lshlrev_b64 v[16:17], 3, v[16:17]
	s_add_u32 s0, s42, s0
	s_addc_u32 s1, s43, s1
	v_add_co_u32 v14, s0, s0, v0
	v_add_co_ci_u32_e64 v15, null, s1, v1, s0
	v_add_co_u32 v16, s0, s3, v16
	v_cmp_gt_i64_e32 vcc_lo, s[12:13], v[12:13]
	v_lshlrev_b64 v[0:1], 3, v[12:13]
	v_add_co_ci_u32_e64 v17, null, s4, v17, s0
	s_and_saveexec_b32 s1, vcc_lo
	s_cbranch_execz .LBB81_25
; %bb.24:
	v_add_co_u32 v18, s0, v14, v0
	v_add_co_ci_u32_e64 v19, null, v15, v1, s0
	global_load_dwordx2 v[18:19], v[18:19], off
	s_waitcnt vmcnt(0)
	v_mul_f64 v[18:19], s[40:41], v[18:19]
	v_fma_f64 v[8:9], s[18:19], v[8:9], v[18:19]
	v_add_co_u32 v18, s0, v16, v0
	v_add_co_ci_u32_e64 v19, null, v17, v1, s0
	global_store_dwordx2 v[18:19], v[8:9], off
.LBB81_25:
	s_or_b32 exec_lo, exec_lo, s1
	v_add_co_u32 v8, s0, v12, 16
	v_add_co_ci_u32_e64 v9, null, 0, v13, s0
	v_cmp_gt_i64_e64 s0, s[12:13], v[8:9]
	s_and_saveexec_b32 s2, s0
	s_cbranch_execz .LBB81_27
; %bb.26:
	v_add_co_u32 v8, s1, v14, v0
	v_add_co_ci_u32_e64 v9, null, v15, v1, s1
	global_load_dwordx2 v[8:9], v[8:9], off offset:128
	s_waitcnt vmcnt(0)
	v_mul_f64 v[8:9], s[40:41], v[8:9]
	v_fma_f64 v[6:7], s[18:19], v[6:7], v[8:9]
	v_add_co_u32 v8, s1, v16, v0
	v_add_co_ci_u32_e64 v9, null, v17, v1, s1
	global_store_dwordx2 v[8:9], v[6:7], off offset:128
.LBB81_27:
	s_or_b32 exec_lo, exec_lo, s2
	v_add_co_u32 v6, s1, v10, 16
	v_add_co_ci_u32_e64 v7, null, 0, v11, s1
	v_cmp_gt_i64_e64 s1, s[14:15], v[6:7]
	s_and_b32 exec_lo, exec_lo, s1
	s_cbranch_execz .LBB81_20
; %bb.28:
	s_lshl_b64 s[2:3], s[44:45], 7
	v_add_co_u32 v6, s1, v14, s2
	v_add_co_ci_u32_e64 v7, null, s3, v15, s1
	s_lshl_b64 s[2:3], s[50:51], 7
	v_add_co_u32 v8, s1, v16, s2
	v_add_co_ci_u32_e64 v9, null, s3, v17, s1
	v_add_co_u32 v6, s1, v6, v0
	v_add_co_ci_u32_e64 v7, null, v7, v1, s1
	;; [unrolled: 2-line block ×3, first 2 shown]
	s_and_saveexec_b32 s1, vcc_lo
	s_cbranch_execz .LBB81_30
; %bb.29:
	global_load_dwordx2 v[8:9], v[6:7], off
	s_waitcnt vmcnt(0)
	v_mul_f64 v[8:9], s[40:41], v[8:9]
	v_fma_f64 v[4:5], s[18:19], v[4:5], v[8:9]
	global_store_dwordx2 v[0:1], v[4:5], off
.LBB81_30:
	s_or_b32 exec_lo, exec_lo, s1
	s_and_b32 exec_lo, exec_lo, s0
	s_cbranch_execz .LBB81_20
; %bb.31:
	global_load_dwordx2 v[4:5], v[6:7], off offset:128
	s_waitcnt vmcnt(0)
	v_mul_f64 v[4:5], s[40:41], v[4:5]
	v_fma_f64 v[2:3], s[18:19], v[2:3], v[4:5]
	global_store_dwordx2 v[0:1], v[2:3], off offset:128
	s_endpgm
	.section	.rodata,"a",@progbits
	.p2align	6, 0x0
	.amdhsa_kernel _ZN12_GLOBAL__N_135rocblas_gemm_batched_general_kernelIdLi16ELi16ELi32ELi32ELi8ELi32ELi8ELi8ELi32ELc84ELc84EKdS1_dEEvlllT_PT11_llS4_llS2_PT12_llPT13_lli
		.amdhsa_group_segment_fixed_size 4096
		.amdhsa_private_segment_fixed_size 0
		.amdhsa_kernarg_size 140
		.amdhsa_user_sgpr_count 6
		.amdhsa_user_sgpr_private_segment_buffer 1
		.amdhsa_user_sgpr_dispatch_ptr 0
		.amdhsa_user_sgpr_queue_ptr 0
		.amdhsa_user_sgpr_kernarg_segment_ptr 1
		.amdhsa_user_sgpr_dispatch_id 0
		.amdhsa_user_sgpr_flat_scratch_init 0
		.amdhsa_user_sgpr_private_segment_size 0
		.amdhsa_wavefront_size32 1
		.amdhsa_uses_dynamic_stack 0
		.amdhsa_system_sgpr_private_segment_wavefront_offset 0
		.amdhsa_system_sgpr_workgroup_id_x 1
		.amdhsa_system_sgpr_workgroup_id_y 1
		.amdhsa_system_sgpr_workgroup_id_z 1
		.amdhsa_system_sgpr_workgroup_info 0
		.amdhsa_system_vgpr_workitem_id 1
		.amdhsa_next_free_vgpr 44
		.amdhsa_next_free_sgpr 52
		.amdhsa_reserve_vcc 1
		.amdhsa_reserve_flat_scratch 0
		.amdhsa_float_round_mode_32 0
		.amdhsa_float_round_mode_16_64 0
		.amdhsa_float_denorm_mode_32 3
		.amdhsa_float_denorm_mode_16_64 3
		.amdhsa_dx10_clamp 1
		.amdhsa_ieee_mode 1
		.amdhsa_fp16_overflow 0
		.amdhsa_workgroup_processor_mode 1
		.amdhsa_memory_ordered 1
		.amdhsa_forward_progress 1
		.amdhsa_shared_vgpr_count 0
		.amdhsa_exception_fp_ieee_invalid_op 0
		.amdhsa_exception_fp_denorm_src 0
		.amdhsa_exception_fp_ieee_div_zero 0
		.amdhsa_exception_fp_ieee_overflow 0
		.amdhsa_exception_fp_ieee_underflow 0
		.amdhsa_exception_fp_ieee_inexact 0
		.amdhsa_exception_int_div_zero 0
	.end_amdhsa_kernel
	.section	.text._ZN12_GLOBAL__N_135rocblas_gemm_batched_general_kernelIdLi16ELi16ELi32ELi32ELi8ELi32ELi8ELi8ELi32ELc84ELc84EKdS1_dEEvlllT_PT11_llS4_llS2_PT12_llPT13_lli,"axG",@progbits,_ZN12_GLOBAL__N_135rocblas_gemm_batched_general_kernelIdLi16ELi16ELi32ELi32ELi8ELi32ELi8ELi8ELi32ELc84ELc84EKdS1_dEEvlllT_PT11_llS4_llS2_PT12_llPT13_lli,comdat
.Lfunc_end81:
	.size	_ZN12_GLOBAL__N_135rocblas_gemm_batched_general_kernelIdLi16ELi16ELi32ELi32ELi8ELi32ELi8ELi8ELi32ELc84ELc84EKdS1_dEEvlllT_PT11_llS4_llS2_PT12_llPT13_lli, .Lfunc_end81-_ZN12_GLOBAL__N_135rocblas_gemm_batched_general_kernelIdLi16ELi16ELi32ELi32ELi8ELi32ELi8ELi8ELi32ELc84ELc84EKdS1_dEEvlllT_PT11_llS4_llS2_PT12_llPT13_lli
                                        ; -- End function
	.set _ZN12_GLOBAL__N_135rocblas_gemm_batched_general_kernelIdLi16ELi16ELi32ELi32ELi8ELi32ELi8ELi8ELi32ELc84ELc84EKdS1_dEEvlllT_PT11_llS4_llS2_PT12_llPT13_lli.num_vgpr, 44
	.set _ZN12_GLOBAL__N_135rocblas_gemm_batched_general_kernelIdLi16ELi16ELi32ELi32ELi8ELi32ELi8ELi8ELi32ELc84ELc84EKdS1_dEEvlllT_PT11_llS4_llS2_PT12_llPT13_lli.num_agpr, 0
	.set _ZN12_GLOBAL__N_135rocblas_gemm_batched_general_kernelIdLi16ELi16ELi32ELi32ELi8ELi32ELi8ELi8ELi32ELc84ELc84EKdS1_dEEvlllT_PT11_llS4_llS2_PT12_llPT13_lli.numbered_sgpr, 52
	.set _ZN12_GLOBAL__N_135rocblas_gemm_batched_general_kernelIdLi16ELi16ELi32ELi32ELi8ELi32ELi8ELi8ELi32ELc84ELc84EKdS1_dEEvlllT_PT11_llS4_llS2_PT12_llPT13_lli.num_named_barrier, 0
	.set _ZN12_GLOBAL__N_135rocblas_gemm_batched_general_kernelIdLi16ELi16ELi32ELi32ELi8ELi32ELi8ELi8ELi32ELc84ELc84EKdS1_dEEvlllT_PT11_llS4_llS2_PT12_llPT13_lli.private_seg_size, 0
	.set _ZN12_GLOBAL__N_135rocblas_gemm_batched_general_kernelIdLi16ELi16ELi32ELi32ELi8ELi32ELi8ELi8ELi32ELc84ELc84EKdS1_dEEvlllT_PT11_llS4_llS2_PT12_llPT13_lli.uses_vcc, 1
	.set _ZN12_GLOBAL__N_135rocblas_gemm_batched_general_kernelIdLi16ELi16ELi32ELi32ELi8ELi32ELi8ELi8ELi32ELc84ELc84EKdS1_dEEvlllT_PT11_llS4_llS2_PT12_llPT13_lli.uses_flat_scratch, 0
	.set _ZN12_GLOBAL__N_135rocblas_gemm_batched_general_kernelIdLi16ELi16ELi32ELi32ELi8ELi32ELi8ELi8ELi32ELc84ELc84EKdS1_dEEvlllT_PT11_llS4_llS2_PT12_llPT13_lli.has_dyn_sized_stack, 0
	.set _ZN12_GLOBAL__N_135rocblas_gemm_batched_general_kernelIdLi16ELi16ELi32ELi32ELi8ELi32ELi8ELi8ELi32ELc84ELc84EKdS1_dEEvlllT_PT11_llS4_llS2_PT12_llPT13_lli.has_recursion, 0
	.set _ZN12_GLOBAL__N_135rocblas_gemm_batched_general_kernelIdLi16ELi16ELi32ELi32ELi8ELi32ELi8ELi8ELi32ELc84ELc84EKdS1_dEEvlllT_PT11_llS4_llS2_PT12_llPT13_lli.has_indirect_call, 0
	.section	.AMDGPU.csdata,"",@progbits
; Kernel info:
; codeLenInByte = 2108
; TotalNumSgprs: 54
; NumVgprs: 44
; ScratchSize: 0
; MemoryBound: 0
; FloatMode: 240
; IeeeMode: 1
; LDSByteSize: 4096 bytes/workgroup (compile time only)
; SGPRBlocks: 0
; VGPRBlocks: 5
; NumSGPRsForWavesPerEU: 54
; NumVGPRsForWavesPerEU: 44
; Occupancy: 16
; WaveLimiterHint : 0
; COMPUTE_PGM_RSRC2:SCRATCH_EN: 0
; COMPUTE_PGM_RSRC2:USER_SGPR: 6
; COMPUTE_PGM_RSRC2:TRAP_HANDLER: 0
; COMPUTE_PGM_RSRC2:TGID_X_EN: 1
; COMPUTE_PGM_RSRC2:TGID_Y_EN: 1
; COMPUTE_PGM_RSRC2:TGID_Z_EN: 1
; COMPUTE_PGM_RSRC2:TIDIG_COMP_CNT: 1
	.section	.text._ZN12_GLOBAL__N_135rocblas_gemm_batched_general_kernelIdLi16ELi16ELi32ELi32ELi8ELi32ELi8ELi8ELi32ELc67ELc67EKdS1_dEEvlllT_PT11_llS4_llS2_PT12_llPT13_lli,"axG",@progbits,_ZN12_GLOBAL__N_135rocblas_gemm_batched_general_kernelIdLi16ELi16ELi32ELi32ELi8ELi32ELi8ELi8ELi32ELc67ELc67EKdS1_dEEvlllT_PT11_llS4_llS2_PT12_llPT13_lli,comdat
	.globl	_ZN12_GLOBAL__N_135rocblas_gemm_batched_general_kernelIdLi16ELi16ELi32ELi32ELi8ELi32ELi8ELi8ELi32ELc67ELc67EKdS1_dEEvlllT_PT11_llS4_llS2_PT12_llPT13_lli ; -- Begin function _ZN12_GLOBAL__N_135rocblas_gemm_batched_general_kernelIdLi16ELi16ELi32ELi32ELi8ELi32ELi8ELi8ELi32ELc67ELc67EKdS1_dEEvlllT_PT11_llS4_llS2_PT12_llPT13_lli
	.p2align	8
	.type	_ZN12_GLOBAL__N_135rocblas_gemm_batched_general_kernelIdLi16ELi16ELi32ELi32ELi8ELi32ELi8ELi8ELi32ELc67ELc67EKdS1_dEEvlllT_PT11_llS4_llS2_PT12_llPT13_lli,@function
_ZN12_GLOBAL__N_135rocblas_gemm_batched_general_kernelIdLi16ELi16ELi32ELi32ELi8ELi32ELi8ELi8ELi32ELc67ELc67EKdS1_dEEvlllT_PT11_llS4_llS2_PT12_llPT13_lli: ; @_ZN12_GLOBAL__N_135rocblas_gemm_batched_general_kernelIdLi16ELi16ELi32ELi32ELi8ELi32ELi8ELi8ELi32ELc67ELc67EKdS1_dEEvlllT_PT11_llS4_llS2_PT12_llPT13_lli
; %bb.0:
	s_clause 0x1
	s_load_dwordx16 s[12:27], s[4:5], 0x0
	s_load_dwordx16 s[36:51], s[4:5], 0x40
	s_mov_b32 s10, s7
	s_ashr_i32 s7, s6, 31
	s_ashr_i32 s11, s10, 31
	s_lshl_b64 s[6:7], s[6:7], 5
	s_lshl_b64 s[2:3], s[10:11], 5
	s_waitcnt lgkmcnt(0)
	v_cmp_lt_i64_e64 s0, s[16:17], 1
	s_and_b32 vcc_lo, exec_lo, s0
	s_cbranch_vccnz .LBB82_7
; %bb.1:
	v_lshl_add_u32 v8, v1, 4, v0
	v_and_b32_e32 v18, 7, v0
	v_mov_b32_e32 v3, s7
	s_mul_i32 s9, s39, s8
	s_mul_hi_u32 s28, s38, s8
	v_and_b32_e32 v9, 31, v8
	v_mad_u64_u32 v[4:5], null, s36, v18, 0
	v_lshrrev_b32_e32 v10, 3, v8
	s_lshl_b64 s[10:11], s[10:11], 8
	v_or_b32_e32 v2, s6, v9
	v_lshlrev_b32_e32 v11, 3, v18
	v_lshrrev_b32_e32 v19, 5, v8
	v_add_co_u32 v6, s0, v10, s2
	v_add_co_ci_u32_e64 v7, null, 0, s3, s0
	v_cmp_gt_i64_e64 s0, s[12:13], v[2:3]
	v_mov_b32_e32 v2, v5
	v_lshl_or_b32 v10, v10, 6, v11
	v_cmp_gt_i64_e64 s1, s[14:15], v[6:7]
	v_lshlrev_b32_e32 v12, 3, v9
	v_lshlrev_b32_e32 v22, 3, v0
	v_mad_u64_u32 v[2:3], null, s37, v18, v[2:3]
	v_add_co_u32 v3, s29, s6, v9
	v_add_co_ci_u32_e64 v6, null, s7, 0, s29
	s_add_i32 s29, s28, s9
	v_mul_lo_u32 v7, s23, v3
	v_mov_b32_e32 v5, v2
	v_mul_lo_u32 v6, s22, v6
	v_mad_u64_u32 v[2:3], null, s22, v3, 0
	s_mul_i32 s28, s38, s8
	v_lshlrev_b64 v[4:5], 3, v[4:5]
	s_lshl_b64 s[22:23], s[28:29], 3
	v_add_nc_u32_e32 v21, 0x800, v10
	s_add_u32 s9, s10, s22
	s_addc_u32 s10, s11, s23
	v_add3_u32 v3, v3, v6, v7
	v_add_co_u32 v4, vcc_lo, s9, v4
	v_and_b32_e32 v6, 0x1ff8, v8
	v_add_co_ci_u32_e64 v5, null, s10, v5, vcc_lo
	s_mul_i32 s9, s25, s8
	s_mul_hi_u32 s10, s24, s8
	v_lshlrev_b64 v[2:3], 3, v[2:3]
	s_add_i32 s11, s10, s9
	s_mul_i32 s10, s24, s8
	v_add_co_u32 v4, vcc_lo, v4, v6
	s_lshl_b64 s[10:11], s[10:11], 3
	v_add_co_ci_u32_e64 v5, null, 0, v5, vcc_lo
	v_add_co_u32 v2, vcc_lo, v2, s10
	v_lshlrev_b32_e32 v6, 3, v19
	v_add_co_ci_u32_e64 v3, null, s11, v3, vcc_lo
	v_add_co_u32 v10, vcc_lo, s26, v4
	v_lshl_or_b32 v20, v19, 8, v12
	v_add_co_ci_u32_e64 v11, null, s27, v5, vcc_lo
	v_add_co_u32 v12, vcc_lo, v2, v6
	v_add_co_ci_u32_e64 v13, null, 0, v3, vcc_lo
	v_mov_b32_e32 v2, 0
	v_add_co_u32 v12, vcc_lo, s20, v12
	v_mov_b32_e32 v4, 0
	v_mov_b32_e32 v6, 0
	;; [unrolled: 1-line block ×3, first 2 shown]
	v_lshl_add_u32 v23, v1, 6, 0x800
	v_mov_b32_e32 v3, 0
	v_mov_b32_e32 v5, 0
	;; [unrolled: 1-line block ×4, first 2 shown]
	v_add_co_ci_u32_e64 v13, null, s21, v13, vcc_lo
	s_lshl_b64 s[10:11], s[36:37], 6
	s_mov_b64 s[20:21], 0
	s_branch .LBB82_3
.LBB82_2:                               ;   in Loop: Header=BB82_3 Depth=1
	s_or_b32 exec_lo, exec_lo, s9
	s_waitcnt vmcnt(0)
	ds_write_b64 v21, v[16:17]
	s_waitcnt lgkmcnt(0)
	s_barrier
	buffer_gl0_inv
	ds_read_b128 v[14:17], v23
	ds_read2_b64 v[24:27], v22 offset1:16
	ds_read_b128 v[28:31], v23 offset:1024
	ds_read_b128 v[32:35], v23 offset:16
	ds_read2_b64 v[36:39], v22 offset0:32 offset1:48
	ds_read_b128 v[40:43], v23 offset:1040
	s_add_u32 s20, s20, 8
	s_addc_u32 s21, s21, 0
	v_add_co_u32 v10, vcc_lo, v10, s10
	v_cmp_lt_i64_e64 s9, s[20:21], s[16:17]
	v_add_co_ci_u32_e64 v11, null, s11, v11, vcc_lo
	v_add_co_u32 v12, vcc_lo, v12, 64
	v_add_co_ci_u32_e64 v13, null, 0, v13, vcc_lo
	s_and_b32 vcc_lo, exec_lo, s9
	s_waitcnt lgkmcnt(4)
	v_fma_f64 v[8:9], v[24:25], v[14:15], v[8:9]
	v_fma_f64 v[6:7], v[26:27], v[14:15], v[6:7]
	s_waitcnt lgkmcnt(3)
	v_fma_f64 v[14:15], v[24:25], v[28:29], v[4:5]
	v_fma_f64 v[24:25], v[26:27], v[28:29], v[2:3]
	ds_read2_b64 v[2:5], v22 offset0:64 offset1:80
	s_waitcnt lgkmcnt(2)
	v_fma_f64 v[26:27], v[36:37], v[16:17], v[8:9]
	v_fma_f64 v[16:17], v[38:39], v[16:17], v[6:7]
	;; [unrolled: 1-line block ×4, first 2 shown]
	ds_read2_b64 v[6:9], v22 offset0:96 offset1:112
	s_waitcnt lgkmcnt(1)
	v_fma_f64 v[26:27], v[2:3], v[32:33], v[26:27]
	v_fma_f64 v[28:29], v[4:5], v[32:33], v[16:17]
	;; [unrolled: 1-line block ×4, first 2 shown]
	ds_read_b128 v[2:5], v23 offset:32
	ds_read2_b64 v[14:17], v22 offset0:128 offset1:144
	s_waitcnt lgkmcnt(2)
	v_fma_f64 v[36:37], v[6:7], v[34:35], v[26:27]
	v_fma_f64 v[38:39], v[8:9], v[34:35], v[28:29]
	;; [unrolled: 1-line block ×4, first 2 shown]
	ds_read_b128 v[6:9], v23 offset:1056
	ds_read_b128 v[24:27], v23 offset:48
	ds_read2_b64 v[28:31], v22 offset0:160 offset1:176
	ds_read_b128 v[32:35], v23 offset:1072
	s_waitcnt lgkmcnt(4)
	v_fma_f64 v[36:37], v[14:15], v[2:3], v[36:37]
	v_fma_f64 v[2:3], v[16:17], v[2:3], v[38:39]
	s_waitcnt lgkmcnt(3)
	v_fma_f64 v[38:39], v[14:15], v[6:7], v[40:41]
	v_fma_f64 v[6:7], v[16:17], v[6:7], v[42:43]
	ds_read2_b64 v[14:17], v22 offset0:192 offset1:208
	s_waitcnt lgkmcnt(2)
	v_fma_f64 v[36:37], v[28:29], v[4:5], v[36:37]
	v_fma_f64 v[2:3], v[30:31], v[4:5], v[2:3]
	;; [unrolled: 1-line block ×4, first 2 shown]
	ds_read2_b64 v[28:31], v22 offset0:224 offset1:240
	s_waitcnt lgkmcnt(0)
	s_barrier
	buffer_gl0_inv
	v_fma_f64 v[8:9], v[14:15], v[24:25], v[36:37]
	v_fma_f64 v[2:3], v[16:17], v[24:25], v[2:3]
	;; [unrolled: 1-line block ×8, first 2 shown]
	s_cbranch_vccz .LBB82_8
.LBB82_3:                               ; =>This Inner Loop Header: Depth=1
	v_add_co_u32 v14, s9, v19, s20
	v_add_co_ci_u32_e64 v15, null, 0, s21, s9
	v_cmp_gt_i64_e32 vcc_lo, s[16:17], v[14:15]
	v_mov_b32_e32 v14, 0
	v_mov_b32_e32 v15, 0
	s_and_b32 s22, s0, vcc_lo
	s_and_saveexec_b32 s9, s22
	s_cbranch_execz .LBB82_5
; %bb.4:                                ;   in Loop: Header=BB82_3 Depth=1
	global_load_dwordx2 v[14:15], v[12:13], off
.LBB82_5:                               ;   in Loop: Header=BB82_3 Depth=1
	s_or_b32 exec_lo, exec_lo, s9
	v_add_co_u32 v16, s9, v18, s20
	v_add_co_ci_u32_e64 v17, null, 0, s21, s9
	s_waitcnt vmcnt(0)
	ds_write_b64 v20, v[14:15]
	v_cmp_gt_i64_e32 vcc_lo, s[16:17], v[16:17]
	v_mov_b32_e32 v16, 0
	v_mov_b32_e32 v17, 0
	s_and_b32 s22, vcc_lo, s1
	s_and_saveexec_b32 s9, s22
	s_cbranch_execz .LBB82_2
; %bb.6:                                ;   in Loop: Header=BB82_3 Depth=1
	global_load_dwordx2 v[16:17], v[10:11], off
	s_branch .LBB82_2
.LBB82_7:
	v_mov_b32_e32 v8, 0
	v_mov_b32_e32 v6, 0
	;; [unrolled: 1-line block ×8, first 2 shown]
.LBB82_8:
	s_load_dwordx2 s[0:1], s[4:5], 0x80
	v_cmp_neq_f64_e64 s9, s[40:41], 0
	v_add_co_u32 v10, s2, s2, v1
	v_add_co_ci_u32_e64 v11, null, s3, 0, s2
	s_waitcnt lgkmcnt(0)
	s_mul_i32 s1, s1, s8
	s_mul_hi_u32 s2, s0, s8
	s_mul_i32 s0, s0, s8
	s_add_i32 s1, s2, s1
	s_lshl_b64 s[4:5], s[0:1], 3
	v_cmp_gt_i64_e64 s0, s[14:15], v[10:11]
	s_add_u32 s3, s48, s4
	s_addc_u32 s4, s49, s5
	s_and_b32 vcc_lo, exec_lo, s9
	s_cbranch_vccnz .LBB82_21
; %bb.9:
	s_and_saveexec_b32 s5, s0
	s_cbranch_execz .LBB82_19
; %bb.10:
	v_mul_lo_u32 v1, v11, s50
	v_mul_lo_u32 v14, v10, s51
	v_mad_u64_u32 v[12:13], null, v10, s50, 0
	v_add3_u32 v13, v13, v14, v1
	v_add_co_u32 v14, s1, s6, v0
	v_add_co_ci_u32_e64 v15, null, s7, 0, s1
	v_lshlrev_b64 v[16:17], 3, v[12:13]
	v_cmp_gt_i64_e32 vcc_lo, s[12:13], v[14:15]
	v_lshlrev_b64 v[12:13], 3, v[14:15]
	v_add_co_u32 v1, s1, s3, v16
	v_add_co_ci_u32_e64 v16, null, s4, v17, s1
	s_and_saveexec_b32 s2, vcc_lo
	s_cbranch_execz .LBB82_12
; %bb.11:
	v_mul_f64 v[17:18], s[18:19], v[8:9]
	v_add_co_u32 v19, s1, v1, v12
	v_add_co_ci_u32_e64 v20, null, v16, v13, s1
	global_store_dwordx2 v[19:20], v[17:18], off
.LBB82_12:
	s_or_b32 exec_lo, exec_lo, s2
	v_add_co_u32 v14, s1, v14, 16
	v_add_co_ci_u32_e64 v15, null, 0, v15, s1
	v_cmp_gt_i64_e64 s1, s[12:13], v[14:15]
	s_and_saveexec_b32 s9, s1
	s_cbranch_execz .LBB82_14
; %bb.13:
	v_mul_f64 v[14:15], s[18:19], v[6:7]
	v_add_co_u32 v17, s2, v1, v12
	v_add_co_ci_u32_e64 v18, null, v16, v13, s2
	global_store_dwordx2 v[17:18], v[14:15], off offset:128
.LBB82_14:
	s_or_b32 exec_lo, exec_lo, s9
	v_add_co_u32 v14, s2, v10, 16
	v_add_co_ci_u32_e64 v15, null, 0, v11, s2
	v_cmp_gt_i64_e64 s2, s[14:15], v[14:15]
	s_and_b32 exec_lo, exec_lo, s2
	s_cbranch_execz .LBB82_19
; %bb.15:
	s_lshl_b64 s[10:11], s[50:51], 7
	v_add_co_u32 v1, s2, v1, s10
	v_add_co_ci_u32_e64 v14, null, s11, v16, s2
	v_add_co_u32 v12, s2, v1, v12
	v_add_co_ci_u32_e64 v13, null, v14, v13, s2
	s_and_saveexec_b32 s2, vcc_lo
	s_cbranch_execz .LBB82_17
; %bb.16:
	v_mul_f64 v[14:15], s[18:19], v[4:5]
	global_store_dwordx2 v[12:13], v[14:15], off
.LBB82_17:
	s_or_b32 exec_lo, exec_lo, s2
	s_and_b32 exec_lo, exec_lo, s1
	s_cbranch_execz .LBB82_19
; %bb.18:
	v_mul_f64 v[14:15], s[18:19], v[2:3]
	global_store_dwordx2 v[12:13], v[14:15], off offset:128
.LBB82_19:
	s_or_b32 exec_lo, exec_lo, s5
	s_cbranch_execz .LBB82_22
.LBB82_20:
	s_endpgm
.LBB82_21:
.LBB82_22:
	s_and_saveexec_b32 s1, s0
	s_cbranch_execz .LBB82_20
; %bb.23:
	v_mul_lo_u32 v1, v11, s44
	v_mul_lo_u32 v12, v10, s45
	v_mad_u64_u32 v[14:15], null, v10, s44, 0
	v_mul_lo_u32 v18, v11, s50
	v_mul_lo_u32 v19, v10, s51
	v_mad_u64_u32 v[16:17], null, v10, s50, 0
	s_mul_i32 s0, s47, s8
	s_mul_hi_u32 s1, s46, s8
	v_add3_u32 v15, v15, v12, v1
	s_add_i32 s1, s1, s0
	s_mul_i32 s0, s46, s8
	v_add_co_u32 v12, s2, s6, v0
	v_add3_u32 v17, v17, v19, v18
	v_lshlrev_b64 v[0:1], 3, v[14:15]
	s_lshl_b64 s[0:1], s[0:1], 3
	v_add_co_ci_u32_e64 v13, null, s7, 0, s2
	v_lshlrev_b64 v[16:17], 3, v[16:17]
	s_add_u32 s0, s42, s0
	s_addc_u32 s1, s43, s1
	v_add_co_u32 v14, s0, s0, v0
	v_add_co_ci_u32_e64 v15, null, s1, v1, s0
	v_add_co_u32 v16, s0, s3, v16
	v_cmp_gt_i64_e32 vcc_lo, s[12:13], v[12:13]
	v_lshlrev_b64 v[0:1], 3, v[12:13]
	v_add_co_ci_u32_e64 v17, null, s4, v17, s0
	s_and_saveexec_b32 s1, vcc_lo
	s_cbranch_execz .LBB82_25
; %bb.24:
	v_add_co_u32 v18, s0, v14, v0
	v_add_co_ci_u32_e64 v19, null, v15, v1, s0
	global_load_dwordx2 v[18:19], v[18:19], off
	s_waitcnt vmcnt(0)
	v_mul_f64 v[18:19], s[40:41], v[18:19]
	v_fma_f64 v[8:9], s[18:19], v[8:9], v[18:19]
	v_add_co_u32 v18, s0, v16, v0
	v_add_co_ci_u32_e64 v19, null, v17, v1, s0
	global_store_dwordx2 v[18:19], v[8:9], off
.LBB82_25:
	s_or_b32 exec_lo, exec_lo, s1
	v_add_co_u32 v8, s0, v12, 16
	v_add_co_ci_u32_e64 v9, null, 0, v13, s0
	v_cmp_gt_i64_e64 s0, s[12:13], v[8:9]
	s_and_saveexec_b32 s2, s0
	s_cbranch_execz .LBB82_27
; %bb.26:
	v_add_co_u32 v8, s1, v14, v0
	v_add_co_ci_u32_e64 v9, null, v15, v1, s1
	global_load_dwordx2 v[8:9], v[8:9], off offset:128
	s_waitcnt vmcnt(0)
	v_mul_f64 v[8:9], s[40:41], v[8:9]
	v_fma_f64 v[6:7], s[18:19], v[6:7], v[8:9]
	v_add_co_u32 v8, s1, v16, v0
	v_add_co_ci_u32_e64 v9, null, v17, v1, s1
	global_store_dwordx2 v[8:9], v[6:7], off offset:128
.LBB82_27:
	s_or_b32 exec_lo, exec_lo, s2
	v_add_co_u32 v6, s1, v10, 16
	v_add_co_ci_u32_e64 v7, null, 0, v11, s1
	v_cmp_gt_i64_e64 s1, s[14:15], v[6:7]
	s_and_b32 exec_lo, exec_lo, s1
	s_cbranch_execz .LBB82_20
; %bb.28:
	s_lshl_b64 s[2:3], s[44:45], 7
	v_add_co_u32 v6, s1, v14, s2
	v_add_co_ci_u32_e64 v7, null, s3, v15, s1
	s_lshl_b64 s[2:3], s[50:51], 7
	v_add_co_u32 v8, s1, v16, s2
	v_add_co_ci_u32_e64 v9, null, s3, v17, s1
	v_add_co_u32 v6, s1, v6, v0
	v_add_co_ci_u32_e64 v7, null, v7, v1, s1
	;; [unrolled: 2-line block ×3, first 2 shown]
	s_and_saveexec_b32 s1, vcc_lo
	s_cbranch_execz .LBB82_30
; %bb.29:
	global_load_dwordx2 v[8:9], v[6:7], off
	s_waitcnt vmcnt(0)
	v_mul_f64 v[8:9], s[40:41], v[8:9]
	v_fma_f64 v[4:5], s[18:19], v[4:5], v[8:9]
	global_store_dwordx2 v[0:1], v[4:5], off
.LBB82_30:
	s_or_b32 exec_lo, exec_lo, s1
	s_and_b32 exec_lo, exec_lo, s0
	s_cbranch_execz .LBB82_20
; %bb.31:
	global_load_dwordx2 v[4:5], v[6:7], off offset:128
	s_waitcnt vmcnt(0)
	v_mul_f64 v[4:5], s[40:41], v[4:5]
	v_fma_f64 v[2:3], s[18:19], v[2:3], v[4:5]
	global_store_dwordx2 v[0:1], v[2:3], off offset:128
	s_endpgm
	.section	.rodata,"a",@progbits
	.p2align	6, 0x0
	.amdhsa_kernel _ZN12_GLOBAL__N_135rocblas_gemm_batched_general_kernelIdLi16ELi16ELi32ELi32ELi8ELi32ELi8ELi8ELi32ELc67ELc67EKdS1_dEEvlllT_PT11_llS4_llS2_PT12_llPT13_lli
		.amdhsa_group_segment_fixed_size 4096
		.amdhsa_private_segment_fixed_size 0
		.amdhsa_kernarg_size 140
		.amdhsa_user_sgpr_count 6
		.amdhsa_user_sgpr_private_segment_buffer 1
		.amdhsa_user_sgpr_dispatch_ptr 0
		.amdhsa_user_sgpr_queue_ptr 0
		.amdhsa_user_sgpr_kernarg_segment_ptr 1
		.amdhsa_user_sgpr_dispatch_id 0
		.amdhsa_user_sgpr_flat_scratch_init 0
		.amdhsa_user_sgpr_private_segment_size 0
		.amdhsa_wavefront_size32 1
		.amdhsa_uses_dynamic_stack 0
		.amdhsa_system_sgpr_private_segment_wavefront_offset 0
		.amdhsa_system_sgpr_workgroup_id_x 1
		.amdhsa_system_sgpr_workgroup_id_y 1
		.amdhsa_system_sgpr_workgroup_id_z 1
		.amdhsa_system_sgpr_workgroup_info 0
		.amdhsa_system_vgpr_workitem_id 1
		.amdhsa_next_free_vgpr 44
		.amdhsa_next_free_sgpr 52
		.amdhsa_reserve_vcc 1
		.amdhsa_reserve_flat_scratch 0
		.amdhsa_float_round_mode_32 0
		.amdhsa_float_round_mode_16_64 0
		.amdhsa_float_denorm_mode_32 3
		.amdhsa_float_denorm_mode_16_64 3
		.amdhsa_dx10_clamp 1
		.amdhsa_ieee_mode 1
		.amdhsa_fp16_overflow 0
		.amdhsa_workgroup_processor_mode 1
		.amdhsa_memory_ordered 1
		.amdhsa_forward_progress 1
		.amdhsa_shared_vgpr_count 0
		.amdhsa_exception_fp_ieee_invalid_op 0
		.amdhsa_exception_fp_denorm_src 0
		.amdhsa_exception_fp_ieee_div_zero 0
		.amdhsa_exception_fp_ieee_overflow 0
		.amdhsa_exception_fp_ieee_underflow 0
		.amdhsa_exception_fp_ieee_inexact 0
		.amdhsa_exception_int_div_zero 0
	.end_amdhsa_kernel
	.section	.text._ZN12_GLOBAL__N_135rocblas_gemm_batched_general_kernelIdLi16ELi16ELi32ELi32ELi8ELi32ELi8ELi8ELi32ELc67ELc67EKdS1_dEEvlllT_PT11_llS4_llS2_PT12_llPT13_lli,"axG",@progbits,_ZN12_GLOBAL__N_135rocblas_gemm_batched_general_kernelIdLi16ELi16ELi32ELi32ELi8ELi32ELi8ELi8ELi32ELc67ELc67EKdS1_dEEvlllT_PT11_llS4_llS2_PT12_llPT13_lli,comdat
.Lfunc_end82:
	.size	_ZN12_GLOBAL__N_135rocblas_gemm_batched_general_kernelIdLi16ELi16ELi32ELi32ELi8ELi32ELi8ELi8ELi32ELc67ELc67EKdS1_dEEvlllT_PT11_llS4_llS2_PT12_llPT13_lli, .Lfunc_end82-_ZN12_GLOBAL__N_135rocblas_gemm_batched_general_kernelIdLi16ELi16ELi32ELi32ELi8ELi32ELi8ELi8ELi32ELc67ELc67EKdS1_dEEvlllT_PT11_llS4_llS2_PT12_llPT13_lli
                                        ; -- End function
	.set _ZN12_GLOBAL__N_135rocblas_gemm_batched_general_kernelIdLi16ELi16ELi32ELi32ELi8ELi32ELi8ELi8ELi32ELc67ELc67EKdS1_dEEvlllT_PT11_llS4_llS2_PT12_llPT13_lli.num_vgpr, 44
	.set _ZN12_GLOBAL__N_135rocblas_gemm_batched_general_kernelIdLi16ELi16ELi32ELi32ELi8ELi32ELi8ELi8ELi32ELc67ELc67EKdS1_dEEvlllT_PT11_llS4_llS2_PT12_llPT13_lli.num_agpr, 0
	.set _ZN12_GLOBAL__N_135rocblas_gemm_batched_general_kernelIdLi16ELi16ELi32ELi32ELi8ELi32ELi8ELi8ELi32ELc67ELc67EKdS1_dEEvlllT_PT11_llS4_llS2_PT12_llPT13_lli.numbered_sgpr, 52
	.set _ZN12_GLOBAL__N_135rocblas_gemm_batched_general_kernelIdLi16ELi16ELi32ELi32ELi8ELi32ELi8ELi8ELi32ELc67ELc67EKdS1_dEEvlllT_PT11_llS4_llS2_PT12_llPT13_lli.num_named_barrier, 0
	.set _ZN12_GLOBAL__N_135rocblas_gemm_batched_general_kernelIdLi16ELi16ELi32ELi32ELi8ELi32ELi8ELi8ELi32ELc67ELc67EKdS1_dEEvlllT_PT11_llS4_llS2_PT12_llPT13_lli.private_seg_size, 0
	.set _ZN12_GLOBAL__N_135rocblas_gemm_batched_general_kernelIdLi16ELi16ELi32ELi32ELi8ELi32ELi8ELi8ELi32ELc67ELc67EKdS1_dEEvlllT_PT11_llS4_llS2_PT12_llPT13_lli.uses_vcc, 1
	.set _ZN12_GLOBAL__N_135rocblas_gemm_batched_general_kernelIdLi16ELi16ELi32ELi32ELi8ELi32ELi8ELi8ELi32ELc67ELc67EKdS1_dEEvlllT_PT11_llS4_llS2_PT12_llPT13_lli.uses_flat_scratch, 0
	.set _ZN12_GLOBAL__N_135rocblas_gemm_batched_general_kernelIdLi16ELi16ELi32ELi32ELi8ELi32ELi8ELi8ELi32ELc67ELc67EKdS1_dEEvlllT_PT11_llS4_llS2_PT12_llPT13_lli.has_dyn_sized_stack, 0
	.set _ZN12_GLOBAL__N_135rocblas_gemm_batched_general_kernelIdLi16ELi16ELi32ELi32ELi8ELi32ELi8ELi8ELi32ELc67ELc67EKdS1_dEEvlllT_PT11_llS4_llS2_PT12_llPT13_lli.has_recursion, 0
	.set _ZN12_GLOBAL__N_135rocblas_gemm_batched_general_kernelIdLi16ELi16ELi32ELi32ELi8ELi32ELi8ELi8ELi32ELc67ELc67EKdS1_dEEvlllT_PT11_llS4_llS2_PT12_llPT13_lli.has_indirect_call, 0
	.section	.AMDGPU.csdata,"",@progbits
; Kernel info:
; codeLenInByte = 2108
; TotalNumSgprs: 54
; NumVgprs: 44
; ScratchSize: 0
; MemoryBound: 0
; FloatMode: 240
; IeeeMode: 1
; LDSByteSize: 4096 bytes/workgroup (compile time only)
; SGPRBlocks: 0
; VGPRBlocks: 5
; NumSGPRsForWavesPerEU: 54
; NumVGPRsForWavesPerEU: 44
; Occupancy: 16
; WaveLimiterHint : 0
; COMPUTE_PGM_RSRC2:SCRATCH_EN: 0
; COMPUTE_PGM_RSRC2:USER_SGPR: 6
; COMPUTE_PGM_RSRC2:TRAP_HANDLER: 0
; COMPUTE_PGM_RSRC2:TGID_X_EN: 1
; COMPUTE_PGM_RSRC2:TGID_Y_EN: 1
; COMPUTE_PGM_RSRC2:TGID_Z_EN: 1
; COMPUTE_PGM_RSRC2:TIDIG_COMP_CNT: 1
	.section	.text._ZN12_GLOBAL__N_135rocblas_gemm_batched_general_kernelIdLi16ELi16ELi32ELi32ELi8ELi32ELi8ELi8ELi32ELc67ELc78EKdS1_dEEvlllT_PT11_llS4_llS2_PT12_llPT13_lli,"axG",@progbits,_ZN12_GLOBAL__N_135rocblas_gemm_batched_general_kernelIdLi16ELi16ELi32ELi32ELi8ELi32ELi8ELi8ELi32ELc67ELc78EKdS1_dEEvlllT_PT11_llS4_llS2_PT12_llPT13_lli,comdat
	.globl	_ZN12_GLOBAL__N_135rocblas_gemm_batched_general_kernelIdLi16ELi16ELi32ELi32ELi8ELi32ELi8ELi8ELi32ELc67ELc78EKdS1_dEEvlllT_PT11_llS4_llS2_PT12_llPT13_lli ; -- Begin function _ZN12_GLOBAL__N_135rocblas_gemm_batched_general_kernelIdLi16ELi16ELi32ELi32ELi8ELi32ELi8ELi8ELi32ELc67ELc78EKdS1_dEEvlllT_PT11_llS4_llS2_PT12_llPT13_lli
	.p2align	8
	.type	_ZN12_GLOBAL__N_135rocblas_gemm_batched_general_kernelIdLi16ELi16ELi32ELi32ELi8ELi32ELi8ELi8ELi32ELc67ELc78EKdS1_dEEvlllT_PT11_llS4_llS2_PT12_llPT13_lli,@function
_ZN12_GLOBAL__N_135rocblas_gemm_batched_general_kernelIdLi16ELi16ELi32ELi32ELi8ELi32ELi8ELi8ELi32ELc67ELc78EKdS1_dEEvlllT_PT11_llS4_llS2_PT12_llPT13_lli: ; @_ZN12_GLOBAL__N_135rocblas_gemm_batched_general_kernelIdLi16ELi16ELi32ELi32ELi8ELi32ELi8ELi8ELi32ELc67ELc78EKdS1_dEEvlllT_PT11_llS4_llS2_PT12_llPT13_lli
; %bb.0:
	s_clause 0x1
	s_load_dwordx16 s[12:27], s[4:5], 0x0
	s_load_dwordx16 s[36:51], s[4:5], 0x40
	s_mov_b32 s0, s7
	s_ashr_i32 s7, s6, 31
	s_ashr_i32 s1, s0, 31
	s_lshl_b64 s[6:7], s[6:7], 5
	s_waitcnt lgkmcnt(0)
	v_cmp_lt_i64_e64 s2, s[16:17], 1
	s_and_b32 vcc_lo, exec_lo, s2
	s_lshl_b64 s[2:3], s[0:1], 5
	s_cbranch_vccnz .LBB83_7
; %bb.1:
	v_lshl_add_u32 v2, v1, 4, v0
	v_and_b32_e32 v18, 7, v0
	v_mov_b32_e32 v3, s7
	s_mul_hi_u32 s10, s38, s8
	v_lshlrev_b32_e32 v22, 3, v0
	v_lshrrev_b32_e32 v7, 3, v2
	v_and_b32_e32 v6, 31, v2
	v_lshrrev_b32_e32 v19, 5, v2
	v_lshlrev_b32_e32 v9, 3, v18
	v_lshl_add_u32 v23, v1, 6, 0x800
	v_add_co_u32 v4, s0, v7, s2
	v_or_b32_e32 v2, s6, v6
	v_lshlrev_b32_e32 v8, 3, v6
	v_add_co_ci_u32_e64 v5, null, 0, s3, s0
	v_add_co_u32 v6, s9, s6, v6
	v_cmp_gt_i64_e64 s0, s[12:13], v[2:3]
	v_lshl_or_b32 v20, v19, 8, v8
	v_cmp_gt_i64_e64 s1, s[14:15], v[4:5]
	v_mul_lo_u32 v8, s37, v4
	v_mul_lo_u32 v5, s36, v5
	v_mad_u64_u32 v[2:3], null, s36, v4, 0
	v_lshl_or_b32 v4, v7, 6, v9
	v_add_co_ci_u32_e64 v7, null, s7, 0, s9
	s_mul_i32 s9, s39, s8
	v_add_nc_u32_e32 v21, 0x800, v4
	v_add3_u32 v3, v3, v5, v8
	v_mul_lo_u32 v8, s23, v6
	v_mul_lo_u32 v7, s22, v7
	v_mad_u64_u32 v[4:5], null, s22, v6, 0
	v_lshlrev_b64 v[2:3], 3, v[2:3]
	s_add_i32 s11, s10, s9
	s_mul_i32 s10, s38, s8
	s_mul_i32 s9, s25, s8
	s_lshl_b64 s[10:11], s[10:11], 3
	v_add3_u32 v5, v5, v7, v8
	v_add_co_u32 v6, vcc_lo, v2, s10
	v_add_co_ci_u32_e64 v7, null, s11, v3, vcc_lo
	s_mul_hi_u32 s10, s24, s8
	v_lshlrev_b64 v[2:3], 3, v[4:5]
	s_add_i32 s11, s10, s9
	s_mul_i32 s10, s24, s8
	v_add_co_u32 v4, vcc_lo, v6, v9
	s_lshl_b64 s[10:11], s[10:11], 3
	v_add_co_ci_u32_e64 v5, null, 0, v7, vcc_lo
	v_add_co_u32 v2, vcc_lo, v2, s10
	v_lshlrev_b32_e32 v6, 3, v19
	v_add_co_ci_u32_e64 v3, null, s11, v3, vcc_lo
	v_add_co_u32 v10, vcc_lo, s26, v4
	v_add_co_ci_u32_e64 v11, null, s27, v5, vcc_lo
	v_add_co_u32 v12, vcc_lo, v2, v6
	v_add_co_ci_u32_e64 v13, null, 0, v3, vcc_lo
	v_mov_b32_e32 v2, 0
	v_add_co_u32 v12, vcc_lo, s20, v12
	v_mov_b32_e32 v4, 0
	v_mov_b32_e32 v6, 0
	v_mov_b32_e32 v8, 0
	v_mov_b32_e32 v3, 0
	v_mov_b32_e32 v5, 0
	v_mov_b32_e32 v7, 0
	v_mov_b32_e32 v9, 0
	v_add_co_ci_u32_e64 v13, null, s21, v13, vcc_lo
	s_mov_b64 s[10:11], 0
	s_branch .LBB83_3
.LBB83_2:                               ;   in Loop: Header=BB83_3 Depth=1
	s_or_b32 exec_lo, exec_lo, s9
	s_waitcnt vmcnt(0)
	ds_write_b64 v21, v[16:17]
	s_waitcnt lgkmcnt(0)
	s_barrier
	buffer_gl0_inv
	ds_read_b128 v[14:17], v23
	ds_read2_b64 v[24:27], v22 offset1:16
	ds_read_b128 v[28:31], v23 offset:1024
	ds_read_b128 v[32:35], v23 offset:16
	ds_read2_b64 v[36:39], v22 offset0:32 offset1:48
	ds_read_b128 v[40:43], v23 offset:1040
	s_add_u32 s10, s10, 8
	s_addc_u32 s11, s11, 0
	v_add_co_u32 v10, vcc_lo, v10, 64
	v_cmp_lt_i64_e64 s9, s[10:11], s[16:17]
	v_add_co_ci_u32_e64 v11, null, 0, v11, vcc_lo
	v_add_co_u32 v12, vcc_lo, v12, 64
	v_add_co_ci_u32_e64 v13, null, 0, v13, vcc_lo
	s_and_b32 vcc_lo, exec_lo, s9
	s_waitcnt lgkmcnt(4)
	v_fma_f64 v[8:9], v[24:25], v[14:15], v[8:9]
	v_fma_f64 v[6:7], v[26:27], v[14:15], v[6:7]
	s_waitcnt lgkmcnt(3)
	v_fma_f64 v[14:15], v[24:25], v[28:29], v[4:5]
	v_fma_f64 v[24:25], v[26:27], v[28:29], v[2:3]
	ds_read2_b64 v[2:5], v22 offset0:64 offset1:80
	s_waitcnt lgkmcnt(2)
	v_fma_f64 v[26:27], v[36:37], v[16:17], v[8:9]
	v_fma_f64 v[16:17], v[38:39], v[16:17], v[6:7]
	v_fma_f64 v[14:15], v[36:37], v[30:31], v[14:15]
	v_fma_f64 v[24:25], v[38:39], v[30:31], v[24:25]
	ds_read2_b64 v[6:9], v22 offset0:96 offset1:112
	s_waitcnt lgkmcnt(1)
	v_fma_f64 v[26:27], v[2:3], v[32:33], v[26:27]
	v_fma_f64 v[28:29], v[4:5], v[32:33], v[16:17]
	;; [unrolled: 1-line block ×4, first 2 shown]
	ds_read_b128 v[2:5], v23 offset:32
	ds_read2_b64 v[14:17], v22 offset0:128 offset1:144
	s_waitcnt lgkmcnt(2)
	v_fma_f64 v[36:37], v[6:7], v[34:35], v[26:27]
	v_fma_f64 v[38:39], v[8:9], v[34:35], v[28:29]
	;; [unrolled: 1-line block ×4, first 2 shown]
	ds_read_b128 v[6:9], v23 offset:1056
	ds_read_b128 v[24:27], v23 offset:48
	ds_read2_b64 v[28:31], v22 offset0:160 offset1:176
	ds_read_b128 v[32:35], v23 offset:1072
	s_waitcnt lgkmcnt(4)
	v_fma_f64 v[36:37], v[14:15], v[2:3], v[36:37]
	v_fma_f64 v[2:3], v[16:17], v[2:3], v[38:39]
	s_waitcnt lgkmcnt(3)
	v_fma_f64 v[38:39], v[14:15], v[6:7], v[40:41]
	v_fma_f64 v[6:7], v[16:17], v[6:7], v[42:43]
	ds_read2_b64 v[14:17], v22 offset0:192 offset1:208
	s_waitcnt lgkmcnt(2)
	v_fma_f64 v[36:37], v[28:29], v[4:5], v[36:37]
	v_fma_f64 v[2:3], v[30:31], v[4:5], v[2:3]
	;; [unrolled: 1-line block ×4, first 2 shown]
	ds_read2_b64 v[28:31], v22 offset0:224 offset1:240
	s_waitcnt lgkmcnt(0)
	s_barrier
	buffer_gl0_inv
	v_fma_f64 v[8:9], v[14:15], v[24:25], v[36:37]
	v_fma_f64 v[2:3], v[16:17], v[24:25], v[2:3]
	;; [unrolled: 1-line block ×8, first 2 shown]
	s_cbranch_vccz .LBB83_8
.LBB83_3:                               ; =>This Inner Loop Header: Depth=1
	v_add_co_u32 v14, s9, v19, s10
	v_add_co_ci_u32_e64 v15, null, 0, s11, s9
	v_cmp_gt_i64_e32 vcc_lo, s[16:17], v[14:15]
	v_mov_b32_e32 v14, 0
	v_mov_b32_e32 v15, 0
	s_and_b32 s20, s0, vcc_lo
	s_and_saveexec_b32 s9, s20
	s_cbranch_execz .LBB83_5
; %bb.4:                                ;   in Loop: Header=BB83_3 Depth=1
	global_load_dwordx2 v[14:15], v[12:13], off
.LBB83_5:                               ;   in Loop: Header=BB83_3 Depth=1
	s_or_b32 exec_lo, exec_lo, s9
	v_add_co_u32 v16, s9, v18, s10
	v_add_co_ci_u32_e64 v17, null, 0, s11, s9
	s_waitcnt vmcnt(0)
	ds_write_b64 v20, v[14:15]
	v_cmp_gt_i64_e32 vcc_lo, s[16:17], v[16:17]
	v_mov_b32_e32 v16, 0
	v_mov_b32_e32 v17, 0
	s_and_b32 s20, vcc_lo, s1
	s_and_saveexec_b32 s9, s20
	s_cbranch_execz .LBB83_2
; %bb.6:                                ;   in Loop: Header=BB83_3 Depth=1
	global_load_dwordx2 v[16:17], v[10:11], off
	s_branch .LBB83_2
.LBB83_7:
	v_mov_b32_e32 v8, 0
	v_mov_b32_e32 v6, 0
	;; [unrolled: 1-line block ×8, first 2 shown]
.LBB83_8:
	s_load_dwordx2 s[0:1], s[4:5], 0x80
	v_cmp_neq_f64_e64 s9, s[40:41], 0
	v_add_co_u32 v10, s2, s2, v1
	v_add_co_ci_u32_e64 v11, null, s3, 0, s2
	s_waitcnt lgkmcnt(0)
	s_mul_i32 s1, s1, s8
	s_mul_hi_u32 s2, s0, s8
	s_mul_i32 s0, s0, s8
	s_add_i32 s1, s2, s1
	s_lshl_b64 s[4:5], s[0:1], 3
	v_cmp_gt_i64_e64 s0, s[14:15], v[10:11]
	s_add_u32 s3, s48, s4
	s_addc_u32 s4, s49, s5
	s_and_b32 vcc_lo, exec_lo, s9
	s_cbranch_vccnz .LBB83_21
; %bb.9:
	s_and_saveexec_b32 s5, s0
	s_cbranch_execz .LBB83_19
; %bb.10:
	v_mul_lo_u32 v1, v11, s50
	v_mul_lo_u32 v14, v10, s51
	v_mad_u64_u32 v[12:13], null, v10, s50, 0
	v_add3_u32 v13, v13, v14, v1
	v_add_co_u32 v14, s1, s6, v0
	v_add_co_ci_u32_e64 v15, null, s7, 0, s1
	v_lshlrev_b64 v[16:17], 3, v[12:13]
	v_cmp_gt_i64_e32 vcc_lo, s[12:13], v[14:15]
	v_lshlrev_b64 v[12:13], 3, v[14:15]
	v_add_co_u32 v1, s1, s3, v16
	v_add_co_ci_u32_e64 v16, null, s4, v17, s1
	s_and_saveexec_b32 s2, vcc_lo
	s_cbranch_execz .LBB83_12
; %bb.11:
	v_mul_f64 v[17:18], s[18:19], v[8:9]
	v_add_co_u32 v19, s1, v1, v12
	v_add_co_ci_u32_e64 v20, null, v16, v13, s1
	global_store_dwordx2 v[19:20], v[17:18], off
.LBB83_12:
	s_or_b32 exec_lo, exec_lo, s2
	v_add_co_u32 v14, s1, v14, 16
	v_add_co_ci_u32_e64 v15, null, 0, v15, s1
	v_cmp_gt_i64_e64 s1, s[12:13], v[14:15]
	s_and_saveexec_b32 s9, s1
	s_cbranch_execz .LBB83_14
; %bb.13:
	v_mul_f64 v[14:15], s[18:19], v[6:7]
	v_add_co_u32 v17, s2, v1, v12
	v_add_co_ci_u32_e64 v18, null, v16, v13, s2
	global_store_dwordx2 v[17:18], v[14:15], off offset:128
.LBB83_14:
	s_or_b32 exec_lo, exec_lo, s9
	v_add_co_u32 v14, s2, v10, 16
	v_add_co_ci_u32_e64 v15, null, 0, v11, s2
	v_cmp_gt_i64_e64 s2, s[14:15], v[14:15]
	s_and_b32 exec_lo, exec_lo, s2
	s_cbranch_execz .LBB83_19
; %bb.15:
	s_lshl_b64 s[10:11], s[50:51], 7
	v_add_co_u32 v1, s2, v1, s10
	v_add_co_ci_u32_e64 v14, null, s11, v16, s2
	v_add_co_u32 v12, s2, v1, v12
	v_add_co_ci_u32_e64 v13, null, v14, v13, s2
	s_and_saveexec_b32 s2, vcc_lo
	s_cbranch_execz .LBB83_17
; %bb.16:
	v_mul_f64 v[14:15], s[18:19], v[4:5]
	global_store_dwordx2 v[12:13], v[14:15], off
.LBB83_17:
	s_or_b32 exec_lo, exec_lo, s2
	s_and_b32 exec_lo, exec_lo, s1
	s_cbranch_execz .LBB83_19
; %bb.18:
	v_mul_f64 v[14:15], s[18:19], v[2:3]
	global_store_dwordx2 v[12:13], v[14:15], off offset:128
.LBB83_19:
	s_or_b32 exec_lo, exec_lo, s5
	s_cbranch_execz .LBB83_22
.LBB83_20:
	s_endpgm
.LBB83_21:
.LBB83_22:
	s_and_saveexec_b32 s1, s0
	s_cbranch_execz .LBB83_20
; %bb.23:
	v_mul_lo_u32 v1, v11, s44
	v_mul_lo_u32 v12, v10, s45
	v_mad_u64_u32 v[14:15], null, v10, s44, 0
	v_mul_lo_u32 v18, v11, s50
	v_mul_lo_u32 v19, v10, s51
	v_mad_u64_u32 v[16:17], null, v10, s50, 0
	s_mul_i32 s0, s47, s8
	s_mul_hi_u32 s1, s46, s8
	v_add3_u32 v15, v15, v12, v1
	s_add_i32 s1, s1, s0
	s_mul_i32 s0, s46, s8
	v_add_co_u32 v12, s2, s6, v0
	v_add3_u32 v17, v17, v19, v18
	v_lshlrev_b64 v[0:1], 3, v[14:15]
	s_lshl_b64 s[0:1], s[0:1], 3
	v_add_co_ci_u32_e64 v13, null, s7, 0, s2
	v_lshlrev_b64 v[16:17], 3, v[16:17]
	s_add_u32 s0, s42, s0
	s_addc_u32 s1, s43, s1
	v_add_co_u32 v14, s0, s0, v0
	v_add_co_ci_u32_e64 v15, null, s1, v1, s0
	v_add_co_u32 v16, s0, s3, v16
	v_cmp_gt_i64_e32 vcc_lo, s[12:13], v[12:13]
	v_lshlrev_b64 v[0:1], 3, v[12:13]
	v_add_co_ci_u32_e64 v17, null, s4, v17, s0
	s_and_saveexec_b32 s1, vcc_lo
	s_cbranch_execz .LBB83_25
; %bb.24:
	v_add_co_u32 v18, s0, v14, v0
	v_add_co_ci_u32_e64 v19, null, v15, v1, s0
	global_load_dwordx2 v[18:19], v[18:19], off
	s_waitcnt vmcnt(0)
	v_mul_f64 v[18:19], s[40:41], v[18:19]
	v_fma_f64 v[8:9], s[18:19], v[8:9], v[18:19]
	v_add_co_u32 v18, s0, v16, v0
	v_add_co_ci_u32_e64 v19, null, v17, v1, s0
	global_store_dwordx2 v[18:19], v[8:9], off
.LBB83_25:
	s_or_b32 exec_lo, exec_lo, s1
	v_add_co_u32 v8, s0, v12, 16
	v_add_co_ci_u32_e64 v9, null, 0, v13, s0
	v_cmp_gt_i64_e64 s0, s[12:13], v[8:9]
	s_and_saveexec_b32 s2, s0
	s_cbranch_execz .LBB83_27
; %bb.26:
	v_add_co_u32 v8, s1, v14, v0
	v_add_co_ci_u32_e64 v9, null, v15, v1, s1
	global_load_dwordx2 v[8:9], v[8:9], off offset:128
	s_waitcnt vmcnt(0)
	v_mul_f64 v[8:9], s[40:41], v[8:9]
	v_fma_f64 v[6:7], s[18:19], v[6:7], v[8:9]
	v_add_co_u32 v8, s1, v16, v0
	v_add_co_ci_u32_e64 v9, null, v17, v1, s1
	global_store_dwordx2 v[8:9], v[6:7], off offset:128
.LBB83_27:
	s_or_b32 exec_lo, exec_lo, s2
	v_add_co_u32 v6, s1, v10, 16
	v_add_co_ci_u32_e64 v7, null, 0, v11, s1
	v_cmp_gt_i64_e64 s1, s[14:15], v[6:7]
	s_and_b32 exec_lo, exec_lo, s1
	s_cbranch_execz .LBB83_20
; %bb.28:
	s_lshl_b64 s[2:3], s[44:45], 7
	v_add_co_u32 v6, s1, v14, s2
	v_add_co_ci_u32_e64 v7, null, s3, v15, s1
	s_lshl_b64 s[2:3], s[50:51], 7
	v_add_co_u32 v8, s1, v16, s2
	v_add_co_ci_u32_e64 v9, null, s3, v17, s1
	v_add_co_u32 v6, s1, v6, v0
	v_add_co_ci_u32_e64 v7, null, v7, v1, s1
	;; [unrolled: 2-line block ×3, first 2 shown]
	s_and_saveexec_b32 s1, vcc_lo
	s_cbranch_execz .LBB83_30
; %bb.29:
	global_load_dwordx2 v[8:9], v[6:7], off
	s_waitcnt vmcnt(0)
	v_mul_f64 v[8:9], s[40:41], v[8:9]
	v_fma_f64 v[4:5], s[18:19], v[4:5], v[8:9]
	global_store_dwordx2 v[0:1], v[4:5], off
.LBB83_30:
	s_or_b32 exec_lo, exec_lo, s1
	s_and_b32 exec_lo, exec_lo, s0
	s_cbranch_execz .LBB83_20
; %bb.31:
	global_load_dwordx2 v[4:5], v[6:7], off offset:128
	s_waitcnt vmcnt(0)
	v_mul_f64 v[4:5], s[40:41], v[4:5]
	v_fma_f64 v[2:3], s[18:19], v[2:3], v[4:5]
	global_store_dwordx2 v[0:1], v[2:3], off offset:128
	s_endpgm
	.section	.rodata,"a",@progbits
	.p2align	6, 0x0
	.amdhsa_kernel _ZN12_GLOBAL__N_135rocblas_gemm_batched_general_kernelIdLi16ELi16ELi32ELi32ELi8ELi32ELi8ELi8ELi32ELc67ELc78EKdS1_dEEvlllT_PT11_llS4_llS2_PT12_llPT13_lli
		.amdhsa_group_segment_fixed_size 4096
		.amdhsa_private_segment_fixed_size 0
		.amdhsa_kernarg_size 140
		.amdhsa_user_sgpr_count 6
		.amdhsa_user_sgpr_private_segment_buffer 1
		.amdhsa_user_sgpr_dispatch_ptr 0
		.amdhsa_user_sgpr_queue_ptr 0
		.amdhsa_user_sgpr_kernarg_segment_ptr 1
		.amdhsa_user_sgpr_dispatch_id 0
		.amdhsa_user_sgpr_flat_scratch_init 0
		.amdhsa_user_sgpr_private_segment_size 0
		.amdhsa_wavefront_size32 1
		.amdhsa_uses_dynamic_stack 0
		.amdhsa_system_sgpr_private_segment_wavefront_offset 0
		.amdhsa_system_sgpr_workgroup_id_x 1
		.amdhsa_system_sgpr_workgroup_id_y 1
		.amdhsa_system_sgpr_workgroup_id_z 1
		.amdhsa_system_sgpr_workgroup_info 0
		.amdhsa_system_vgpr_workitem_id 1
		.amdhsa_next_free_vgpr 44
		.amdhsa_next_free_sgpr 52
		.amdhsa_reserve_vcc 1
		.amdhsa_reserve_flat_scratch 0
		.amdhsa_float_round_mode_32 0
		.amdhsa_float_round_mode_16_64 0
		.amdhsa_float_denorm_mode_32 3
		.amdhsa_float_denorm_mode_16_64 3
		.amdhsa_dx10_clamp 1
		.amdhsa_ieee_mode 1
		.amdhsa_fp16_overflow 0
		.amdhsa_workgroup_processor_mode 1
		.amdhsa_memory_ordered 1
		.amdhsa_forward_progress 1
		.amdhsa_shared_vgpr_count 0
		.amdhsa_exception_fp_ieee_invalid_op 0
		.amdhsa_exception_fp_denorm_src 0
		.amdhsa_exception_fp_ieee_div_zero 0
		.amdhsa_exception_fp_ieee_overflow 0
		.amdhsa_exception_fp_ieee_underflow 0
		.amdhsa_exception_fp_ieee_inexact 0
		.amdhsa_exception_int_div_zero 0
	.end_amdhsa_kernel
	.section	.text._ZN12_GLOBAL__N_135rocblas_gemm_batched_general_kernelIdLi16ELi16ELi32ELi32ELi8ELi32ELi8ELi8ELi32ELc67ELc78EKdS1_dEEvlllT_PT11_llS4_llS2_PT12_llPT13_lli,"axG",@progbits,_ZN12_GLOBAL__N_135rocblas_gemm_batched_general_kernelIdLi16ELi16ELi32ELi32ELi8ELi32ELi8ELi8ELi32ELc67ELc78EKdS1_dEEvlllT_PT11_llS4_llS2_PT12_llPT13_lli,comdat
.Lfunc_end83:
	.size	_ZN12_GLOBAL__N_135rocblas_gemm_batched_general_kernelIdLi16ELi16ELi32ELi32ELi8ELi32ELi8ELi8ELi32ELc67ELc78EKdS1_dEEvlllT_PT11_llS4_llS2_PT12_llPT13_lli, .Lfunc_end83-_ZN12_GLOBAL__N_135rocblas_gemm_batched_general_kernelIdLi16ELi16ELi32ELi32ELi8ELi32ELi8ELi8ELi32ELc67ELc78EKdS1_dEEvlllT_PT11_llS4_llS2_PT12_llPT13_lli
                                        ; -- End function
	.set _ZN12_GLOBAL__N_135rocblas_gemm_batched_general_kernelIdLi16ELi16ELi32ELi32ELi8ELi32ELi8ELi8ELi32ELc67ELc78EKdS1_dEEvlllT_PT11_llS4_llS2_PT12_llPT13_lli.num_vgpr, 44
	.set _ZN12_GLOBAL__N_135rocblas_gemm_batched_general_kernelIdLi16ELi16ELi32ELi32ELi8ELi32ELi8ELi8ELi32ELc67ELc78EKdS1_dEEvlllT_PT11_llS4_llS2_PT12_llPT13_lli.num_agpr, 0
	.set _ZN12_GLOBAL__N_135rocblas_gemm_batched_general_kernelIdLi16ELi16ELi32ELi32ELi8ELi32ELi8ELi8ELi32ELc67ELc78EKdS1_dEEvlllT_PT11_llS4_llS2_PT12_llPT13_lli.numbered_sgpr, 52
	.set _ZN12_GLOBAL__N_135rocblas_gemm_batched_general_kernelIdLi16ELi16ELi32ELi32ELi8ELi32ELi8ELi8ELi32ELc67ELc78EKdS1_dEEvlllT_PT11_llS4_llS2_PT12_llPT13_lli.num_named_barrier, 0
	.set _ZN12_GLOBAL__N_135rocblas_gemm_batched_general_kernelIdLi16ELi16ELi32ELi32ELi8ELi32ELi8ELi8ELi32ELc67ELc78EKdS1_dEEvlllT_PT11_llS4_llS2_PT12_llPT13_lli.private_seg_size, 0
	.set _ZN12_GLOBAL__N_135rocblas_gemm_batched_general_kernelIdLi16ELi16ELi32ELi32ELi8ELi32ELi8ELi8ELi32ELc67ELc78EKdS1_dEEvlllT_PT11_llS4_llS2_PT12_llPT13_lli.uses_vcc, 1
	.set _ZN12_GLOBAL__N_135rocblas_gemm_batched_general_kernelIdLi16ELi16ELi32ELi32ELi8ELi32ELi8ELi8ELi32ELc67ELc78EKdS1_dEEvlllT_PT11_llS4_llS2_PT12_llPT13_lli.uses_flat_scratch, 0
	.set _ZN12_GLOBAL__N_135rocblas_gemm_batched_general_kernelIdLi16ELi16ELi32ELi32ELi8ELi32ELi8ELi8ELi32ELc67ELc78EKdS1_dEEvlllT_PT11_llS4_llS2_PT12_llPT13_lli.has_dyn_sized_stack, 0
	.set _ZN12_GLOBAL__N_135rocblas_gemm_batched_general_kernelIdLi16ELi16ELi32ELi32ELi8ELi32ELi8ELi8ELi32ELc67ELc78EKdS1_dEEvlllT_PT11_llS4_llS2_PT12_llPT13_lli.has_recursion, 0
	.set _ZN12_GLOBAL__N_135rocblas_gemm_batched_general_kernelIdLi16ELi16ELi32ELi32ELi8ELi32ELi8ELi8ELi32ELc67ELc78EKdS1_dEEvlllT_PT11_llS4_llS2_PT12_llPT13_lli.has_indirect_call, 0
	.section	.AMDGPU.csdata,"",@progbits
; Kernel info:
; codeLenInByte = 2092
; TotalNumSgprs: 54
; NumVgprs: 44
; ScratchSize: 0
; MemoryBound: 0
; FloatMode: 240
; IeeeMode: 1
; LDSByteSize: 4096 bytes/workgroup (compile time only)
; SGPRBlocks: 0
; VGPRBlocks: 5
; NumSGPRsForWavesPerEU: 54
; NumVGPRsForWavesPerEU: 44
; Occupancy: 16
; WaveLimiterHint : 0
; COMPUTE_PGM_RSRC2:SCRATCH_EN: 0
; COMPUTE_PGM_RSRC2:USER_SGPR: 6
; COMPUTE_PGM_RSRC2:TRAP_HANDLER: 0
; COMPUTE_PGM_RSRC2:TGID_X_EN: 1
; COMPUTE_PGM_RSRC2:TGID_Y_EN: 1
; COMPUTE_PGM_RSRC2:TGID_Z_EN: 1
; COMPUTE_PGM_RSRC2:TIDIG_COMP_CNT: 1
	.section	.text._ZN12_GLOBAL__N_135rocblas_gemm_batched_general_kernelIdLi16ELi16ELi32ELi32ELi8ELi32ELi8ELi8ELi32ELc67ELc84EKdS1_dEEvlllT_PT11_llS4_llS2_PT12_llPT13_lli,"axG",@progbits,_ZN12_GLOBAL__N_135rocblas_gemm_batched_general_kernelIdLi16ELi16ELi32ELi32ELi8ELi32ELi8ELi8ELi32ELc67ELc84EKdS1_dEEvlllT_PT11_llS4_llS2_PT12_llPT13_lli,comdat
	.globl	_ZN12_GLOBAL__N_135rocblas_gemm_batched_general_kernelIdLi16ELi16ELi32ELi32ELi8ELi32ELi8ELi8ELi32ELc67ELc84EKdS1_dEEvlllT_PT11_llS4_llS2_PT12_llPT13_lli ; -- Begin function _ZN12_GLOBAL__N_135rocblas_gemm_batched_general_kernelIdLi16ELi16ELi32ELi32ELi8ELi32ELi8ELi8ELi32ELc67ELc84EKdS1_dEEvlllT_PT11_llS4_llS2_PT12_llPT13_lli
	.p2align	8
	.type	_ZN12_GLOBAL__N_135rocblas_gemm_batched_general_kernelIdLi16ELi16ELi32ELi32ELi8ELi32ELi8ELi8ELi32ELc67ELc84EKdS1_dEEvlllT_PT11_llS4_llS2_PT12_llPT13_lli,@function
_ZN12_GLOBAL__N_135rocblas_gemm_batched_general_kernelIdLi16ELi16ELi32ELi32ELi8ELi32ELi8ELi8ELi32ELc67ELc84EKdS1_dEEvlllT_PT11_llS4_llS2_PT12_llPT13_lli: ; @_ZN12_GLOBAL__N_135rocblas_gemm_batched_general_kernelIdLi16ELi16ELi32ELi32ELi8ELi32ELi8ELi8ELi32ELc67ELc84EKdS1_dEEvlllT_PT11_llS4_llS2_PT12_llPT13_lli
; %bb.0:
	s_clause 0x1
	s_load_dwordx16 s[12:27], s[4:5], 0x0
	s_load_dwordx16 s[36:51], s[4:5], 0x40
	s_mov_b32 s10, s7
	s_ashr_i32 s7, s6, 31
	s_ashr_i32 s11, s10, 31
	s_lshl_b64 s[6:7], s[6:7], 5
	s_lshl_b64 s[2:3], s[10:11], 5
	s_waitcnt lgkmcnt(0)
	v_cmp_lt_i64_e64 s0, s[16:17], 1
	s_and_b32 vcc_lo, exec_lo, s0
	s_cbranch_vccnz .LBB84_7
; %bb.1:
	v_lshl_add_u32 v8, v1, 4, v0
	v_and_b32_e32 v18, 7, v0
	v_mov_b32_e32 v3, s7
	s_mul_i32 s9, s39, s8
	s_mul_hi_u32 s28, s38, s8
	v_and_b32_e32 v9, 31, v8
	v_mad_u64_u32 v[4:5], null, s36, v18, 0
	v_lshrrev_b32_e32 v10, 3, v8
	s_lshl_b64 s[10:11], s[10:11], 8
	v_or_b32_e32 v2, s6, v9
	v_lshlrev_b32_e32 v11, 3, v18
	v_lshrrev_b32_e32 v19, 5, v8
	v_add_co_u32 v6, s0, v10, s2
	v_add_co_ci_u32_e64 v7, null, 0, s3, s0
	v_cmp_gt_i64_e64 s0, s[12:13], v[2:3]
	v_mov_b32_e32 v2, v5
	v_lshl_or_b32 v10, v10, 6, v11
	v_cmp_gt_i64_e64 s1, s[14:15], v[6:7]
	v_lshlrev_b32_e32 v12, 3, v9
	v_lshlrev_b32_e32 v22, 3, v0
	v_mad_u64_u32 v[2:3], null, s37, v18, v[2:3]
	v_add_co_u32 v3, s29, s6, v9
	v_add_co_ci_u32_e64 v6, null, s7, 0, s29
	s_add_i32 s29, s28, s9
	v_mul_lo_u32 v7, s23, v3
	v_mov_b32_e32 v5, v2
	v_mul_lo_u32 v6, s22, v6
	v_mad_u64_u32 v[2:3], null, s22, v3, 0
	s_mul_i32 s28, s38, s8
	v_lshlrev_b64 v[4:5], 3, v[4:5]
	s_lshl_b64 s[22:23], s[28:29], 3
	v_add_nc_u32_e32 v21, 0x800, v10
	s_add_u32 s9, s10, s22
	s_addc_u32 s10, s11, s23
	v_add3_u32 v3, v3, v6, v7
	v_add_co_u32 v4, vcc_lo, s9, v4
	v_and_b32_e32 v6, 0x1ff8, v8
	v_add_co_ci_u32_e64 v5, null, s10, v5, vcc_lo
	s_mul_i32 s9, s25, s8
	s_mul_hi_u32 s10, s24, s8
	v_lshlrev_b64 v[2:3], 3, v[2:3]
	s_add_i32 s11, s10, s9
	s_mul_i32 s10, s24, s8
	v_add_co_u32 v4, vcc_lo, v4, v6
	s_lshl_b64 s[10:11], s[10:11], 3
	v_add_co_ci_u32_e64 v5, null, 0, v5, vcc_lo
	v_add_co_u32 v2, vcc_lo, v2, s10
	v_lshlrev_b32_e32 v6, 3, v19
	v_add_co_ci_u32_e64 v3, null, s11, v3, vcc_lo
	v_add_co_u32 v10, vcc_lo, s26, v4
	v_lshl_or_b32 v20, v19, 8, v12
	v_add_co_ci_u32_e64 v11, null, s27, v5, vcc_lo
	v_add_co_u32 v12, vcc_lo, v2, v6
	v_add_co_ci_u32_e64 v13, null, 0, v3, vcc_lo
	v_mov_b32_e32 v2, 0
	v_add_co_u32 v12, vcc_lo, s20, v12
	v_mov_b32_e32 v4, 0
	v_mov_b32_e32 v6, 0
	;; [unrolled: 1-line block ×3, first 2 shown]
	v_lshl_add_u32 v23, v1, 6, 0x800
	v_mov_b32_e32 v3, 0
	v_mov_b32_e32 v5, 0
	;; [unrolled: 1-line block ×4, first 2 shown]
	v_add_co_ci_u32_e64 v13, null, s21, v13, vcc_lo
	s_lshl_b64 s[10:11], s[36:37], 6
	s_mov_b64 s[20:21], 0
	s_branch .LBB84_3
.LBB84_2:                               ;   in Loop: Header=BB84_3 Depth=1
	s_or_b32 exec_lo, exec_lo, s9
	s_waitcnt vmcnt(0)
	ds_write_b64 v21, v[16:17]
	s_waitcnt lgkmcnt(0)
	s_barrier
	buffer_gl0_inv
	ds_read_b128 v[14:17], v23
	ds_read2_b64 v[24:27], v22 offset1:16
	ds_read_b128 v[28:31], v23 offset:1024
	ds_read_b128 v[32:35], v23 offset:16
	ds_read2_b64 v[36:39], v22 offset0:32 offset1:48
	ds_read_b128 v[40:43], v23 offset:1040
	s_add_u32 s20, s20, 8
	s_addc_u32 s21, s21, 0
	v_add_co_u32 v10, vcc_lo, v10, s10
	v_cmp_lt_i64_e64 s9, s[20:21], s[16:17]
	v_add_co_ci_u32_e64 v11, null, s11, v11, vcc_lo
	v_add_co_u32 v12, vcc_lo, v12, 64
	v_add_co_ci_u32_e64 v13, null, 0, v13, vcc_lo
	s_and_b32 vcc_lo, exec_lo, s9
	s_waitcnt lgkmcnt(4)
	v_fma_f64 v[8:9], v[24:25], v[14:15], v[8:9]
	v_fma_f64 v[6:7], v[26:27], v[14:15], v[6:7]
	s_waitcnt lgkmcnt(3)
	v_fma_f64 v[14:15], v[24:25], v[28:29], v[4:5]
	v_fma_f64 v[24:25], v[26:27], v[28:29], v[2:3]
	ds_read2_b64 v[2:5], v22 offset0:64 offset1:80
	s_waitcnt lgkmcnt(2)
	v_fma_f64 v[26:27], v[36:37], v[16:17], v[8:9]
	v_fma_f64 v[16:17], v[38:39], v[16:17], v[6:7]
	;; [unrolled: 1-line block ×4, first 2 shown]
	ds_read2_b64 v[6:9], v22 offset0:96 offset1:112
	s_waitcnt lgkmcnt(1)
	v_fma_f64 v[26:27], v[2:3], v[32:33], v[26:27]
	v_fma_f64 v[28:29], v[4:5], v[32:33], v[16:17]
	v_fma_f64 v[30:31], v[2:3], v[40:41], v[14:15]
	v_fma_f64 v[24:25], v[4:5], v[40:41], v[24:25]
	ds_read_b128 v[2:5], v23 offset:32
	ds_read2_b64 v[14:17], v22 offset0:128 offset1:144
	s_waitcnt lgkmcnt(2)
	v_fma_f64 v[36:37], v[6:7], v[34:35], v[26:27]
	v_fma_f64 v[38:39], v[8:9], v[34:35], v[28:29]
	;; [unrolled: 1-line block ×4, first 2 shown]
	ds_read_b128 v[6:9], v23 offset:1056
	ds_read_b128 v[24:27], v23 offset:48
	ds_read2_b64 v[28:31], v22 offset0:160 offset1:176
	ds_read_b128 v[32:35], v23 offset:1072
	s_waitcnt lgkmcnt(4)
	v_fma_f64 v[36:37], v[14:15], v[2:3], v[36:37]
	v_fma_f64 v[2:3], v[16:17], v[2:3], v[38:39]
	s_waitcnt lgkmcnt(3)
	v_fma_f64 v[38:39], v[14:15], v[6:7], v[40:41]
	v_fma_f64 v[6:7], v[16:17], v[6:7], v[42:43]
	ds_read2_b64 v[14:17], v22 offset0:192 offset1:208
	s_waitcnt lgkmcnt(2)
	v_fma_f64 v[36:37], v[28:29], v[4:5], v[36:37]
	v_fma_f64 v[2:3], v[30:31], v[4:5], v[2:3]
	;; [unrolled: 1-line block ×4, first 2 shown]
	ds_read2_b64 v[28:31], v22 offset0:224 offset1:240
	s_waitcnt lgkmcnt(0)
	s_barrier
	buffer_gl0_inv
	v_fma_f64 v[8:9], v[14:15], v[24:25], v[36:37]
	v_fma_f64 v[2:3], v[16:17], v[24:25], v[2:3]
	;; [unrolled: 1-line block ×8, first 2 shown]
	s_cbranch_vccz .LBB84_8
.LBB84_3:                               ; =>This Inner Loop Header: Depth=1
	v_add_co_u32 v14, s9, v19, s20
	v_add_co_ci_u32_e64 v15, null, 0, s21, s9
	v_cmp_gt_i64_e32 vcc_lo, s[16:17], v[14:15]
	v_mov_b32_e32 v14, 0
	v_mov_b32_e32 v15, 0
	s_and_b32 s22, s0, vcc_lo
	s_and_saveexec_b32 s9, s22
	s_cbranch_execz .LBB84_5
; %bb.4:                                ;   in Loop: Header=BB84_3 Depth=1
	global_load_dwordx2 v[14:15], v[12:13], off
.LBB84_5:                               ;   in Loop: Header=BB84_3 Depth=1
	s_or_b32 exec_lo, exec_lo, s9
	v_add_co_u32 v16, s9, v18, s20
	v_add_co_ci_u32_e64 v17, null, 0, s21, s9
	s_waitcnt vmcnt(0)
	ds_write_b64 v20, v[14:15]
	v_cmp_gt_i64_e32 vcc_lo, s[16:17], v[16:17]
	v_mov_b32_e32 v16, 0
	v_mov_b32_e32 v17, 0
	s_and_b32 s22, vcc_lo, s1
	s_and_saveexec_b32 s9, s22
	s_cbranch_execz .LBB84_2
; %bb.6:                                ;   in Loop: Header=BB84_3 Depth=1
	global_load_dwordx2 v[16:17], v[10:11], off
	s_branch .LBB84_2
.LBB84_7:
	v_mov_b32_e32 v8, 0
	v_mov_b32_e32 v6, 0
	;; [unrolled: 1-line block ×8, first 2 shown]
.LBB84_8:
	s_load_dwordx2 s[0:1], s[4:5], 0x80
	v_cmp_neq_f64_e64 s9, s[40:41], 0
	v_add_co_u32 v10, s2, s2, v1
	v_add_co_ci_u32_e64 v11, null, s3, 0, s2
	s_waitcnt lgkmcnt(0)
	s_mul_i32 s1, s1, s8
	s_mul_hi_u32 s2, s0, s8
	s_mul_i32 s0, s0, s8
	s_add_i32 s1, s2, s1
	s_lshl_b64 s[4:5], s[0:1], 3
	v_cmp_gt_i64_e64 s0, s[14:15], v[10:11]
	s_add_u32 s3, s48, s4
	s_addc_u32 s4, s49, s5
	s_and_b32 vcc_lo, exec_lo, s9
	s_cbranch_vccnz .LBB84_21
; %bb.9:
	s_and_saveexec_b32 s5, s0
	s_cbranch_execz .LBB84_19
; %bb.10:
	v_mul_lo_u32 v1, v11, s50
	v_mul_lo_u32 v14, v10, s51
	v_mad_u64_u32 v[12:13], null, v10, s50, 0
	v_add3_u32 v13, v13, v14, v1
	v_add_co_u32 v14, s1, s6, v0
	v_add_co_ci_u32_e64 v15, null, s7, 0, s1
	v_lshlrev_b64 v[16:17], 3, v[12:13]
	v_cmp_gt_i64_e32 vcc_lo, s[12:13], v[14:15]
	v_lshlrev_b64 v[12:13], 3, v[14:15]
	v_add_co_u32 v1, s1, s3, v16
	v_add_co_ci_u32_e64 v16, null, s4, v17, s1
	s_and_saveexec_b32 s2, vcc_lo
	s_cbranch_execz .LBB84_12
; %bb.11:
	v_mul_f64 v[17:18], s[18:19], v[8:9]
	v_add_co_u32 v19, s1, v1, v12
	v_add_co_ci_u32_e64 v20, null, v16, v13, s1
	global_store_dwordx2 v[19:20], v[17:18], off
.LBB84_12:
	s_or_b32 exec_lo, exec_lo, s2
	v_add_co_u32 v14, s1, v14, 16
	v_add_co_ci_u32_e64 v15, null, 0, v15, s1
	v_cmp_gt_i64_e64 s1, s[12:13], v[14:15]
	s_and_saveexec_b32 s9, s1
	s_cbranch_execz .LBB84_14
; %bb.13:
	v_mul_f64 v[14:15], s[18:19], v[6:7]
	v_add_co_u32 v17, s2, v1, v12
	v_add_co_ci_u32_e64 v18, null, v16, v13, s2
	global_store_dwordx2 v[17:18], v[14:15], off offset:128
.LBB84_14:
	s_or_b32 exec_lo, exec_lo, s9
	v_add_co_u32 v14, s2, v10, 16
	v_add_co_ci_u32_e64 v15, null, 0, v11, s2
	v_cmp_gt_i64_e64 s2, s[14:15], v[14:15]
	s_and_b32 exec_lo, exec_lo, s2
	s_cbranch_execz .LBB84_19
; %bb.15:
	s_lshl_b64 s[10:11], s[50:51], 7
	v_add_co_u32 v1, s2, v1, s10
	v_add_co_ci_u32_e64 v14, null, s11, v16, s2
	v_add_co_u32 v12, s2, v1, v12
	v_add_co_ci_u32_e64 v13, null, v14, v13, s2
	s_and_saveexec_b32 s2, vcc_lo
	s_cbranch_execz .LBB84_17
; %bb.16:
	v_mul_f64 v[14:15], s[18:19], v[4:5]
	global_store_dwordx2 v[12:13], v[14:15], off
.LBB84_17:
	s_or_b32 exec_lo, exec_lo, s2
	s_and_b32 exec_lo, exec_lo, s1
	s_cbranch_execz .LBB84_19
; %bb.18:
	v_mul_f64 v[14:15], s[18:19], v[2:3]
	global_store_dwordx2 v[12:13], v[14:15], off offset:128
.LBB84_19:
	s_or_b32 exec_lo, exec_lo, s5
	s_cbranch_execz .LBB84_22
.LBB84_20:
	s_endpgm
.LBB84_21:
.LBB84_22:
	s_and_saveexec_b32 s1, s0
	s_cbranch_execz .LBB84_20
; %bb.23:
	v_mul_lo_u32 v1, v11, s44
	v_mul_lo_u32 v12, v10, s45
	v_mad_u64_u32 v[14:15], null, v10, s44, 0
	v_mul_lo_u32 v18, v11, s50
	v_mul_lo_u32 v19, v10, s51
	v_mad_u64_u32 v[16:17], null, v10, s50, 0
	s_mul_i32 s0, s47, s8
	s_mul_hi_u32 s1, s46, s8
	v_add3_u32 v15, v15, v12, v1
	s_add_i32 s1, s1, s0
	s_mul_i32 s0, s46, s8
	v_add_co_u32 v12, s2, s6, v0
	v_add3_u32 v17, v17, v19, v18
	v_lshlrev_b64 v[0:1], 3, v[14:15]
	s_lshl_b64 s[0:1], s[0:1], 3
	v_add_co_ci_u32_e64 v13, null, s7, 0, s2
	v_lshlrev_b64 v[16:17], 3, v[16:17]
	s_add_u32 s0, s42, s0
	s_addc_u32 s1, s43, s1
	v_add_co_u32 v14, s0, s0, v0
	v_add_co_ci_u32_e64 v15, null, s1, v1, s0
	v_add_co_u32 v16, s0, s3, v16
	v_cmp_gt_i64_e32 vcc_lo, s[12:13], v[12:13]
	v_lshlrev_b64 v[0:1], 3, v[12:13]
	v_add_co_ci_u32_e64 v17, null, s4, v17, s0
	s_and_saveexec_b32 s1, vcc_lo
	s_cbranch_execz .LBB84_25
; %bb.24:
	v_add_co_u32 v18, s0, v14, v0
	v_add_co_ci_u32_e64 v19, null, v15, v1, s0
	global_load_dwordx2 v[18:19], v[18:19], off
	s_waitcnt vmcnt(0)
	v_mul_f64 v[18:19], s[40:41], v[18:19]
	v_fma_f64 v[8:9], s[18:19], v[8:9], v[18:19]
	v_add_co_u32 v18, s0, v16, v0
	v_add_co_ci_u32_e64 v19, null, v17, v1, s0
	global_store_dwordx2 v[18:19], v[8:9], off
.LBB84_25:
	s_or_b32 exec_lo, exec_lo, s1
	v_add_co_u32 v8, s0, v12, 16
	v_add_co_ci_u32_e64 v9, null, 0, v13, s0
	v_cmp_gt_i64_e64 s0, s[12:13], v[8:9]
	s_and_saveexec_b32 s2, s0
	s_cbranch_execz .LBB84_27
; %bb.26:
	v_add_co_u32 v8, s1, v14, v0
	v_add_co_ci_u32_e64 v9, null, v15, v1, s1
	global_load_dwordx2 v[8:9], v[8:9], off offset:128
	s_waitcnt vmcnt(0)
	v_mul_f64 v[8:9], s[40:41], v[8:9]
	v_fma_f64 v[6:7], s[18:19], v[6:7], v[8:9]
	v_add_co_u32 v8, s1, v16, v0
	v_add_co_ci_u32_e64 v9, null, v17, v1, s1
	global_store_dwordx2 v[8:9], v[6:7], off offset:128
.LBB84_27:
	s_or_b32 exec_lo, exec_lo, s2
	v_add_co_u32 v6, s1, v10, 16
	v_add_co_ci_u32_e64 v7, null, 0, v11, s1
	v_cmp_gt_i64_e64 s1, s[14:15], v[6:7]
	s_and_b32 exec_lo, exec_lo, s1
	s_cbranch_execz .LBB84_20
; %bb.28:
	s_lshl_b64 s[2:3], s[44:45], 7
	v_add_co_u32 v6, s1, v14, s2
	v_add_co_ci_u32_e64 v7, null, s3, v15, s1
	s_lshl_b64 s[2:3], s[50:51], 7
	v_add_co_u32 v8, s1, v16, s2
	v_add_co_ci_u32_e64 v9, null, s3, v17, s1
	v_add_co_u32 v6, s1, v6, v0
	v_add_co_ci_u32_e64 v7, null, v7, v1, s1
	;; [unrolled: 2-line block ×3, first 2 shown]
	s_and_saveexec_b32 s1, vcc_lo
	s_cbranch_execz .LBB84_30
; %bb.29:
	global_load_dwordx2 v[8:9], v[6:7], off
	s_waitcnt vmcnt(0)
	v_mul_f64 v[8:9], s[40:41], v[8:9]
	v_fma_f64 v[4:5], s[18:19], v[4:5], v[8:9]
	global_store_dwordx2 v[0:1], v[4:5], off
.LBB84_30:
	s_or_b32 exec_lo, exec_lo, s1
	s_and_b32 exec_lo, exec_lo, s0
	s_cbranch_execz .LBB84_20
; %bb.31:
	global_load_dwordx2 v[4:5], v[6:7], off offset:128
	s_waitcnt vmcnt(0)
	v_mul_f64 v[4:5], s[40:41], v[4:5]
	v_fma_f64 v[2:3], s[18:19], v[2:3], v[4:5]
	global_store_dwordx2 v[0:1], v[2:3], off offset:128
	s_endpgm
	.section	.rodata,"a",@progbits
	.p2align	6, 0x0
	.amdhsa_kernel _ZN12_GLOBAL__N_135rocblas_gemm_batched_general_kernelIdLi16ELi16ELi32ELi32ELi8ELi32ELi8ELi8ELi32ELc67ELc84EKdS1_dEEvlllT_PT11_llS4_llS2_PT12_llPT13_lli
		.amdhsa_group_segment_fixed_size 4096
		.amdhsa_private_segment_fixed_size 0
		.amdhsa_kernarg_size 140
		.amdhsa_user_sgpr_count 6
		.amdhsa_user_sgpr_private_segment_buffer 1
		.amdhsa_user_sgpr_dispatch_ptr 0
		.amdhsa_user_sgpr_queue_ptr 0
		.amdhsa_user_sgpr_kernarg_segment_ptr 1
		.amdhsa_user_sgpr_dispatch_id 0
		.amdhsa_user_sgpr_flat_scratch_init 0
		.amdhsa_user_sgpr_private_segment_size 0
		.amdhsa_wavefront_size32 1
		.amdhsa_uses_dynamic_stack 0
		.amdhsa_system_sgpr_private_segment_wavefront_offset 0
		.amdhsa_system_sgpr_workgroup_id_x 1
		.amdhsa_system_sgpr_workgroup_id_y 1
		.amdhsa_system_sgpr_workgroup_id_z 1
		.amdhsa_system_sgpr_workgroup_info 0
		.amdhsa_system_vgpr_workitem_id 1
		.amdhsa_next_free_vgpr 44
		.amdhsa_next_free_sgpr 52
		.amdhsa_reserve_vcc 1
		.amdhsa_reserve_flat_scratch 0
		.amdhsa_float_round_mode_32 0
		.amdhsa_float_round_mode_16_64 0
		.amdhsa_float_denorm_mode_32 3
		.amdhsa_float_denorm_mode_16_64 3
		.amdhsa_dx10_clamp 1
		.amdhsa_ieee_mode 1
		.amdhsa_fp16_overflow 0
		.amdhsa_workgroup_processor_mode 1
		.amdhsa_memory_ordered 1
		.amdhsa_forward_progress 1
		.amdhsa_shared_vgpr_count 0
		.amdhsa_exception_fp_ieee_invalid_op 0
		.amdhsa_exception_fp_denorm_src 0
		.amdhsa_exception_fp_ieee_div_zero 0
		.amdhsa_exception_fp_ieee_overflow 0
		.amdhsa_exception_fp_ieee_underflow 0
		.amdhsa_exception_fp_ieee_inexact 0
		.amdhsa_exception_int_div_zero 0
	.end_amdhsa_kernel
	.section	.text._ZN12_GLOBAL__N_135rocblas_gemm_batched_general_kernelIdLi16ELi16ELi32ELi32ELi8ELi32ELi8ELi8ELi32ELc67ELc84EKdS1_dEEvlllT_PT11_llS4_llS2_PT12_llPT13_lli,"axG",@progbits,_ZN12_GLOBAL__N_135rocblas_gemm_batched_general_kernelIdLi16ELi16ELi32ELi32ELi8ELi32ELi8ELi8ELi32ELc67ELc84EKdS1_dEEvlllT_PT11_llS4_llS2_PT12_llPT13_lli,comdat
.Lfunc_end84:
	.size	_ZN12_GLOBAL__N_135rocblas_gemm_batched_general_kernelIdLi16ELi16ELi32ELi32ELi8ELi32ELi8ELi8ELi32ELc67ELc84EKdS1_dEEvlllT_PT11_llS4_llS2_PT12_llPT13_lli, .Lfunc_end84-_ZN12_GLOBAL__N_135rocblas_gemm_batched_general_kernelIdLi16ELi16ELi32ELi32ELi8ELi32ELi8ELi8ELi32ELc67ELc84EKdS1_dEEvlllT_PT11_llS4_llS2_PT12_llPT13_lli
                                        ; -- End function
	.set _ZN12_GLOBAL__N_135rocblas_gemm_batched_general_kernelIdLi16ELi16ELi32ELi32ELi8ELi32ELi8ELi8ELi32ELc67ELc84EKdS1_dEEvlllT_PT11_llS4_llS2_PT12_llPT13_lli.num_vgpr, 44
	.set _ZN12_GLOBAL__N_135rocblas_gemm_batched_general_kernelIdLi16ELi16ELi32ELi32ELi8ELi32ELi8ELi8ELi32ELc67ELc84EKdS1_dEEvlllT_PT11_llS4_llS2_PT12_llPT13_lli.num_agpr, 0
	.set _ZN12_GLOBAL__N_135rocblas_gemm_batched_general_kernelIdLi16ELi16ELi32ELi32ELi8ELi32ELi8ELi8ELi32ELc67ELc84EKdS1_dEEvlllT_PT11_llS4_llS2_PT12_llPT13_lli.numbered_sgpr, 52
	.set _ZN12_GLOBAL__N_135rocblas_gemm_batched_general_kernelIdLi16ELi16ELi32ELi32ELi8ELi32ELi8ELi8ELi32ELc67ELc84EKdS1_dEEvlllT_PT11_llS4_llS2_PT12_llPT13_lli.num_named_barrier, 0
	.set _ZN12_GLOBAL__N_135rocblas_gemm_batched_general_kernelIdLi16ELi16ELi32ELi32ELi8ELi32ELi8ELi8ELi32ELc67ELc84EKdS1_dEEvlllT_PT11_llS4_llS2_PT12_llPT13_lli.private_seg_size, 0
	.set _ZN12_GLOBAL__N_135rocblas_gemm_batched_general_kernelIdLi16ELi16ELi32ELi32ELi8ELi32ELi8ELi8ELi32ELc67ELc84EKdS1_dEEvlllT_PT11_llS4_llS2_PT12_llPT13_lli.uses_vcc, 1
	.set _ZN12_GLOBAL__N_135rocblas_gemm_batched_general_kernelIdLi16ELi16ELi32ELi32ELi8ELi32ELi8ELi8ELi32ELc67ELc84EKdS1_dEEvlllT_PT11_llS4_llS2_PT12_llPT13_lli.uses_flat_scratch, 0
	.set _ZN12_GLOBAL__N_135rocblas_gemm_batched_general_kernelIdLi16ELi16ELi32ELi32ELi8ELi32ELi8ELi8ELi32ELc67ELc84EKdS1_dEEvlllT_PT11_llS4_llS2_PT12_llPT13_lli.has_dyn_sized_stack, 0
	.set _ZN12_GLOBAL__N_135rocblas_gemm_batched_general_kernelIdLi16ELi16ELi32ELi32ELi8ELi32ELi8ELi8ELi32ELc67ELc84EKdS1_dEEvlllT_PT11_llS4_llS2_PT12_llPT13_lli.has_recursion, 0
	.set _ZN12_GLOBAL__N_135rocblas_gemm_batched_general_kernelIdLi16ELi16ELi32ELi32ELi8ELi32ELi8ELi8ELi32ELc67ELc84EKdS1_dEEvlllT_PT11_llS4_llS2_PT12_llPT13_lli.has_indirect_call, 0
	.section	.AMDGPU.csdata,"",@progbits
; Kernel info:
; codeLenInByte = 2108
; TotalNumSgprs: 54
; NumVgprs: 44
; ScratchSize: 0
; MemoryBound: 0
; FloatMode: 240
; IeeeMode: 1
; LDSByteSize: 4096 bytes/workgroup (compile time only)
; SGPRBlocks: 0
; VGPRBlocks: 5
; NumSGPRsForWavesPerEU: 54
; NumVGPRsForWavesPerEU: 44
; Occupancy: 16
; WaveLimiterHint : 0
; COMPUTE_PGM_RSRC2:SCRATCH_EN: 0
; COMPUTE_PGM_RSRC2:USER_SGPR: 6
; COMPUTE_PGM_RSRC2:TRAP_HANDLER: 0
; COMPUTE_PGM_RSRC2:TGID_X_EN: 1
; COMPUTE_PGM_RSRC2:TGID_Y_EN: 1
; COMPUTE_PGM_RSRC2:TGID_Z_EN: 1
; COMPUTE_PGM_RSRC2:TIDIG_COMP_CNT: 1
	.section	.text._ZN12_GLOBAL__N_135rocblas_gemm_batched_general_kernelIdLi16ELi16ELi32ELi32ELi8ELi32ELi8ELi8ELi32ELc78ELc67EKdS1_dEEvlllT_PT11_llS4_llS2_PT12_llPT13_lli,"axG",@progbits,_ZN12_GLOBAL__N_135rocblas_gemm_batched_general_kernelIdLi16ELi16ELi32ELi32ELi8ELi32ELi8ELi8ELi32ELc78ELc67EKdS1_dEEvlllT_PT11_llS4_llS2_PT12_llPT13_lli,comdat
	.globl	_ZN12_GLOBAL__N_135rocblas_gemm_batched_general_kernelIdLi16ELi16ELi32ELi32ELi8ELi32ELi8ELi8ELi32ELc78ELc67EKdS1_dEEvlllT_PT11_llS4_llS2_PT12_llPT13_lli ; -- Begin function _ZN12_GLOBAL__N_135rocblas_gemm_batched_general_kernelIdLi16ELi16ELi32ELi32ELi8ELi32ELi8ELi8ELi32ELc78ELc67EKdS1_dEEvlllT_PT11_llS4_llS2_PT12_llPT13_lli
	.p2align	8
	.type	_ZN12_GLOBAL__N_135rocblas_gemm_batched_general_kernelIdLi16ELi16ELi32ELi32ELi8ELi32ELi8ELi8ELi32ELc78ELc67EKdS1_dEEvlllT_PT11_llS4_llS2_PT12_llPT13_lli,@function
_ZN12_GLOBAL__N_135rocblas_gemm_batched_general_kernelIdLi16ELi16ELi32ELi32ELi8ELi32ELi8ELi8ELi32ELc78ELc67EKdS1_dEEvlllT_PT11_llS4_llS2_PT12_llPT13_lli: ; @_ZN12_GLOBAL__N_135rocblas_gemm_batched_general_kernelIdLi16ELi16ELi32ELi32ELi8ELi32ELi8ELi8ELi32ELc78ELc67EKdS1_dEEvlllT_PT11_llS4_llS2_PT12_llPT13_lli
; %bb.0:
	s_clause 0x1
	s_load_dwordx16 s[12:27], s[4:5], 0x0
	s_load_dwordx16 s[36:51], s[4:5], 0x40
	s_mov_b32 s28, s7
	s_ashr_i32 s7, s6, 31
	s_ashr_i32 s29, s28, 31
	s_lshl_b64 s[10:11], s[6:7], 5
	s_lshl_b64 s[2:3], s[28:29], 5
	s_waitcnt lgkmcnt(0)
	v_cmp_lt_i64_e64 s0, s[16:17], 1
	s_and_b32 vcc_lo, exec_lo, s0
	s_cbranch_vccnz .LBB85_7
; %bb.1:
	v_lshl_add_u32 v9, v1, 4, v0
	v_and_b32_e32 v18, 7, v0
	v_mov_b32_e32 v3, s11
	s_mul_i32 s9, s39, s8
	s_mul_hi_u32 s30, s38, s8
	v_and_b32_e32 v6, 31, v9
	v_mad_u64_u32 v[4:5], null, s36, v18, 0
	v_lshrrev_b32_e32 v8, 3, v9
	v_lshlrev_b32_e32 v10, 3, v18
	v_or_b32_e32 v2, s10, v6
	v_lshlrev_b32_e32 v12, 3, v6
	v_lshrrev_b32_e32 v19, 5, v9
	v_add_co_u32 v6, s0, v8, s2
	v_add_co_ci_u32_e64 v7, null, 0, s3, s0
	v_cmp_gt_i64_e64 s0, s[12:13], v[2:3]
	v_mov_b32_e32 v2, v5
	v_lshl_or_b32 v5, v8, 6, v10
	v_cmp_gt_i64_e64 s1, s[14:15], v[6:7]
	v_mad_u64_u32 v[6:7], null, s22, v19, 0
	v_mad_u64_u32 v[2:3], null, s37, v18, v[2:3]
	v_add_nc_u32_e32 v21, 0x800, v5
	s_add_i32 s31, s30, s9
	s_mul_i32 s30, s38, s8
	s_lshl_b64 s[28:29], s[28:29], 8
	s_lshl_b64 s[30:31], s[30:31], 3
	v_lshl_or_b32 v20, v19, 8, v12
	v_mov_b32_e32 v5, v2
	v_mov_b32_e32 v2, v7
	s_add_u32 s9, s28, s30
	s_addc_u32 s28, s29, s31
	v_lshlrev_b32_e32 v22, 3, v0
	v_lshlrev_b64 v[3:4], 3, v[4:5]
	v_lshl_add_u32 v23, v1, 6, 0x800
	v_mad_u64_u32 v[7:8], null, s23, v19, v[2:3]
	v_add_co_u32 v2, vcc_lo, s9, v3
	v_add_co_ci_u32_e64 v3, null, s28, v4, vcc_lo
	v_and_b32_e32 v4, 0x1ff8, v9
	s_mul_i32 s9, s25, s8
	s_mul_hi_u32 s25, s24, s8
	s_mul_i32 s24, s24, s8
	s_add_i32 s25, s25, s9
	v_add_co_u32 v4, vcc_lo, v2, v4
	v_add_co_ci_u32_e64 v5, null, 0, v3, vcc_lo
	v_lshlrev_b64 v[2:3], 3, v[6:7]
	s_lshl_b64 s[24:25], s[24:25], 3
	s_lshl_b64 s[28:29], s[6:7], 8
	;; [unrolled: 1-line block ×3, first 2 shown]
	s_add_u32 s9, s28, s24
	s_addc_u32 s24, s29, s25
	v_add_co_u32 v2, vcc_lo, s9, v2
	v_add_co_ci_u32_e64 v3, null, s24, v3, vcc_lo
	v_add_co_u32 v10, vcc_lo, s26, v4
	v_add_co_ci_u32_e64 v11, null, s27, v5, vcc_lo
	;; [unrolled: 2-line block ×3, first 2 shown]
	v_mov_b32_e32 v2, 0
	v_add_co_u32 v12, vcc_lo, s20, v12
	v_mov_b32_e32 v4, 0
	v_mov_b32_e32 v6, 0
	;; [unrolled: 1-line block ×7, first 2 shown]
	v_add_co_ci_u32_e64 v13, null, s21, v13, vcc_lo
	s_lshl_b64 s[20:21], s[22:23], 6
	s_mov_b64 s[22:23], 0
	s_branch .LBB85_3
.LBB85_2:                               ;   in Loop: Header=BB85_3 Depth=1
	s_or_b32 exec_lo, exec_lo, s9
	s_waitcnt vmcnt(0)
	ds_write_b64 v21, v[16:17]
	s_waitcnt lgkmcnt(0)
	s_barrier
	buffer_gl0_inv
	ds_read_b128 v[14:17], v23
	ds_read2_b64 v[24:27], v22 offset1:16
	ds_read_b128 v[28:31], v23 offset:1024
	ds_read_b128 v[32:35], v23 offset:16
	ds_read2_b64 v[36:39], v22 offset0:32 offset1:48
	ds_read_b128 v[40:43], v23 offset:1040
	s_add_u32 s22, s22, 8
	s_addc_u32 s23, s23, 0
	v_add_co_u32 v10, vcc_lo, v10, s6
	v_cmp_lt_i64_e64 s9, s[22:23], s[16:17]
	v_add_co_ci_u32_e64 v11, null, s7, v11, vcc_lo
	v_add_co_u32 v12, vcc_lo, v12, s20
	v_add_co_ci_u32_e64 v13, null, s21, v13, vcc_lo
	s_and_b32 vcc_lo, exec_lo, s9
	s_waitcnt lgkmcnt(4)
	v_fma_f64 v[8:9], v[24:25], v[14:15], v[8:9]
	v_fma_f64 v[6:7], v[26:27], v[14:15], v[6:7]
	s_waitcnt lgkmcnt(3)
	v_fma_f64 v[14:15], v[24:25], v[28:29], v[4:5]
	v_fma_f64 v[24:25], v[26:27], v[28:29], v[2:3]
	ds_read2_b64 v[2:5], v22 offset0:64 offset1:80
	s_waitcnt lgkmcnt(2)
	v_fma_f64 v[26:27], v[36:37], v[16:17], v[8:9]
	v_fma_f64 v[16:17], v[38:39], v[16:17], v[6:7]
	;; [unrolled: 1-line block ×4, first 2 shown]
	ds_read2_b64 v[6:9], v22 offset0:96 offset1:112
	s_waitcnt lgkmcnt(1)
	v_fma_f64 v[26:27], v[2:3], v[32:33], v[26:27]
	v_fma_f64 v[28:29], v[4:5], v[32:33], v[16:17]
	;; [unrolled: 1-line block ×4, first 2 shown]
	ds_read_b128 v[2:5], v23 offset:32
	ds_read2_b64 v[14:17], v22 offset0:128 offset1:144
	s_waitcnt lgkmcnt(2)
	v_fma_f64 v[36:37], v[6:7], v[34:35], v[26:27]
	v_fma_f64 v[38:39], v[8:9], v[34:35], v[28:29]
	;; [unrolled: 1-line block ×4, first 2 shown]
	ds_read_b128 v[6:9], v23 offset:1056
	ds_read_b128 v[24:27], v23 offset:48
	ds_read2_b64 v[28:31], v22 offset0:160 offset1:176
	ds_read_b128 v[32:35], v23 offset:1072
	s_waitcnt lgkmcnt(4)
	v_fma_f64 v[36:37], v[14:15], v[2:3], v[36:37]
	v_fma_f64 v[2:3], v[16:17], v[2:3], v[38:39]
	s_waitcnt lgkmcnt(3)
	v_fma_f64 v[38:39], v[14:15], v[6:7], v[40:41]
	v_fma_f64 v[6:7], v[16:17], v[6:7], v[42:43]
	ds_read2_b64 v[14:17], v22 offset0:192 offset1:208
	s_waitcnt lgkmcnt(2)
	v_fma_f64 v[36:37], v[28:29], v[4:5], v[36:37]
	v_fma_f64 v[2:3], v[30:31], v[4:5], v[2:3]
	;; [unrolled: 1-line block ×4, first 2 shown]
	ds_read2_b64 v[28:31], v22 offset0:224 offset1:240
	s_waitcnt lgkmcnt(0)
	s_barrier
	buffer_gl0_inv
	v_fma_f64 v[8:9], v[14:15], v[24:25], v[36:37]
	v_fma_f64 v[2:3], v[16:17], v[24:25], v[2:3]
	;; [unrolled: 1-line block ×8, first 2 shown]
	s_cbranch_vccz .LBB85_8
.LBB85_3:                               ; =>This Inner Loop Header: Depth=1
	v_add_co_u32 v14, s9, v19, s22
	v_add_co_ci_u32_e64 v15, null, 0, s23, s9
	v_cmp_gt_i64_e32 vcc_lo, s[16:17], v[14:15]
	v_mov_b32_e32 v14, 0
	v_mov_b32_e32 v15, 0
	s_and_b32 s24, s0, vcc_lo
	s_and_saveexec_b32 s9, s24
	s_cbranch_execz .LBB85_5
; %bb.4:                                ;   in Loop: Header=BB85_3 Depth=1
	global_load_dwordx2 v[14:15], v[12:13], off
.LBB85_5:                               ;   in Loop: Header=BB85_3 Depth=1
	s_or_b32 exec_lo, exec_lo, s9
	v_add_co_u32 v16, s9, v18, s22
	v_add_co_ci_u32_e64 v17, null, 0, s23, s9
	s_waitcnt vmcnt(0)
	ds_write_b64 v20, v[14:15]
	v_cmp_gt_i64_e32 vcc_lo, s[16:17], v[16:17]
	v_mov_b32_e32 v16, 0
	v_mov_b32_e32 v17, 0
	s_and_b32 s24, vcc_lo, s1
	s_and_saveexec_b32 s9, s24
	s_cbranch_execz .LBB85_2
; %bb.6:                                ;   in Loop: Header=BB85_3 Depth=1
	global_load_dwordx2 v[16:17], v[10:11], off
	s_branch .LBB85_2
.LBB85_7:
	v_mov_b32_e32 v8, 0
	v_mov_b32_e32 v6, 0
	;; [unrolled: 1-line block ×8, first 2 shown]
.LBB85_8:
	s_load_dwordx2 s[0:1], s[4:5], 0x80
	v_cmp_neq_f64_e64 s6, s[40:41], 0
	v_add_co_u32 v10, s2, s2, v1
	v_add_co_ci_u32_e64 v11, null, s3, 0, s2
	s_waitcnt lgkmcnt(0)
	s_mul_i32 s1, s1, s8
	s_mul_hi_u32 s2, s0, s8
	s_mul_i32 s0, s0, s8
	s_add_i32 s1, s2, s1
	s_lshl_b64 s[4:5], s[0:1], 3
	v_cmp_gt_i64_e64 s0, s[14:15], v[10:11]
	s_add_u32 s3, s48, s4
	s_addc_u32 s4, s49, s5
	s_and_b32 vcc_lo, exec_lo, s6
	s_cbranch_vccnz .LBB85_21
; %bb.9:
	s_and_saveexec_b32 s5, s0
	s_cbranch_execz .LBB85_19
; %bb.10:
	v_mul_lo_u32 v1, v11, s50
	v_mul_lo_u32 v14, v10, s51
	v_mad_u64_u32 v[12:13], null, v10, s50, 0
	v_add3_u32 v13, v13, v14, v1
	v_add_co_u32 v14, s1, s10, v0
	v_add_co_ci_u32_e64 v15, null, s11, 0, s1
	v_lshlrev_b64 v[16:17], 3, v[12:13]
	v_cmp_gt_i64_e32 vcc_lo, s[12:13], v[14:15]
	v_lshlrev_b64 v[12:13], 3, v[14:15]
	v_add_co_u32 v1, s1, s3, v16
	v_add_co_ci_u32_e64 v16, null, s4, v17, s1
	s_and_saveexec_b32 s2, vcc_lo
	s_cbranch_execz .LBB85_12
; %bb.11:
	v_mul_f64 v[17:18], s[18:19], v[8:9]
	v_add_co_u32 v19, s1, v1, v12
	v_add_co_ci_u32_e64 v20, null, v16, v13, s1
	global_store_dwordx2 v[19:20], v[17:18], off
.LBB85_12:
	s_or_b32 exec_lo, exec_lo, s2
	v_add_co_u32 v14, s1, v14, 16
	v_add_co_ci_u32_e64 v15, null, 0, v15, s1
	v_cmp_gt_i64_e64 s1, s[12:13], v[14:15]
	s_and_saveexec_b32 s6, s1
	s_cbranch_execz .LBB85_14
; %bb.13:
	v_mul_f64 v[14:15], s[18:19], v[6:7]
	v_add_co_u32 v17, s2, v1, v12
	v_add_co_ci_u32_e64 v18, null, v16, v13, s2
	global_store_dwordx2 v[17:18], v[14:15], off offset:128
.LBB85_14:
	s_or_b32 exec_lo, exec_lo, s6
	v_add_co_u32 v14, s2, v10, 16
	v_add_co_ci_u32_e64 v15, null, 0, v11, s2
	v_cmp_gt_i64_e64 s2, s[14:15], v[14:15]
	s_and_b32 exec_lo, exec_lo, s2
	s_cbranch_execz .LBB85_19
; %bb.15:
	s_lshl_b64 s[6:7], s[50:51], 7
	v_add_co_u32 v1, s2, v1, s6
	v_add_co_ci_u32_e64 v14, null, s7, v16, s2
	v_add_co_u32 v12, s2, v1, v12
	v_add_co_ci_u32_e64 v13, null, v14, v13, s2
	s_and_saveexec_b32 s2, vcc_lo
	s_cbranch_execz .LBB85_17
; %bb.16:
	v_mul_f64 v[14:15], s[18:19], v[4:5]
	global_store_dwordx2 v[12:13], v[14:15], off
.LBB85_17:
	s_or_b32 exec_lo, exec_lo, s2
	s_and_b32 exec_lo, exec_lo, s1
	s_cbranch_execz .LBB85_19
; %bb.18:
	v_mul_f64 v[14:15], s[18:19], v[2:3]
	global_store_dwordx2 v[12:13], v[14:15], off offset:128
.LBB85_19:
	s_or_b32 exec_lo, exec_lo, s5
	s_cbranch_execz .LBB85_22
.LBB85_20:
	s_endpgm
.LBB85_21:
.LBB85_22:
	s_and_saveexec_b32 s1, s0
	s_cbranch_execz .LBB85_20
; %bb.23:
	v_mul_lo_u32 v1, v11, s44
	v_mul_lo_u32 v12, v10, s45
	v_mad_u64_u32 v[14:15], null, v10, s44, 0
	v_mul_lo_u32 v18, v11, s50
	v_mul_lo_u32 v19, v10, s51
	v_mad_u64_u32 v[16:17], null, v10, s50, 0
	s_mul_i32 s0, s47, s8
	s_mul_hi_u32 s1, s46, s8
	v_add3_u32 v15, v15, v12, v1
	s_add_i32 s1, s1, s0
	s_mul_i32 s0, s46, s8
	v_add_co_u32 v12, s2, s10, v0
	v_add3_u32 v17, v17, v19, v18
	v_lshlrev_b64 v[0:1], 3, v[14:15]
	s_lshl_b64 s[0:1], s[0:1], 3
	v_add_co_ci_u32_e64 v13, null, s11, 0, s2
	v_lshlrev_b64 v[16:17], 3, v[16:17]
	s_add_u32 s0, s42, s0
	s_addc_u32 s1, s43, s1
	v_add_co_u32 v14, s0, s0, v0
	v_add_co_ci_u32_e64 v15, null, s1, v1, s0
	v_add_co_u32 v16, s0, s3, v16
	v_cmp_gt_i64_e32 vcc_lo, s[12:13], v[12:13]
	v_lshlrev_b64 v[0:1], 3, v[12:13]
	v_add_co_ci_u32_e64 v17, null, s4, v17, s0
	s_and_saveexec_b32 s1, vcc_lo
	s_cbranch_execz .LBB85_25
; %bb.24:
	v_add_co_u32 v18, s0, v14, v0
	v_add_co_ci_u32_e64 v19, null, v15, v1, s0
	global_load_dwordx2 v[18:19], v[18:19], off
	s_waitcnt vmcnt(0)
	v_mul_f64 v[18:19], s[40:41], v[18:19]
	v_fma_f64 v[8:9], s[18:19], v[8:9], v[18:19]
	v_add_co_u32 v18, s0, v16, v0
	v_add_co_ci_u32_e64 v19, null, v17, v1, s0
	global_store_dwordx2 v[18:19], v[8:9], off
.LBB85_25:
	s_or_b32 exec_lo, exec_lo, s1
	v_add_co_u32 v8, s0, v12, 16
	v_add_co_ci_u32_e64 v9, null, 0, v13, s0
	v_cmp_gt_i64_e64 s0, s[12:13], v[8:9]
	s_and_saveexec_b32 s2, s0
	s_cbranch_execz .LBB85_27
; %bb.26:
	v_add_co_u32 v8, s1, v14, v0
	v_add_co_ci_u32_e64 v9, null, v15, v1, s1
	global_load_dwordx2 v[8:9], v[8:9], off offset:128
	s_waitcnt vmcnt(0)
	v_mul_f64 v[8:9], s[40:41], v[8:9]
	v_fma_f64 v[6:7], s[18:19], v[6:7], v[8:9]
	v_add_co_u32 v8, s1, v16, v0
	v_add_co_ci_u32_e64 v9, null, v17, v1, s1
	global_store_dwordx2 v[8:9], v[6:7], off offset:128
.LBB85_27:
	s_or_b32 exec_lo, exec_lo, s2
	v_add_co_u32 v6, s1, v10, 16
	v_add_co_ci_u32_e64 v7, null, 0, v11, s1
	v_cmp_gt_i64_e64 s1, s[14:15], v[6:7]
	s_and_b32 exec_lo, exec_lo, s1
	s_cbranch_execz .LBB85_20
; %bb.28:
	s_lshl_b64 s[2:3], s[44:45], 7
	v_add_co_u32 v6, s1, v14, s2
	v_add_co_ci_u32_e64 v7, null, s3, v15, s1
	s_lshl_b64 s[2:3], s[50:51], 7
	v_add_co_u32 v8, s1, v16, s2
	v_add_co_ci_u32_e64 v9, null, s3, v17, s1
	v_add_co_u32 v6, s1, v6, v0
	v_add_co_ci_u32_e64 v7, null, v7, v1, s1
	;; [unrolled: 2-line block ×3, first 2 shown]
	s_and_saveexec_b32 s1, vcc_lo
	s_cbranch_execz .LBB85_30
; %bb.29:
	global_load_dwordx2 v[8:9], v[6:7], off
	s_waitcnt vmcnt(0)
	v_mul_f64 v[8:9], s[40:41], v[8:9]
	v_fma_f64 v[4:5], s[18:19], v[4:5], v[8:9]
	global_store_dwordx2 v[0:1], v[4:5], off
.LBB85_30:
	s_or_b32 exec_lo, exec_lo, s1
	s_and_b32 exec_lo, exec_lo, s0
	s_cbranch_execz .LBB85_20
; %bb.31:
	global_load_dwordx2 v[4:5], v[6:7], off offset:128
	s_waitcnt vmcnt(0)
	v_mul_f64 v[4:5], s[40:41], v[4:5]
	v_fma_f64 v[2:3], s[18:19], v[2:3], v[4:5]
	global_store_dwordx2 v[0:1], v[2:3], off offset:128
	s_endpgm
	.section	.rodata,"a",@progbits
	.p2align	6, 0x0
	.amdhsa_kernel _ZN12_GLOBAL__N_135rocblas_gemm_batched_general_kernelIdLi16ELi16ELi32ELi32ELi8ELi32ELi8ELi8ELi32ELc78ELc67EKdS1_dEEvlllT_PT11_llS4_llS2_PT12_llPT13_lli
		.amdhsa_group_segment_fixed_size 4096
		.amdhsa_private_segment_fixed_size 0
		.amdhsa_kernarg_size 140
		.amdhsa_user_sgpr_count 6
		.amdhsa_user_sgpr_private_segment_buffer 1
		.amdhsa_user_sgpr_dispatch_ptr 0
		.amdhsa_user_sgpr_queue_ptr 0
		.amdhsa_user_sgpr_kernarg_segment_ptr 1
		.amdhsa_user_sgpr_dispatch_id 0
		.amdhsa_user_sgpr_flat_scratch_init 0
		.amdhsa_user_sgpr_private_segment_size 0
		.amdhsa_wavefront_size32 1
		.amdhsa_uses_dynamic_stack 0
		.amdhsa_system_sgpr_private_segment_wavefront_offset 0
		.amdhsa_system_sgpr_workgroup_id_x 1
		.amdhsa_system_sgpr_workgroup_id_y 1
		.amdhsa_system_sgpr_workgroup_id_z 1
		.amdhsa_system_sgpr_workgroup_info 0
		.amdhsa_system_vgpr_workitem_id 1
		.amdhsa_next_free_vgpr 44
		.amdhsa_next_free_sgpr 52
		.amdhsa_reserve_vcc 1
		.amdhsa_reserve_flat_scratch 0
		.amdhsa_float_round_mode_32 0
		.amdhsa_float_round_mode_16_64 0
		.amdhsa_float_denorm_mode_32 3
		.amdhsa_float_denorm_mode_16_64 3
		.amdhsa_dx10_clamp 1
		.amdhsa_ieee_mode 1
		.amdhsa_fp16_overflow 0
		.amdhsa_workgroup_processor_mode 1
		.amdhsa_memory_ordered 1
		.amdhsa_forward_progress 1
		.amdhsa_shared_vgpr_count 0
		.amdhsa_exception_fp_ieee_invalid_op 0
		.amdhsa_exception_fp_denorm_src 0
		.amdhsa_exception_fp_ieee_div_zero 0
		.amdhsa_exception_fp_ieee_overflow 0
		.amdhsa_exception_fp_ieee_underflow 0
		.amdhsa_exception_fp_ieee_inexact 0
		.amdhsa_exception_int_div_zero 0
	.end_amdhsa_kernel
	.section	.text._ZN12_GLOBAL__N_135rocblas_gemm_batched_general_kernelIdLi16ELi16ELi32ELi32ELi8ELi32ELi8ELi8ELi32ELc78ELc67EKdS1_dEEvlllT_PT11_llS4_llS2_PT12_llPT13_lli,"axG",@progbits,_ZN12_GLOBAL__N_135rocblas_gemm_batched_general_kernelIdLi16ELi16ELi32ELi32ELi8ELi32ELi8ELi8ELi32ELc78ELc67EKdS1_dEEvlllT_PT11_llS4_llS2_PT12_llPT13_lli,comdat
.Lfunc_end85:
	.size	_ZN12_GLOBAL__N_135rocblas_gemm_batched_general_kernelIdLi16ELi16ELi32ELi32ELi8ELi32ELi8ELi8ELi32ELc78ELc67EKdS1_dEEvlllT_PT11_llS4_llS2_PT12_llPT13_lli, .Lfunc_end85-_ZN12_GLOBAL__N_135rocblas_gemm_batched_general_kernelIdLi16ELi16ELi32ELi32ELi8ELi32ELi8ELi8ELi32ELc78ELc67EKdS1_dEEvlllT_PT11_llS4_llS2_PT12_llPT13_lli
                                        ; -- End function
	.set _ZN12_GLOBAL__N_135rocblas_gemm_batched_general_kernelIdLi16ELi16ELi32ELi32ELi8ELi32ELi8ELi8ELi32ELc78ELc67EKdS1_dEEvlllT_PT11_llS4_llS2_PT12_llPT13_lli.num_vgpr, 44
	.set _ZN12_GLOBAL__N_135rocblas_gemm_batched_general_kernelIdLi16ELi16ELi32ELi32ELi8ELi32ELi8ELi8ELi32ELc78ELc67EKdS1_dEEvlllT_PT11_llS4_llS2_PT12_llPT13_lli.num_agpr, 0
	.set _ZN12_GLOBAL__N_135rocblas_gemm_batched_general_kernelIdLi16ELi16ELi32ELi32ELi8ELi32ELi8ELi8ELi32ELc78ELc67EKdS1_dEEvlllT_PT11_llS4_llS2_PT12_llPT13_lli.numbered_sgpr, 52
	.set _ZN12_GLOBAL__N_135rocblas_gemm_batched_general_kernelIdLi16ELi16ELi32ELi32ELi8ELi32ELi8ELi8ELi32ELc78ELc67EKdS1_dEEvlllT_PT11_llS4_llS2_PT12_llPT13_lli.num_named_barrier, 0
	.set _ZN12_GLOBAL__N_135rocblas_gemm_batched_general_kernelIdLi16ELi16ELi32ELi32ELi8ELi32ELi8ELi8ELi32ELc78ELc67EKdS1_dEEvlllT_PT11_llS4_llS2_PT12_llPT13_lli.private_seg_size, 0
	.set _ZN12_GLOBAL__N_135rocblas_gemm_batched_general_kernelIdLi16ELi16ELi32ELi32ELi8ELi32ELi8ELi8ELi32ELc78ELc67EKdS1_dEEvlllT_PT11_llS4_llS2_PT12_llPT13_lli.uses_vcc, 1
	.set _ZN12_GLOBAL__N_135rocblas_gemm_batched_general_kernelIdLi16ELi16ELi32ELi32ELi8ELi32ELi8ELi8ELi32ELc78ELc67EKdS1_dEEvlllT_PT11_llS4_llS2_PT12_llPT13_lli.uses_flat_scratch, 0
	.set _ZN12_GLOBAL__N_135rocblas_gemm_batched_general_kernelIdLi16ELi16ELi32ELi32ELi8ELi32ELi8ELi8ELi32ELc78ELc67EKdS1_dEEvlllT_PT11_llS4_llS2_PT12_llPT13_lli.has_dyn_sized_stack, 0
	.set _ZN12_GLOBAL__N_135rocblas_gemm_batched_general_kernelIdLi16ELi16ELi32ELi32ELi8ELi32ELi8ELi8ELi32ELc78ELc67EKdS1_dEEvlllT_PT11_llS4_llS2_PT12_llPT13_lli.has_recursion, 0
	.set _ZN12_GLOBAL__N_135rocblas_gemm_batched_general_kernelIdLi16ELi16ELi32ELi32ELi8ELi32ELi8ELi8ELi32ELc78ELc67EKdS1_dEEvlllT_PT11_llS4_llS2_PT12_llPT13_lli.has_indirect_call, 0
	.section	.AMDGPU.csdata,"",@progbits
; Kernel info:
; codeLenInByte = 2092
; TotalNumSgprs: 54
; NumVgprs: 44
; ScratchSize: 0
; MemoryBound: 0
; FloatMode: 240
; IeeeMode: 1
; LDSByteSize: 4096 bytes/workgroup (compile time only)
; SGPRBlocks: 0
; VGPRBlocks: 5
; NumSGPRsForWavesPerEU: 54
; NumVGPRsForWavesPerEU: 44
; Occupancy: 16
; WaveLimiterHint : 0
; COMPUTE_PGM_RSRC2:SCRATCH_EN: 0
; COMPUTE_PGM_RSRC2:USER_SGPR: 6
; COMPUTE_PGM_RSRC2:TRAP_HANDLER: 0
; COMPUTE_PGM_RSRC2:TGID_X_EN: 1
; COMPUTE_PGM_RSRC2:TGID_Y_EN: 1
; COMPUTE_PGM_RSRC2:TGID_Z_EN: 1
; COMPUTE_PGM_RSRC2:TIDIG_COMP_CNT: 1
	.section	.text._ZN12_GLOBAL__N_135rocblas_gemm_batched_general_kernelIdLi16ELi16ELi32ELi32ELi8ELi32ELi8ELi8ELi32ELc84ELc67EKdS1_dEEvlllT_PT11_llS4_llS2_PT12_llPT13_lli,"axG",@progbits,_ZN12_GLOBAL__N_135rocblas_gemm_batched_general_kernelIdLi16ELi16ELi32ELi32ELi8ELi32ELi8ELi8ELi32ELc84ELc67EKdS1_dEEvlllT_PT11_llS4_llS2_PT12_llPT13_lli,comdat
	.globl	_ZN12_GLOBAL__N_135rocblas_gemm_batched_general_kernelIdLi16ELi16ELi32ELi32ELi8ELi32ELi8ELi8ELi32ELc84ELc67EKdS1_dEEvlllT_PT11_llS4_llS2_PT12_llPT13_lli ; -- Begin function _ZN12_GLOBAL__N_135rocblas_gemm_batched_general_kernelIdLi16ELi16ELi32ELi32ELi8ELi32ELi8ELi8ELi32ELc84ELc67EKdS1_dEEvlllT_PT11_llS4_llS2_PT12_llPT13_lli
	.p2align	8
	.type	_ZN12_GLOBAL__N_135rocblas_gemm_batched_general_kernelIdLi16ELi16ELi32ELi32ELi8ELi32ELi8ELi8ELi32ELc84ELc67EKdS1_dEEvlllT_PT11_llS4_llS2_PT12_llPT13_lli,@function
_ZN12_GLOBAL__N_135rocblas_gemm_batched_general_kernelIdLi16ELi16ELi32ELi32ELi8ELi32ELi8ELi8ELi32ELc84ELc67EKdS1_dEEvlllT_PT11_llS4_llS2_PT12_llPT13_lli: ; @_ZN12_GLOBAL__N_135rocblas_gemm_batched_general_kernelIdLi16ELi16ELi32ELi32ELi8ELi32ELi8ELi8ELi32ELc84ELc67EKdS1_dEEvlllT_PT11_llS4_llS2_PT12_llPT13_lli
; %bb.0:
	s_clause 0x1
	s_load_dwordx16 s[12:27], s[4:5], 0x0
	s_load_dwordx16 s[36:51], s[4:5], 0x40
	s_mov_b32 s10, s7
	s_ashr_i32 s7, s6, 31
	s_ashr_i32 s11, s10, 31
	s_lshl_b64 s[6:7], s[6:7], 5
	s_lshl_b64 s[2:3], s[10:11], 5
	s_waitcnt lgkmcnt(0)
	v_cmp_lt_i64_e64 s0, s[16:17], 1
	s_and_b32 vcc_lo, exec_lo, s0
	s_cbranch_vccnz .LBB86_7
; %bb.1:
	v_lshl_add_u32 v8, v1, 4, v0
	v_and_b32_e32 v18, 7, v0
	v_mov_b32_e32 v3, s7
	s_mul_i32 s9, s39, s8
	s_mul_hi_u32 s28, s38, s8
	v_and_b32_e32 v9, 31, v8
	v_mad_u64_u32 v[4:5], null, s36, v18, 0
	v_lshrrev_b32_e32 v10, 3, v8
	s_lshl_b64 s[10:11], s[10:11], 8
	v_or_b32_e32 v2, s6, v9
	v_lshlrev_b32_e32 v11, 3, v18
	v_lshrrev_b32_e32 v19, 5, v8
	v_add_co_u32 v6, s0, v10, s2
	v_add_co_ci_u32_e64 v7, null, 0, s3, s0
	v_cmp_gt_i64_e64 s0, s[12:13], v[2:3]
	v_mov_b32_e32 v2, v5
	v_lshl_or_b32 v10, v10, 6, v11
	v_cmp_gt_i64_e64 s1, s[14:15], v[6:7]
	v_lshlrev_b32_e32 v12, 3, v9
	v_lshlrev_b32_e32 v22, 3, v0
	v_mad_u64_u32 v[2:3], null, s37, v18, v[2:3]
	v_add_co_u32 v3, s29, s6, v9
	v_add_co_ci_u32_e64 v6, null, s7, 0, s29
	s_add_i32 s29, s28, s9
	v_mul_lo_u32 v7, s23, v3
	v_mov_b32_e32 v5, v2
	v_mul_lo_u32 v6, s22, v6
	v_mad_u64_u32 v[2:3], null, s22, v3, 0
	s_mul_i32 s28, s38, s8
	v_lshlrev_b64 v[4:5], 3, v[4:5]
	s_lshl_b64 s[22:23], s[28:29], 3
	v_add_nc_u32_e32 v21, 0x800, v10
	s_add_u32 s9, s10, s22
	s_addc_u32 s10, s11, s23
	v_add3_u32 v3, v3, v6, v7
	v_add_co_u32 v4, vcc_lo, s9, v4
	v_and_b32_e32 v6, 0x1ff8, v8
	v_add_co_ci_u32_e64 v5, null, s10, v5, vcc_lo
	s_mul_i32 s9, s25, s8
	s_mul_hi_u32 s10, s24, s8
	v_lshlrev_b64 v[2:3], 3, v[2:3]
	s_add_i32 s11, s10, s9
	s_mul_i32 s10, s24, s8
	v_add_co_u32 v4, vcc_lo, v4, v6
	s_lshl_b64 s[10:11], s[10:11], 3
	v_add_co_ci_u32_e64 v5, null, 0, v5, vcc_lo
	v_add_co_u32 v2, vcc_lo, v2, s10
	v_lshlrev_b32_e32 v6, 3, v19
	v_add_co_ci_u32_e64 v3, null, s11, v3, vcc_lo
	v_add_co_u32 v10, vcc_lo, s26, v4
	v_lshl_or_b32 v20, v19, 8, v12
	v_add_co_ci_u32_e64 v11, null, s27, v5, vcc_lo
	v_add_co_u32 v12, vcc_lo, v2, v6
	v_add_co_ci_u32_e64 v13, null, 0, v3, vcc_lo
	v_mov_b32_e32 v2, 0
	v_add_co_u32 v12, vcc_lo, s20, v12
	v_mov_b32_e32 v4, 0
	v_mov_b32_e32 v6, 0
	;; [unrolled: 1-line block ×3, first 2 shown]
	v_lshl_add_u32 v23, v1, 6, 0x800
	v_mov_b32_e32 v3, 0
	v_mov_b32_e32 v5, 0
	;; [unrolled: 1-line block ×4, first 2 shown]
	v_add_co_ci_u32_e64 v13, null, s21, v13, vcc_lo
	s_lshl_b64 s[10:11], s[36:37], 6
	s_mov_b64 s[20:21], 0
	s_branch .LBB86_3
.LBB86_2:                               ;   in Loop: Header=BB86_3 Depth=1
	s_or_b32 exec_lo, exec_lo, s9
	s_waitcnt vmcnt(0)
	ds_write_b64 v21, v[16:17]
	s_waitcnt lgkmcnt(0)
	s_barrier
	buffer_gl0_inv
	ds_read_b128 v[14:17], v23
	ds_read2_b64 v[24:27], v22 offset1:16
	ds_read_b128 v[28:31], v23 offset:1024
	ds_read_b128 v[32:35], v23 offset:16
	ds_read2_b64 v[36:39], v22 offset0:32 offset1:48
	ds_read_b128 v[40:43], v23 offset:1040
	s_add_u32 s20, s20, 8
	s_addc_u32 s21, s21, 0
	v_add_co_u32 v10, vcc_lo, v10, s10
	v_cmp_lt_i64_e64 s9, s[20:21], s[16:17]
	v_add_co_ci_u32_e64 v11, null, s11, v11, vcc_lo
	v_add_co_u32 v12, vcc_lo, v12, 64
	v_add_co_ci_u32_e64 v13, null, 0, v13, vcc_lo
	s_and_b32 vcc_lo, exec_lo, s9
	s_waitcnt lgkmcnt(4)
	v_fma_f64 v[8:9], v[24:25], v[14:15], v[8:9]
	v_fma_f64 v[6:7], v[26:27], v[14:15], v[6:7]
	s_waitcnt lgkmcnt(3)
	v_fma_f64 v[14:15], v[24:25], v[28:29], v[4:5]
	v_fma_f64 v[24:25], v[26:27], v[28:29], v[2:3]
	ds_read2_b64 v[2:5], v22 offset0:64 offset1:80
	s_waitcnt lgkmcnt(2)
	v_fma_f64 v[26:27], v[36:37], v[16:17], v[8:9]
	v_fma_f64 v[16:17], v[38:39], v[16:17], v[6:7]
	;; [unrolled: 1-line block ×4, first 2 shown]
	ds_read2_b64 v[6:9], v22 offset0:96 offset1:112
	s_waitcnt lgkmcnt(1)
	v_fma_f64 v[26:27], v[2:3], v[32:33], v[26:27]
	v_fma_f64 v[28:29], v[4:5], v[32:33], v[16:17]
	;; [unrolled: 1-line block ×4, first 2 shown]
	ds_read_b128 v[2:5], v23 offset:32
	ds_read2_b64 v[14:17], v22 offset0:128 offset1:144
	s_waitcnt lgkmcnt(2)
	v_fma_f64 v[36:37], v[6:7], v[34:35], v[26:27]
	v_fma_f64 v[38:39], v[8:9], v[34:35], v[28:29]
	;; [unrolled: 1-line block ×4, first 2 shown]
	ds_read_b128 v[6:9], v23 offset:1056
	ds_read_b128 v[24:27], v23 offset:48
	ds_read2_b64 v[28:31], v22 offset0:160 offset1:176
	ds_read_b128 v[32:35], v23 offset:1072
	s_waitcnt lgkmcnt(4)
	v_fma_f64 v[36:37], v[14:15], v[2:3], v[36:37]
	v_fma_f64 v[2:3], v[16:17], v[2:3], v[38:39]
	s_waitcnt lgkmcnt(3)
	v_fma_f64 v[38:39], v[14:15], v[6:7], v[40:41]
	v_fma_f64 v[6:7], v[16:17], v[6:7], v[42:43]
	ds_read2_b64 v[14:17], v22 offset0:192 offset1:208
	s_waitcnt lgkmcnt(2)
	v_fma_f64 v[36:37], v[28:29], v[4:5], v[36:37]
	v_fma_f64 v[2:3], v[30:31], v[4:5], v[2:3]
	;; [unrolled: 1-line block ×4, first 2 shown]
	ds_read2_b64 v[28:31], v22 offset0:224 offset1:240
	s_waitcnt lgkmcnt(0)
	s_barrier
	buffer_gl0_inv
	v_fma_f64 v[8:9], v[14:15], v[24:25], v[36:37]
	v_fma_f64 v[2:3], v[16:17], v[24:25], v[2:3]
	;; [unrolled: 1-line block ×8, first 2 shown]
	s_cbranch_vccz .LBB86_8
.LBB86_3:                               ; =>This Inner Loop Header: Depth=1
	v_add_co_u32 v14, s9, v19, s20
	v_add_co_ci_u32_e64 v15, null, 0, s21, s9
	v_cmp_gt_i64_e32 vcc_lo, s[16:17], v[14:15]
	v_mov_b32_e32 v14, 0
	v_mov_b32_e32 v15, 0
	s_and_b32 s22, s0, vcc_lo
	s_and_saveexec_b32 s9, s22
	s_cbranch_execz .LBB86_5
; %bb.4:                                ;   in Loop: Header=BB86_3 Depth=1
	global_load_dwordx2 v[14:15], v[12:13], off
.LBB86_5:                               ;   in Loop: Header=BB86_3 Depth=1
	s_or_b32 exec_lo, exec_lo, s9
	v_add_co_u32 v16, s9, v18, s20
	v_add_co_ci_u32_e64 v17, null, 0, s21, s9
	s_waitcnt vmcnt(0)
	ds_write_b64 v20, v[14:15]
	v_cmp_gt_i64_e32 vcc_lo, s[16:17], v[16:17]
	v_mov_b32_e32 v16, 0
	v_mov_b32_e32 v17, 0
	s_and_b32 s22, vcc_lo, s1
	s_and_saveexec_b32 s9, s22
	s_cbranch_execz .LBB86_2
; %bb.6:                                ;   in Loop: Header=BB86_3 Depth=1
	global_load_dwordx2 v[16:17], v[10:11], off
	s_branch .LBB86_2
.LBB86_7:
	v_mov_b32_e32 v8, 0
	v_mov_b32_e32 v6, 0
	;; [unrolled: 1-line block ×8, first 2 shown]
.LBB86_8:
	s_load_dwordx2 s[0:1], s[4:5], 0x80
	v_cmp_neq_f64_e64 s9, s[40:41], 0
	v_add_co_u32 v10, s2, s2, v1
	v_add_co_ci_u32_e64 v11, null, s3, 0, s2
	s_waitcnt lgkmcnt(0)
	s_mul_i32 s1, s1, s8
	s_mul_hi_u32 s2, s0, s8
	s_mul_i32 s0, s0, s8
	s_add_i32 s1, s2, s1
	s_lshl_b64 s[4:5], s[0:1], 3
	v_cmp_gt_i64_e64 s0, s[14:15], v[10:11]
	s_add_u32 s3, s48, s4
	s_addc_u32 s4, s49, s5
	s_and_b32 vcc_lo, exec_lo, s9
	s_cbranch_vccnz .LBB86_21
; %bb.9:
	s_and_saveexec_b32 s5, s0
	s_cbranch_execz .LBB86_19
; %bb.10:
	v_mul_lo_u32 v1, v11, s50
	v_mul_lo_u32 v14, v10, s51
	v_mad_u64_u32 v[12:13], null, v10, s50, 0
	v_add3_u32 v13, v13, v14, v1
	v_add_co_u32 v14, s1, s6, v0
	v_add_co_ci_u32_e64 v15, null, s7, 0, s1
	v_lshlrev_b64 v[16:17], 3, v[12:13]
	v_cmp_gt_i64_e32 vcc_lo, s[12:13], v[14:15]
	v_lshlrev_b64 v[12:13], 3, v[14:15]
	v_add_co_u32 v1, s1, s3, v16
	v_add_co_ci_u32_e64 v16, null, s4, v17, s1
	s_and_saveexec_b32 s2, vcc_lo
	s_cbranch_execz .LBB86_12
; %bb.11:
	v_mul_f64 v[17:18], s[18:19], v[8:9]
	v_add_co_u32 v19, s1, v1, v12
	v_add_co_ci_u32_e64 v20, null, v16, v13, s1
	global_store_dwordx2 v[19:20], v[17:18], off
.LBB86_12:
	s_or_b32 exec_lo, exec_lo, s2
	v_add_co_u32 v14, s1, v14, 16
	v_add_co_ci_u32_e64 v15, null, 0, v15, s1
	v_cmp_gt_i64_e64 s1, s[12:13], v[14:15]
	s_and_saveexec_b32 s9, s1
	s_cbranch_execz .LBB86_14
; %bb.13:
	v_mul_f64 v[14:15], s[18:19], v[6:7]
	v_add_co_u32 v17, s2, v1, v12
	v_add_co_ci_u32_e64 v18, null, v16, v13, s2
	global_store_dwordx2 v[17:18], v[14:15], off offset:128
.LBB86_14:
	s_or_b32 exec_lo, exec_lo, s9
	v_add_co_u32 v14, s2, v10, 16
	v_add_co_ci_u32_e64 v15, null, 0, v11, s2
	v_cmp_gt_i64_e64 s2, s[14:15], v[14:15]
	s_and_b32 exec_lo, exec_lo, s2
	s_cbranch_execz .LBB86_19
; %bb.15:
	s_lshl_b64 s[10:11], s[50:51], 7
	v_add_co_u32 v1, s2, v1, s10
	v_add_co_ci_u32_e64 v14, null, s11, v16, s2
	v_add_co_u32 v12, s2, v1, v12
	v_add_co_ci_u32_e64 v13, null, v14, v13, s2
	s_and_saveexec_b32 s2, vcc_lo
	s_cbranch_execz .LBB86_17
; %bb.16:
	v_mul_f64 v[14:15], s[18:19], v[4:5]
	global_store_dwordx2 v[12:13], v[14:15], off
.LBB86_17:
	s_or_b32 exec_lo, exec_lo, s2
	s_and_b32 exec_lo, exec_lo, s1
	s_cbranch_execz .LBB86_19
; %bb.18:
	v_mul_f64 v[14:15], s[18:19], v[2:3]
	global_store_dwordx2 v[12:13], v[14:15], off offset:128
.LBB86_19:
	s_or_b32 exec_lo, exec_lo, s5
	s_cbranch_execz .LBB86_22
.LBB86_20:
	s_endpgm
.LBB86_21:
.LBB86_22:
	s_and_saveexec_b32 s1, s0
	s_cbranch_execz .LBB86_20
; %bb.23:
	v_mul_lo_u32 v1, v11, s44
	v_mul_lo_u32 v12, v10, s45
	v_mad_u64_u32 v[14:15], null, v10, s44, 0
	v_mul_lo_u32 v18, v11, s50
	v_mul_lo_u32 v19, v10, s51
	v_mad_u64_u32 v[16:17], null, v10, s50, 0
	s_mul_i32 s0, s47, s8
	s_mul_hi_u32 s1, s46, s8
	v_add3_u32 v15, v15, v12, v1
	s_add_i32 s1, s1, s0
	s_mul_i32 s0, s46, s8
	v_add_co_u32 v12, s2, s6, v0
	v_add3_u32 v17, v17, v19, v18
	v_lshlrev_b64 v[0:1], 3, v[14:15]
	s_lshl_b64 s[0:1], s[0:1], 3
	v_add_co_ci_u32_e64 v13, null, s7, 0, s2
	v_lshlrev_b64 v[16:17], 3, v[16:17]
	s_add_u32 s0, s42, s0
	s_addc_u32 s1, s43, s1
	v_add_co_u32 v14, s0, s0, v0
	v_add_co_ci_u32_e64 v15, null, s1, v1, s0
	v_add_co_u32 v16, s0, s3, v16
	v_cmp_gt_i64_e32 vcc_lo, s[12:13], v[12:13]
	v_lshlrev_b64 v[0:1], 3, v[12:13]
	v_add_co_ci_u32_e64 v17, null, s4, v17, s0
	s_and_saveexec_b32 s1, vcc_lo
	s_cbranch_execz .LBB86_25
; %bb.24:
	v_add_co_u32 v18, s0, v14, v0
	v_add_co_ci_u32_e64 v19, null, v15, v1, s0
	global_load_dwordx2 v[18:19], v[18:19], off
	s_waitcnt vmcnt(0)
	v_mul_f64 v[18:19], s[40:41], v[18:19]
	v_fma_f64 v[8:9], s[18:19], v[8:9], v[18:19]
	v_add_co_u32 v18, s0, v16, v0
	v_add_co_ci_u32_e64 v19, null, v17, v1, s0
	global_store_dwordx2 v[18:19], v[8:9], off
.LBB86_25:
	s_or_b32 exec_lo, exec_lo, s1
	v_add_co_u32 v8, s0, v12, 16
	v_add_co_ci_u32_e64 v9, null, 0, v13, s0
	v_cmp_gt_i64_e64 s0, s[12:13], v[8:9]
	s_and_saveexec_b32 s2, s0
	s_cbranch_execz .LBB86_27
; %bb.26:
	v_add_co_u32 v8, s1, v14, v0
	v_add_co_ci_u32_e64 v9, null, v15, v1, s1
	global_load_dwordx2 v[8:9], v[8:9], off offset:128
	s_waitcnt vmcnt(0)
	v_mul_f64 v[8:9], s[40:41], v[8:9]
	v_fma_f64 v[6:7], s[18:19], v[6:7], v[8:9]
	v_add_co_u32 v8, s1, v16, v0
	v_add_co_ci_u32_e64 v9, null, v17, v1, s1
	global_store_dwordx2 v[8:9], v[6:7], off offset:128
.LBB86_27:
	s_or_b32 exec_lo, exec_lo, s2
	v_add_co_u32 v6, s1, v10, 16
	v_add_co_ci_u32_e64 v7, null, 0, v11, s1
	v_cmp_gt_i64_e64 s1, s[14:15], v[6:7]
	s_and_b32 exec_lo, exec_lo, s1
	s_cbranch_execz .LBB86_20
; %bb.28:
	s_lshl_b64 s[2:3], s[44:45], 7
	v_add_co_u32 v6, s1, v14, s2
	v_add_co_ci_u32_e64 v7, null, s3, v15, s1
	s_lshl_b64 s[2:3], s[50:51], 7
	v_add_co_u32 v8, s1, v16, s2
	v_add_co_ci_u32_e64 v9, null, s3, v17, s1
	v_add_co_u32 v6, s1, v6, v0
	v_add_co_ci_u32_e64 v7, null, v7, v1, s1
	;; [unrolled: 2-line block ×3, first 2 shown]
	s_and_saveexec_b32 s1, vcc_lo
	s_cbranch_execz .LBB86_30
; %bb.29:
	global_load_dwordx2 v[8:9], v[6:7], off
	s_waitcnt vmcnt(0)
	v_mul_f64 v[8:9], s[40:41], v[8:9]
	v_fma_f64 v[4:5], s[18:19], v[4:5], v[8:9]
	global_store_dwordx2 v[0:1], v[4:5], off
.LBB86_30:
	s_or_b32 exec_lo, exec_lo, s1
	s_and_b32 exec_lo, exec_lo, s0
	s_cbranch_execz .LBB86_20
; %bb.31:
	global_load_dwordx2 v[4:5], v[6:7], off offset:128
	s_waitcnt vmcnt(0)
	v_mul_f64 v[4:5], s[40:41], v[4:5]
	v_fma_f64 v[2:3], s[18:19], v[2:3], v[4:5]
	global_store_dwordx2 v[0:1], v[2:3], off offset:128
	s_endpgm
	.section	.rodata,"a",@progbits
	.p2align	6, 0x0
	.amdhsa_kernel _ZN12_GLOBAL__N_135rocblas_gemm_batched_general_kernelIdLi16ELi16ELi32ELi32ELi8ELi32ELi8ELi8ELi32ELc84ELc67EKdS1_dEEvlllT_PT11_llS4_llS2_PT12_llPT13_lli
		.amdhsa_group_segment_fixed_size 4096
		.amdhsa_private_segment_fixed_size 0
		.amdhsa_kernarg_size 140
		.amdhsa_user_sgpr_count 6
		.amdhsa_user_sgpr_private_segment_buffer 1
		.amdhsa_user_sgpr_dispatch_ptr 0
		.amdhsa_user_sgpr_queue_ptr 0
		.amdhsa_user_sgpr_kernarg_segment_ptr 1
		.amdhsa_user_sgpr_dispatch_id 0
		.amdhsa_user_sgpr_flat_scratch_init 0
		.amdhsa_user_sgpr_private_segment_size 0
		.amdhsa_wavefront_size32 1
		.amdhsa_uses_dynamic_stack 0
		.amdhsa_system_sgpr_private_segment_wavefront_offset 0
		.amdhsa_system_sgpr_workgroup_id_x 1
		.amdhsa_system_sgpr_workgroup_id_y 1
		.amdhsa_system_sgpr_workgroup_id_z 1
		.amdhsa_system_sgpr_workgroup_info 0
		.amdhsa_system_vgpr_workitem_id 1
		.amdhsa_next_free_vgpr 44
		.amdhsa_next_free_sgpr 52
		.amdhsa_reserve_vcc 1
		.amdhsa_reserve_flat_scratch 0
		.amdhsa_float_round_mode_32 0
		.amdhsa_float_round_mode_16_64 0
		.amdhsa_float_denorm_mode_32 3
		.amdhsa_float_denorm_mode_16_64 3
		.amdhsa_dx10_clamp 1
		.amdhsa_ieee_mode 1
		.amdhsa_fp16_overflow 0
		.amdhsa_workgroup_processor_mode 1
		.amdhsa_memory_ordered 1
		.amdhsa_forward_progress 1
		.amdhsa_shared_vgpr_count 0
		.amdhsa_exception_fp_ieee_invalid_op 0
		.amdhsa_exception_fp_denorm_src 0
		.amdhsa_exception_fp_ieee_div_zero 0
		.amdhsa_exception_fp_ieee_overflow 0
		.amdhsa_exception_fp_ieee_underflow 0
		.amdhsa_exception_fp_ieee_inexact 0
		.amdhsa_exception_int_div_zero 0
	.end_amdhsa_kernel
	.section	.text._ZN12_GLOBAL__N_135rocblas_gemm_batched_general_kernelIdLi16ELi16ELi32ELi32ELi8ELi32ELi8ELi8ELi32ELc84ELc67EKdS1_dEEvlllT_PT11_llS4_llS2_PT12_llPT13_lli,"axG",@progbits,_ZN12_GLOBAL__N_135rocblas_gemm_batched_general_kernelIdLi16ELi16ELi32ELi32ELi8ELi32ELi8ELi8ELi32ELc84ELc67EKdS1_dEEvlllT_PT11_llS4_llS2_PT12_llPT13_lli,comdat
.Lfunc_end86:
	.size	_ZN12_GLOBAL__N_135rocblas_gemm_batched_general_kernelIdLi16ELi16ELi32ELi32ELi8ELi32ELi8ELi8ELi32ELc84ELc67EKdS1_dEEvlllT_PT11_llS4_llS2_PT12_llPT13_lli, .Lfunc_end86-_ZN12_GLOBAL__N_135rocblas_gemm_batched_general_kernelIdLi16ELi16ELi32ELi32ELi8ELi32ELi8ELi8ELi32ELc84ELc67EKdS1_dEEvlllT_PT11_llS4_llS2_PT12_llPT13_lli
                                        ; -- End function
	.set _ZN12_GLOBAL__N_135rocblas_gemm_batched_general_kernelIdLi16ELi16ELi32ELi32ELi8ELi32ELi8ELi8ELi32ELc84ELc67EKdS1_dEEvlllT_PT11_llS4_llS2_PT12_llPT13_lli.num_vgpr, 44
	.set _ZN12_GLOBAL__N_135rocblas_gemm_batched_general_kernelIdLi16ELi16ELi32ELi32ELi8ELi32ELi8ELi8ELi32ELc84ELc67EKdS1_dEEvlllT_PT11_llS4_llS2_PT12_llPT13_lli.num_agpr, 0
	.set _ZN12_GLOBAL__N_135rocblas_gemm_batched_general_kernelIdLi16ELi16ELi32ELi32ELi8ELi32ELi8ELi8ELi32ELc84ELc67EKdS1_dEEvlllT_PT11_llS4_llS2_PT12_llPT13_lli.numbered_sgpr, 52
	.set _ZN12_GLOBAL__N_135rocblas_gemm_batched_general_kernelIdLi16ELi16ELi32ELi32ELi8ELi32ELi8ELi8ELi32ELc84ELc67EKdS1_dEEvlllT_PT11_llS4_llS2_PT12_llPT13_lli.num_named_barrier, 0
	.set _ZN12_GLOBAL__N_135rocblas_gemm_batched_general_kernelIdLi16ELi16ELi32ELi32ELi8ELi32ELi8ELi8ELi32ELc84ELc67EKdS1_dEEvlllT_PT11_llS4_llS2_PT12_llPT13_lli.private_seg_size, 0
	.set _ZN12_GLOBAL__N_135rocblas_gemm_batched_general_kernelIdLi16ELi16ELi32ELi32ELi8ELi32ELi8ELi8ELi32ELc84ELc67EKdS1_dEEvlllT_PT11_llS4_llS2_PT12_llPT13_lli.uses_vcc, 1
	.set _ZN12_GLOBAL__N_135rocblas_gemm_batched_general_kernelIdLi16ELi16ELi32ELi32ELi8ELi32ELi8ELi8ELi32ELc84ELc67EKdS1_dEEvlllT_PT11_llS4_llS2_PT12_llPT13_lli.uses_flat_scratch, 0
	.set _ZN12_GLOBAL__N_135rocblas_gemm_batched_general_kernelIdLi16ELi16ELi32ELi32ELi8ELi32ELi8ELi8ELi32ELc84ELc67EKdS1_dEEvlllT_PT11_llS4_llS2_PT12_llPT13_lli.has_dyn_sized_stack, 0
	.set _ZN12_GLOBAL__N_135rocblas_gemm_batched_general_kernelIdLi16ELi16ELi32ELi32ELi8ELi32ELi8ELi8ELi32ELc84ELc67EKdS1_dEEvlllT_PT11_llS4_llS2_PT12_llPT13_lli.has_recursion, 0
	.set _ZN12_GLOBAL__N_135rocblas_gemm_batched_general_kernelIdLi16ELi16ELi32ELi32ELi8ELi32ELi8ELi8ELi32ELc84ELc67EKdS1_dEEvlllT_PT11_llS4_llS2_PT12_llPT13_lli.has_indirect_call, 0
	.section	.AMDGPU.csdata,"",@progbits
; Kernel info:
; codeLenInByte = 2108
; TotalNumSgprs: 54
; NumVgprs: 44
; ScratchSize: 0
; MemoryBound: 0
; FloatMode: 240
; IeeeMode: 1
; LDSByteSize: 4096 bytes/workgroup (compile time only)
; SGPRBlocks: 0
; VGPRBlocks: 5
; NumSGPRsForWavesPerEU: 54
; NumVGPRsForWavesPerEU: 44
; Occupancy: 16
; WaveLimiterHint : 0
; COMPUTE_PGM_RSRC2:SCRATCH_EN: 0
; COMPUTE_PGM_RSRC2:USER_SGPR: 6
; COMPUTE_PGM_RSRC2:TRAP_HANDLER: 0
; COMPUTE_PGM_RSRC2:TGID_X_EN: 1
; COMPUTE_PGM_RSRC2:TGID_Y_EN: 1
; COMPUTE_PGM_RSRC2:TGID_Z_EN: 1
; COMPUTE_PGM_RSRC2:TIDIG_COMP_CNT: 1
	.section	.text._ZN12_GLOBAL__N_125rocblas_gemm_scale_kernelILi32ELi32E19rocblas_complex_numIfEPS2_EEviiT1_T2_llli,"axG",@progbits,_ZN12_GLOBAL__N_125rocblas_gemm_scale_kernelILi32ELi32E19rocblas_complex_numIfEPS2_EEviiT1_T2_llli,comdat
	.globl	_ZN12_GLOBAL__N_125rocblas_gemm_scale_kernelILi32ELi32E19rocblas_complex_numIfEPS2_EEviiT1_T2_llli ; -- Begin function _ZN12_GLOBAL__N_125rocblas_gemm_scale_kernelILi32ELi32E19rocblas_complex_numIfEPS2_EEviiT1_T2_llli
	.p2align	8
	.type	_ZN12_GLOBAL__N_125rocblas_gemm_scale_kernelILi32ELi32E19rocblas_complex_numIfEPS2_EEviiT1_T2_llli,@function
_ZN12_GLOBAL__N_125rocblas_gemm_scale_kernelILi32ELi32E19rocblas_complex_numIfEPS2_EEviiT1_T2_llli: ; @_ZN12_GLOBAL__N_125rocblas_gemm_scale_kernelILi32ELi32E19rocblas_complex_numIfEPS2_EEviiT1_T2_llli
; %bb.0:
	s_load_dwordx4 s[0:3], s[4:5], 0x0
	v_lshl_add_u32 v0, s6, 5, v0
	v_lshl_add_u32 v1, s7, 5, v1
	s_waitcnt lgkmcnt(0)
	v_cmp_gt_u32_e32 vcc_lo, s0, v0
	v_cmp_gt_u32_e64 s0, s1, v1
	s_and_b32 s0, vcc_lo, s0
	s_and_saveexec_b32 s1, s0
	s_cbranch_execz .LBB87_4
; %bb.1:
	s_load_dwordx8 s[12:19], s[4:5], 0x10
	s_waitcnt lgkmcnt(0)
	v_mad_u64_u32 v[2:3], null, s16, v1, 0
	s_mul_i32 s1, s19, s8
	s_mul_hi_u32 s4, s18, s8
	s_mul_i32 s0, s18, s8
	s_add_i32 s1, s4, s1
	s_lshl_b64 s[0:1], s[0:1], 3
	v_mad_u64_u32 v[3:4], null, s17, v1, v[3:4]
	v_mov_b32_e32 v1, 0
	s_add_u32 s4, s12, s0
	s_addc_u32 s5, s13, s1
	s_lshl_b64 s[0:1], s[14:15], 3
	s_add_u32 s0, s4, s0
	s_addc_u32 s1, s5, s1
	s_or_b32 s4, s2, s3
	v_lshlrev_b64 v[4:5], 3, v[2:3]
	v_lshlrev_b64 v[2:3], 3, v[0:1]
	v_mov_b32_e32 v0, v1
	s_bitset0_b32 s4, 31
	s_cmp_eq_u32 s4, 0
	s_cbranch_scc1 .LBB87_3
; %bb.2:
	v_add_co_u32 v0, vcc_lo, s0, v4
	v_add_co_ci_u32_e64 v1, null, s1, v5, vcc_lo
	v_add_co_u32 v0, vcc_lo, v0, v2
	v_add_co_ci_u32_e64 v1, null, v1, v3, vcc_lo
	global_load_dwordx2 v[6:7], v[0:1], off
	s_waitcnt vmcnt(0)
	v_mul_f32_e32 v0, s3, v7
	v_mul_f32_e32 v1, s2, v7
	v_fma_f32 v0, v6, s2, -v0
	v_fmac_f32_e32 v1, s3, v6
.LBB87_3:
	v_add_co_u32 v4, vcc_lo, s0, v4
	v_add_co_ci_u32_e64 v5, null, s1, v5, vcc_lo
	v_add_co_u32 v2, vcc_lo, v4, v2
	v_add_co_ci_u32_e64 v3, null, v5, v3, vcc_lo
	global_store_dwordx2 v[2:3], v[0:1], off
.LBB87_4:
	s_endpgm
	.section	.rodata,"a",@progbits
	.p2align	6, 0x0
	.amdhsa_kernel _ZN12_GLOBAL__N_125rocblas_gemm_scale_kernelILi32ELi32E19rocblas_complex_numIfEPS2_EEviiT1_T2_llli
		.amdhsa_group_segment_fixed_size 0
		.amdhsa_private_segment_fixed_size 0
		.amdhsa_kernarg_size 52
		.amdhsa_user_sgpr_count 6
		.amdhsa_user_sgpr_private_segment_buffer 1
		.amdhsa_user_sgpr_dispatch_ptr 0
		.amdhsa_user_sgpr_queue_ptr 0
		.amdhsa_user_sgpr_kernarg_segment_ptr 1
		.amdhsa_user_sgpr_dispatch_id 0
		.amdhsa_user_sgpr_flat_scratch_init 0
		.amdhsa_user_sgpr_private_segment_size 0
		.amdhsa_wavefront_size32 1
		.amdhsa_uses_dynamic_stack 0
		.amdhsa_system_sgpr_private_segment_wavefront_offset 0
		.amdhsa_system_sgpr_workgroup_id_x 1
		.amdhsa_system_sgpr_workgroup_id_y 1
		.amdhsa_system_sgpr_workgroup_id_z 1
		.amdhsa_system_sgpr_workgroup_info 0
		.amdhsa_system_vgpr_workitem_id 1
		.amdhsa_next_free_vgpr 8
		.amdhsa_next_free_sgpr 20
		.amdhsa_reserve_vcc 1
		.amdhsa_reserve_flat_scratch 0
		.amdhsa_float_round_mode_32 0
		.amdhsa_float_round_mode_16_64 0
		.amdhsa_float_denorm_mode_32 3
		.amdhsa_float_denorm_mode_16_64 3
		.amdhsa_dx10_clamp 1
		.amdhsa_ieee_mode 1
		.amdhsa_fp16_overflow 0
		.amdhsa_workgroup_processor_mode 1
		.amdhsa_memory_ordered 1
		.amdhsa_forward_progress 1
		.amdhsa_shared_vgpr_count 0
		.amdhsa_exception_fp_ieee_invalid_op 0
		.amdhsa_exception_fp_denorm_src 0
		.amdhsa_exception_fp_ieee_div_zero 0
		.amdhsa_exception_fp_ieee_overflow 0
		.amdhsa_exception_fp_ieee_underflow 0
		.amdhsa_exception_fp_ieee_inexact 0
		.amdhsa_exception_int_div_zero 0
	.end_amdhsa_kernel
	.section	.text._ZN12_GLOBAL__N_125rocblas_gemm_scale_kernelILi32ELi32E19rocblas_complex_numIfEPS2_EEviiT1_T2_llli,"axG",@progbits,_ZN12_GLOBAL__N_125rocblas_gemm_scale_kernelILi32ELi32E19rocblas_complex_numIfEPS2_EEviiT1_T2_llli,comdat
.Lfunc_end87:
	.size	_ZN12_GLOBAL__N_125rocblas_gemm_scale_kernelILi32ELi32E19rocblas_complex_numIfEPS2_EEviiT1_T2_llli, .Lfunc_end87-_ZN12_GLOBAL__N_125rocblas_gemm_scale_kernelILi32ELi32E19rocblas_complex_numIfEPS2_EEviiT1_T2_llli
                                        ; -- End function
	.set _ZN12_GLOBAL__N_125rocblas_gemm_scale_kernelILi32ELi32E19rocblas_complex_numIfEPS2_EEviiT1_T2_llli.num_vgpr, 8
	.set _ZN12_GLOBAL__N_125rocblas_gemm_scale_kernelILi32ELi32E19rocblas_complex_numIfEPS2_EEviiT1_T2_llli.num_agpr, 0
	.set _ZN12_GLOBAL__N_125rocblas_gemm_scale_kernelILi32ELi32E19rocblas_complex_numIfEPS2_EEviiT1_T2_llli.numbered_sgpr, 20
	.set _ZN12_GLOBAL__N_125rocblas_gemm_scale_kernelILi32ELi32E19rocblas_complex_numIfEPS2_EEviiT1_T2_llli.num_named_barrier, 0
	.set _ZN12_GLOBAL__N_125rocblas_gemm_scale_kernelILi32ELi32E19rocblas_complex_numIfEPS2_EEviiT1_T2_llli.private_seg_size, 0
	.set _ZN12_GLOBAL__N_125rocblas_gemm_scale_kernelILi32ELi32E19rocblas_complex_numIfEPS2_EEviiT1_T2_llli.uses_vcc, 1
	.set _ZN12_GLOBAL__N_125rocblas_gemm_scale_kernelILi32ELi32E19rocblas_complex_numIfEPS2_EEviiT1_T2_llli.uses_flat_scratch, 0
	.set _ZN12_GLOBAL__N_125rocblas_gemm_scale_kernelILi32ELi32E19rocblas_complex_numIfEPS2_EEviiT1_T2_llli.has_dyn_sized_stack, 0
	.set _ZN12_GLOBAL__N_125rocblas_gemm_scale_kernelILi32ELi32E19rocblas_complex_numIfEPS2_EEviiT1_T2_llli.has_recursion, 0
	.set _ZN12_GLOBAL__N_125rocblas_gemm_scale_kernelILi32ELi32E19rocblas_complex_numIfEPS2_EEviiT1_T2_llli.has_indirect_call, 0
	.section	.AMDGPU.csdata,"",@progbits
; Kernel info:
; codeLenInByte = 268
; TotalNumSgprs: 22
; NumVgprs: 8
; ScratchSize: 0
; MemoryBound: 0
; FloatMode: 240
; IeeeMode: 1
; LDSByteSize: 0 bytes/workgroup (compile time only)
; SGPRBlocks: 0
; VGPRBlocks: 0
; NumSGPRsForWavesPerEU: 22
; NumVGPRsForWavesPerEU: 8
; Occupancy: 16
; WaveLimiterHint : 0
; COMPUTE_PGM_RSRC2:SCRATCH_EN: 0
; COMPUTE_PGM_RSRC2:USER_SGPR: 6
; COMPUTE_PGM_RSRC2:TRAP_HANDLER: 0
; COMPUTE_PGM_RSRC2:TGID_X_EN: 1
; COMPUTE_PGM_RSRC2:TGID_Y_EN: 1
; COMPUTE_PGM_RSRC2:TGID_Z_EN: 1
; COMPUTE_PGM_RSRC2:TIDIG_COMP_CNT: 1
	.section	.text._ZN12_GLOBAL__N_120gemm_ex_scale_kernelILi32ELi32E19rocblas_complex_numIfEPKS2_PS2_EEviiT1_T2_lllT3_llli,"axG",@progbits,_ZN12_GLOBAL__N_120gemm_ex_scale_kernelILi32ELi32E19rocblas_complex_numIfEPKS2_PS2_EEviiT1_T2_lllT3_llli,comdat
	.globl	_ZN12_GLOBAL__N_120gemm_ex_scale_kernelILi32ELi32E19rocblas_complex_numIfEPKS2_PS2_EEviiT1_T2_lllT3_llli ; -- Begin function _ZN12_GLOBAL__N_120gemm_ex_scale_kernelILi32ELi32E19rocblas_complex_numIfEPKS2_PS2_EEviiT1_T2_lllT3_llli
	.p2align	8
	.type	_ZN12_GLOBAL__N_120gemm_ex_scale_kernelILi32ELi32E19rocblas_complex_numIfEPKS2_PS2_EEviiT1_T2_lllT3_llli,@function
_ZN12_GLOBAL__N_120gemm_ex_scale_kernelILi32ELi32E19rocblas_complex_numIfEPKS2_PS2_EEviiT1_T2_lllT3_llli: ; @_ZN12_GLOBAL__N_120gemm_ex_scale_kernelILi32ELi32E19rocblas_complex_numIfEPKS2_PS2_EEviiT1_T2_lllT3_llli
; %bb.0:
	s_load_dwordx4 s[0:3], s[4:5], 0x0
	v_lshl_add_u32 v0, s6, 5, v0
	v_lshl_add_u32 v5, s7, 5, v1
	s_waitcnt lgkmcnt(0)
	v_cmp_gt_u32_e32 vcc_lo, s0, v0
	v_cmp_gt_u32_e64 s0, s1, v5
	s_and_b32 s0, vcc_lo, s0
	s_and_saveexec_b32 s1, s0
	s_cbranch_execz .LBB88_6
; %bb.1:
	s_or_b32 s0, s2, s3
	v_mov_b32_e32 v1, 0
	s_bitset0_b32 s0, 31
	s_cmp_lg_u32 s0, 0
	s_mov_b32 s0, 0
	s_cbranch_scc1 .LBB88_3
; %bb.2:
	v_mov_b32_e32 v3, 0
	v_mov_b32_e32 v2, v0
	s_load_dwordx16 s[12:27], s[4:5], 0x10
	v_mov_b32_e32 v4, 0
	s_andn2_b32 vcc_lo, exec_lo, s0
	s_cbranch_vccz .LBB88_4
	s_branch .LBB88_5
.LBB88_3:
	v_mov_b32_e32 v3, v1
	v_mov_b32_e32 v2, v0
	s_load_dwordx16 s[12:27], s[4:5], 0x10
	v_mov_b32_e32 v4, 0
.LBB88_4:
	s_waitcnt lgkmcnt(0)
	v_mad_u64_u32 v[6:7], null, s16, v5, 0
	s_mul_i32 s1, s19, s8
	s_mul_hi_u32 s4, s18, s8
	s_mul_i32 s0, s18, s8
	s_add_i32 s1, s4, s1
	v_lshlrev_b64 v[0:1], 3, v[0:1]
	s_lshl_b64 s[0:1], s[0:1], 3
	v_mov_b32_e32 v4, v7
	s_add_u32 s4, s12, s0
	s_addc_u32 s5, s13, s1
	s_lshl_b64 s[0:1], s[14:15], 3
	s_add_u32 s0, s4, s0
	v_mad_u64_u32 v[7:8], null, s17, v5, v[4:5]
	s_addc_u32 s1, s5, s1
	v_lshlrev_b64 v[6:7], 3, v[6:7]
	v_add_co_u32 v4, vcc_lo, s0, v6
	v_add_co_ci_u32_e64 v6, null, s1, v7, vcc_lo
	v_add_co_u32 v0, vcc_lo, v4, v0
	v_add_co_ci_u32_e64 v1, null, v6, v1, vcc_lo
	global_load_dwordx2 v[0:1], v[0:1], off
	s_waitcnt vmcnt(0)
	v_mul_f32_e32 v4, s3, v1
	v_mul_f32_e32 v1, s2, v1
	v_fma_f32 v4, v0, s2, -v4
	v_fmac_f32_e32 v1, s3, v0
.LBB88_5:
	s_waitcnt lgkmcnt(0)
	v_mad_u64_u32 v[6:7], null, s24, v5, 0
	s_mul_i32 s1, s27, s8
	s_mul_hi_u32 s2, s26, s8
	s_mul_i32 s0, s26, s8
	s_add_i32 s1, s2, s1
	v_lshlrev_b64 v[2:3], 3, v[2:3]
	s_lshl_b64 s[0:1], s[0:1], 3
	v_mov_b32_e32 v0, v7
	s_add_u32 s2, s20, s0
	s_addc_u32 s3, s21, s1
	s_lshl_b64 s[0:1], s[22:23], 3
	s_add_u32 s0, s2, s0
	v_mad_u64_u32 v[7:8], null, s25, v5, v[0:1]
	s_addc_u32 s1, s3, s1
	v_lshlrev_b64 v[5:6], 3, v[6:7]
	v_add_co_u32 v0, vcc_lo, s0, v5
	v_add_co_ci_u32_e64 v5, null, s1, v6, vcc_lo
	v_add_co_u32 v2, vcc_lo, v0, v2
	v_add_co_ci_u32_e64 v3, null, v5, v3, vcc_lo
	v_mov_b32_e32 v5, v1
	global_store_dwordx2 v[2:3], v[4:5], off
.LBB88_6:
	s_endpgm
	.section	.rodata,"a",@progbits
	.p2align	6, 0x0
	.amdhsa_kernel _ZN12_GLOBAL__N_120gemm_ex_scale_kernelILi32ELi32E19rocblas_complex_numIfEPKS2_PS2_EEviiT1_T2_lllT3_llli
		.amdhsa_group_segment_fixed_size 0
		.amdhsa_private_segment_fixed_size 0
		.amdhsa_kernarg_size 84
		.amdhsa_user_sgpr_count 6
		.amdhsa_user_sgpr_private_segment_buffer 1
		.amdhsa_user_sgpr_dispatch_ptr 0
		.amdhsa_user_sgpr_queue_ptr 0
		.amdhsa_user_sgpr_kernarg_segment_ptr 1
		.amdhsa_user_sgpr_dispatch_id 0
		.amdhsa_user_sgpr_flat_scratch_init 0
		.amdhsa_user_sgpr_private_segment_size 0
		.amdhsa_wavefront_size32 1
		.amdhsa_uses_dynamic_stack 0
		.amdhsa_system_sgpr_private_segment_wavefront_offset 0
		.amdhsa_system_sgpr_workgroup_id_x 1
		.amdhsa_system_sgpr_workgroup_id_y 1
		.amdhsa_system_sgpr_workgroup_id_z 1
		.amdhsa_system_sgpr_workgroup_info 0
		.amdhsa_system_vgpr_workitem_id 1
		.amdhsa_next_free_vgpr 9
		.amdhsa_next_free_sgpr 28
		.amdhsa_reserve_vcc 1
		.amdhsa_reserve_flat_scratch 0
		.amdhsa_float_round_mode_32 0
		.amdhsa_float_round_mode_16_64 0
		.amdhsa_float_denorm_mode_32 3
		.amdhsa_float_denorm_mode_16_64 3
		.amdhsa_dx10_clamp 1
		.amdhsa_ieee_mode 1
		.amdhsa_fp16_overflow 0
		.amdhsa_workgroup_processor_mode 1
		.amdhsa_memory_ordered 1
		.amdhsa_forward_progress 1
		.amdhsa_shared_vgpr_count 0
		.amdhsa_exception_fp_ieee_invalid_op 0
		.amdhsa_exception_fp_denorm_src 0
		.amdhsa_exception_fp_ieee_div_zero 0
		.amdhsa_exception_fp_ieee_overflow 0
		.amdhsa_exception_fp_ieee_underflow 0
		.amdhsa_exception_fp_ieee_inexact 0
		.amdhsa_exception_int_div_zero 0
	.end_amdhsa_kernel
	.section	.text._ZN12_GLOBAL__N_120gemm_ex_scale_kernelILi32ELi32E19rocblas_complex_numIfEPKS2_PS2_EEviiT1_T2_lllT3_llli,"axG",@progbits,_ZN12_GLOBAL__N_120gemm_ex_scale_kernelILi32ELi32E19rocblas_complex_numIfEPKS2_PS2_EEviiT1_T2_lllT3_llli,comdat
.Lfunc_end88:
	.size	_ZN12_GLOBAL__N_120gemm_ex_scale_kernelILi32ELi32E19rocblas_complex_numIfEPKS2_PS2_EEviiT1_T2_lllT3_llli, .Lfunc_end88-_ZN12_GLOBAL__N_120gemm_ex_scale_kernelILi32ELi32E19rocblas_complex_numIfEPKS2_PS2_EEviiT1_T2_lllT3_llli
                                        ; -- End function
	.set _ZN12_GLOBAL__N_120gemm_ex_scale_kernelILi32ELi32E19rocblas_complex_numIfEPKS2_PS2_EEviiT1_T2_lllT3_llli.num_vgpr, 9
	.set _ZN12_GLOBAL__N_120gemm_ex_scale_kernelILi32ELi32E19rocblas_complex_numIfEPKS2_PS2_EEviiT1_T2_lllT3_llli.num_agpr, 0
	.set _ZN12_GLOBAL__N_120gemm_ex_scale_kernelILi32ELi32E19rocblas_complex_numIfEPKS2_PS2_EEviiT1_T2_lllT3_llli.numbered_sgpr, 28
	.set _ZN12_GLOBAL__N_120gemm_ex_scale_kernelILi32ELi32E19rocblas_complex_numIfEPKS2_PS2_EEviiT1_T2_lllT3_llli.num_named_barrier, 0
	.set _ZN12_GLOBAL__N_120gemm_ex_scale_kernelILi32ELi32E19rocblas_complex_numIfEPKS2_PS2_EEviiT1_T2_lllT3_llli.private_seg_size, 0
	.set _ZN12_GLOBAL__N_120gemm_ex_scale_kernelILi32ELi32E19rocblas_complex_numIfEPKS2_PS2_EEviiT1_T2_lllT3_llli.uses_vcc, 1
	.set _ZN12_GLOBAL__N_120gemm_ex_scale_kernelILi32ELi32E19rocblas_complex_numIfEPKS2_PS2_EEviiT1_T2_lllT3_llli.uses_flat_scratch, 0
	.set _ZN12_GLOBAL__N_120gemm_ex_scale_kernelILi32ELi32E19rocblas_complex_numIfEPKS2_PS2_EEviiT1_T2_lllT3_llli.has_dyn_sized_stack, 0
	.set _ZN12_GLOBAL__N_120gemm_ex_scale_kernelILi32ELi32E19rocblas_complex_numIfEPKS2_PS2_EEviiT1_T2_lllT3_llli.has_recursion, 0
	.set _ZN12_GLOBAL__N_120gemm_ex_scale_kernelILi32ELi32E19rocblas_complex_numIfEPKS2_PS2_EEviiT1_T2_lllT3_llli.has_indirect_call, 0
	.section	.AMDGPU.csdata,"",@progbits
; Kernel info:
; codeLenInByte = 400
; TotalNumSgprs: 30
; NumVgprs: 9
; ScratchSize: 0
; MemoryBound: 0
; FloatMode: 240
; IeeeMode: 1
; LDSByteSize: 0 bytes/workgroup (compile time only)
; SGPRBlocks: 0
; VGPRBlocks: 1
; NumSGPRsForWavesPerEU: 30
; NumVGPRsForWavesPerEU: 9
; Occupancy: 16
; WaveLimiterHint : 0
; COMPUTE_PGM_RSRC2:SCRATCH_EN: 0
; COMPUTE_PGM_RSRC2:USER_SGPR: 6
; COMPUTE_PGM_RSRC2:TRAP_HANDLER: 0
; COMPUTE_PGM_RSRC2:TGID_X_EN: 1
; COMPUTE_PGM_RSRC2:TGID_Y_EN: 1
; COMPUTE_PGM_RSRC2:TGID_Z_EN: 1
; COMPUTE_PGM_RSRC2:TIDIG_COMP_CNT: 1
	.section	.text._ZN12_GLOBAL__N_127rocblas_gemm_batched_kernelI19rocblas_complex_numIfELi16ELi16ELi64ELi64ELi4ELi64ELi4ELi4ELi64ELc78ELc78EKS2_S3_S2_EEvlllT_PT11_llS6_llS4_PT12_llPT13_lli,"axG",@progbits,_ZN12_GLOBAL__N_127rocblas_gemm_batched_kernelI19rocblas_complex_numIfELi16ELi16ELi64ELi64ELi4ELi64ELi4ELi4ELi64ELc78ELc78EKS2_S3_S2_EEvlllT_PT11_llS6_llS4_PT12_llPT13_lli,comdat
	.globl	_ZN12_GLOBAL__N_127rocblas_gemm_batched_kernelI19rocblas_complex_numIfELi16ELi16ELi64ELi64ELi4ELi64ELi4ELi4ELi64ELc78ELc78EKS2_S3_S2_EEvlllT_PT11_llS6_llS4_PT12_llPT13_lli ; -- Begin function _ZN12_GLOBAL__N_127rocblas_gemm_batched_kernelI19rocblas_complex_numIfELi16ELi16ELi64ELi64ELi4ELi64ELi4ELi4ELi64ELc78ELc78EKS2_S3_S2_EEvlllT_PT11_llS6_llS4_PT12_llPT13_lli
	.p2align	8
	.type	_ZN12_GLOBAL__N_127rocblas_gemm_batched_kernelI19rocblas_complex_numIfELi16ELi16ELi64ELi64ELi4ELi64ELi4ELi4ELi64ELc78ELc78EKS2_S3_S2_EEvlllT_PT11_llS6_llS4_PT12_llPT13_lli,@function
_ZN12_GLOBAL__N_127rocblas_gemm_batched_kernelI19rocblas_complex_numIfELi16ELi16ELi64ELi64ELi4ELi64ELi4ELi4ELi64ELc78ELc78EKS2_S3_S2_EEvlllT_PT11_llS6_llS4_PT12_llPT13_lli: ; @_ZN12_GLOBAL__N_127rocblas_gemm_batched_kernelI19rocblas_complex_numIfELi16ELi16ELi64ELi64ELi4ELi64ELi4ELi4ELi64ELc78ELc78EKS2_S3_S2_EEvlllT_PT11_llS6_llS4_PT12_llPT13_lli
; %bb.0:
	s_clause 0x1
	s_load_dwordx16 s[12:27], s[4:5], 0x10
	s_load_dwordx2 s[10:11], s[4:5], 0x50
	s_mov_b32 s0, s7
	v_mov_b32_e32 v40, 0
	v_mov_b32_e32 v41, 0
	;; [unrolled: 1-line block ×17, first 2 shown]
	s_waitcnt lgkmcnt(0)
	v_cmp_lt_i64_e64 s2, s[12:13], 1
	v_mov_b32_e32 v25, 0
	v_mov_b32_e32 v22, 0
	;; [unrolled: 1-line block ×15, first 2 shown]
	s_ashr_i32 s7, s6, 31
	s_ashr_i32 s1, s0, 31
	s_lshl_b64 s[28:29], s[6:7], 6
	s_and_b32 vcc_lo, exec_lo, s2
	s_lshl_b64 s[30:31], s[0:1], 6
	s_cbranch_vccnz .LBB89_3
; %bb.1:
	v_lshl_add_u32 v2, v1, 4, v0
	v_and_b32_e32 v3, 3, v0
	s_mul_hi_u32 s1, s20, s8
	v_mov_b32_e32 v10, 0
	v_lshlrev_b32_e32 v42, 3, v0
	v_lshrrev_b32_e32 v4, 2, v2
	v_lshlrev_b32_e32 v9, 3, v3
	v_and_b32_e32 v8, 63, v2
	v_lshrrev_b32_e32 v6, 6, v2
	v_lshl_add_u32 v45, v1, 5, 0x800
	v_mov_b32_e32 v13, 0
	v_lshl_or_b32 v3, v4, 5, v9
	v_add_co_u32 v4, s0, v4, s30
	v_lshlrev_b32_e32 v2, 3, v8
	v_add_co_ci_u32_e64 v5, null, 0, s31, s0
	v_add_nc_u32_e32 v44, 0x800, v3
	v_mul_lo_u32 v11, s25, v4
	v_lshl_or_b32 v43, v6, 9, v2
	v_mad_u64_u32 v[2:3], null, s18, v6, s[28:29]
	v_mul_lo_u32 v12, s24, v5
	v_mad_u64_u32 v[4:5], null, s24, v4, 0
	s_mul_i32 s0, s21, s8
	v_mov_b32_e32 v15, 0
	s_add_i32 s1, s1, s0
	s_mul_i32 s0, s20, s8
	v_mov_b32_e32 v14, 0
	s_lshl_b64 s[0:1], s[0:1], 3
	v_mad_u64_u32 v[6:7], null, s19, v6, v[3:4]
	v_add3_u32 v5, v5, v12, v11
	s_add_u32 s2, s16, s0
	s_addc_u32 s3, s17, s1
	s_mul_i32 s0, s27, s8
	s_mul_hi_u32 s1, s26, s8
	v_lshlrev_b64 v[3:4], 3, v[4:5]
	v_add_co_u32 v5, vcc_lo, v2, v8
	s_add_i32 s1, s1, s0
	s_mul_i32 s0, s26, s8
	v_add_co_ci_u32_e64 v6, null, 0, v6, vcc_lo
	s_lshl_b64 s[0:1], s[0:1], 3
	v_mov_b32_e32 v11, 0
	v_add_co_u32 v7, vcc_lo, v3, s0
	v_add_co_ci_u32_e64 v4, null, s1, v4, vcc_lo
	v_lshlrev_b64 v[2:3], 3, v[5:6]
	v_add_co_u32 v5, vcc_lo, v7, v9
	v_add_co_ci_u32_e64 v6, null, 0, v4, vcc_lo
	v_mov_b32_e32 v12, 0
	v_add_co_u32 v2, vcc_lo, s2, v2
	v_add_co_ci_u32_e64 v3, null, s3, v3, vcc_lo
	v_add_co_u32 v4, vcc_lo, s22, v5
	v_add_co_ci_u32_e64 v5, null, s23, v6, vcc_lo
	v_mov_b32_e32 v17, 0
	v_mov_b32_e32 v16, 0
	;; [unrolled: 1-line block ×26, first 2 shown]
	s_lshl_b64 s[0:1], s[18:19], 5
	s_mov_b64 s[2:3], 0
.LBB89_2:                               ; =>This Inner Loop Header: Depth=1
	global_load_dwordx2 v[6:7], v[2:3], off
	global_load_dwordx2 v[8:9], v[4:5], off
	s_add_u32 s2, s2, 4
	s_addc_u32 s3, s3, 0
	v_add_co_u32 v2, vcc_lo, v2, s0
	v_cmp_lt_i64_e64 s6, s[2:3], s[12:13]
	v_add_co_ci_u32_e64 v3, null, s1, v3, vcc_lo
	v_add_co_u32 v4, vcc_lo, v4, 32
	v_add_co_ci_u32_e64 v5, null, 0, v5, vcc_lo
	s_and_b32 vcc_lo, exec_lo, s6
	s_waitcnt vmcnt(1)
	ds_write_b64 v43, v[6:7]
	s_waitcnt vmcnt(0)
	ds_write_b64 v44, v[8:9]
	s_waitcnt lgkmcnt(0)
	s_barrier
	buffer_gl0_inv
	ds_read_b128 v[6:9], v45
	ds_read2_b64 v[46:49], v42 offset1:16
	ds_read_b128 v[50:53], v45 offset:512
	ds_read_b128 v[54:57], v45 offset:16
	;; [unrolled: 1-line block ×7, first 2 shown]
	ds_read2_b64 v[78:81], v42 offset0:32 offset1:48
	ds_read2_b64 v[82:85], v42 offset0:64 offset1:80
	;; [unrolled: 1-line block ×7, first 2 shown]
	s_waitcnt lgkmcnt(0)
	s_barrier
	buffer_gl0_inv
	v_mul_f32_e32 v106, v7, v47
	v_mul_f32_e32 v107, v6, v47
	;; [unrolled: 1-line block ×64, first 2 shown]
	v_fma_f32 v106, v6, v46, -v106
	v_fmac_f32_e32 v107, v7, v46
	v_fma_f32 v108, v6, v48, -v108
	v_fmac_f32_e32 v109, v7, v48
	;; [unrolled: 2-line block ×16, first 2 shown]
	v_mul_f32_e32 v162, v55, v91
	v_mul_f32_e32 v163, v54, v91
	;; [unrolled: 1-line block ×28, first 2 shown]
	v_fma_f32 v124, v8, v82, -v134
	v_fmac_f32_e32 v135, v9, v82
	v_fma_f32 v126, v8, v84, -v136
	v_fmac_f32_e32 v137, v9, v84
	;; [unrolled: 2-line block ×4, first 2 shown]
	v_mul_f32_e32 v9, v75, v95
	v_mul_f32_e32 v95, v74, v95
	;; [unrolled: 1-line block ×4, first 2 shown]
	v_fma_f32 v132, v52, v82, -v142
	v_fmac_f32_e32 v143, v53, v82
	v_fma_f32 v133, v52, v84, -v144
	v_fmac_f32_e32 v145, v53, v84
	v_fma_f32 v134, v52, v86, -v146
	v_fmac_f32_e32 v147, v53, v86
	v_fma_f32 v52, v52, v88, -v148
	v_fmac_f32_e32 v149, v53, v88
	v_mul_f32_e32 v136, v56, v99
	v_mul_f32_e32 v140, v56, v101
	v_fma_f32 v142, v64, v82, -v150
	v_fmac_f32_e32 v151, v65, v82
	v_fma_f32 v144, v64, v84, -v152
	v_fmac_f32_e32 v153, v65, v84
	;; [unrolled: 2-line block ×4, first 2 shown]
	v_mul_f32_e32 v148, v56, v103
	v_mul_f32_e32 v152, v56, v105
	v_fma_f32 v154, v72, v82, -v158
	v_fmac_f32_e32 v83, v73, v82
	v_fma_f32 v82, v72, v84, -v159
	v_fmac_f32_e32 v85, v73, v84
	;; [unrolled: 2-line block ×4, first 2 shown]
	v_add_f32_e32 v40, v40, v106
	v_add_f32_e32 v41, v41, v107
	;; [unrolled: 1-line block ×32, first 2 shown]
	v_mul_f32_e32 v53, v57, v99
	v_mul_f32_e32 v138, v57, v101
	;; [unrolled: 1-line block ×16, first 2 shown]
	v_fma_f32 v162, v54, v90, -v162
	v_fmac_f32_e32 v163, v55, v90
	v_fma_f32 v164, v54, v92, -v164
	v_fmac_f32_e32 v165, v55, v92
	;; [unrolled: 2-line block ×8, first 2 shown]
	v_mul_f32_e32 v92, v69, v103
	v_mul_f32_e32 v175, v68, v103
	;; [unrolled: 1-line block ×4, first 2 shown]
	v_fma_f32 v176, v54, v94, -v176
	v_fmac_f32_e32 v177, v55, v94
	v_fma_f32 v54, v54, v96, -v178
	v_fmac_f32_e32 v179, v55, v96
	;; [unrolled: 2-line block ×8, first 2 shown]
	v_mul_f32_e32 v67, v77, v99
	v_mul_f32_e32 v71, v76, v99
	;; [unrolled: 1-line block ×4, first 2 shown]
	v_fmac_f32_e32 v136, v57, v98
	v_fmac_f32_e32 v140, v57, v100
	;; [unrolled: 1-line block ×4, first 2 shown]
	v_mul_f32_e32 v57, v77, v103
	v_mul_f32_e32 v94, v76, v103
	;; [unrolled: 1-line block ×4, first 2 shown]
	v_add_f32_e32 v29, v40, v124
	v_add_f32_e32 v35, v41, v135
	;; [unrolled: 1-line block ×32, first 2 shown]
	v_fma_f32 v53, v56, v98, -v53
	v_fma_f32 v80, v56, v100, -v138
	;; [unrolled: 1-line block ×5, first 2 shown]
	v_fmac_f32_e32 v156, v61, v98
	v_fma_f32 v101, v60, v100, -v158
	v_fmac_f32_e32 v159, v61, v100
	v_fma_f32 v73, v60, v102, -v73
	;; [unrolled: 2-line block ×11, first 2 shown]
	v_fmac_f32_e32 v99, v77, v104
	v_add_f32_e32 v29, v29, v162
	v_add_f32_e32 v34, v35, v163
	v_add_f32_e32 v35, v38, v164
	v_add_f32_e32 v39, v39, v165
	v_add_f32_e32 v36, v36, v176
	v_add_f32_e32 v37, v37, v177
	v_add_f32_e32 v6, v6, v54
	v_add_f32_e32 v8, v8, v179
	v_add_f32_e32 v32, v32, v166
	v_add_f32_e32 v33, v33, v167
	v_add_f32_e32 v30, v30, v168
	v_add_f32_e32 v31, v31, v169
	v_add_f32_e32 v7, v7, v48
	v_add_f32_e32 v46, v28, v119
	v_add_f32_e32 v26, v26, v55
	v_add_f32_e32 v27, v27, v181
	v_add_f32_e32 v24, v24, v170
	v_add_f32_e32 v25, v25, v171
	v_add_f32_e32 v22, v22, v172
	v_add_f32_e32 v23, v23, v173
	v_add_f32_e32 v20, v20, v58
	v_add_f32_e32 v21, v21, v78
	v_add_f32_e32 v18, v18, v59
	v_add_f32_e32 v19, v19, v122
	v_add_f32_e32 v16, v16, v174
	v_add_f32_e32 v17, v17, v91
	v_add_f32_e32 v14, v14, v90
	v_add_f32_e32 v15, v15, v93
	v_add_f32_e32 v9, v12, v9
	v_add_f32_e32 v13, v13, v95
	v_add_f32_e32 v11, v11, v66
	v_add_f32_e32 v10, v10, v97
	v_add_f32_e32 v40, v29, v53
	v_add_f32_e32 v41, v34, v136
	v_add_f32_e32 v38, v35, v80
	v_add_f32_e32 v39, v39, v140
	v_add_f32_e32 v36, v36, v65
	v_add_f32_e32 v37, v37, v148
	v_add_f32_e32 v34, v6, v56
	v_add_f32_e32 v35, v8, v152
	v_add_f32_e32 v32, v32, v84
	v_add_f32_e32 v33, v33, v156
	v_add_f32_e32 v30, v30, v101
	v_add_f32_e32 v31, v31, v159
	v_add_f32_e32 v28, v7, v73
	v_add_f32_e32 v29, v46, v86
	v_add_f32_e32 v26, v26, v60
	v_add_f32_e32 v27, v27, v161
	v_add_f32_e32 v24, v24, v61
	v_add_f32_e32 v25, v25, v183
	v_add_f32_e32 v22, v22, v88
	v_add_f32_e32 v23, v23, v185
	v_add_f32_e32 v20, v20, v92
	v_add_f32_e32 v21, v21, v175
	v_add_f32_e32 v18, v18, v68
	v_add_f32_e32 v19, v19, v187
	v_add_f32_e32 v16, v16, v67
	v_add_f32_e32 v17, v17, v71
	v_add_f32_e32 v14, v14, v69
	v_add_f32_e32 v15, v15, v75
	v_add_f32_e32 v12, v9, v57
	v_add_f32_e32 v13, v13, v94
	v_add_f32_e32 v11, v11, v74
	v_add_f32_e32 v10, v10, v99
	s_cbranch_vccnz .LBB89_2
.LBB89_3:
	s_clause 0x1
	s_load_dwordx4 s[16:19], s[4:5], 0x78
	s_load_dwordx8 s[0:7], s[4:5], 0x58
	s_waitcnt lgkmcnt(0)
	s_mul_i32 s9, s19, s8
	s_mul_hi_u32 s13, s18, s8
	s_mul_i32 s12, s18, s8
	s_add_i32 s13, s13, s9
	s_lshl_b64 s[12:13], s[12:13], 3
	s_add_u32 s9, s6, s12
	s_addc_u32 s12, s7, s13
	v_add_co_u32 v4, s7, s30, v1
	v_add_co_ci_u32_e64 v5, null, s31, 0, s7
	v_add_co_u32 v0, s7, s28, v0
	s_or_b32 s6, s10, s11
	v_add_co_ci_u32_e64 v1, null, s29, 0, s7
	s_bitset0_b32 s6, 31
	s_mov_b32 s13, 0
	s_cmp_lg_u32 s6, 0
	s_cbranch_scc1 .LBB89_5
; %bb.4:
	v_mul_lo_u32 v6, v5, s16
	v_mul_lo_u32 v8, v4, s17
	v_mad_u64_u32 v[2:3], null, v4, s16, 0
	v_mul_f32_e32 v42, s15, v41
	v_mul_f32_e32 v7, s14, v41
	;; [unrolled: 1-line block ×6, first 2 shown]
	v_add3_u32 v3, v3, v8, v6
	v_lshlrev_b64 v[8:9], 3, v[0:1]
	v_mul_f32_e32 v48, s15, v35
	v_mul_f32_e32 v47, s14, v35
	v_fma_f32 v6, v40, s14, -v42
	v_lshlrev_b64 v[2:3], 3, v[2:3]
	v_fmac_f32_e32 v7, s15, v40
	v_fma_f32 v42, v38, s14, -v44
	v_fmac_f32_e32 v43, s15, v38
	s_lshl_b64 s[6:7], s[16:17], 7
	v_fma_f32 v44, v36, s14, -v46
	v_add_co_u32 v49, vcc_lo, s9, v2
	v_add_co_ci_u32_e64 v50, null, s12, v3, vcc_lo
	v_fmac_f32_e32 v45, s15, v36
	v_add_co_u32 v2, vcc_lo, v49, v8
	v_add_co_ci_u32_e64 v3, null, v50, v9, vcc_lo
	v_fma_f32 v46, v34, s14, -v48
	v_fmac_f32_e32 v47, s15, v34
	v_add_co_u32 v48, vcc_lo, v49, s6
	global_store_dwordx2 v[2:3], v[6:7], off
	global_store_dwordx2 v[2:3], v[42:43], off offset:128
	global_store_dwordx2 v[2:3], v[44:45], off offset:256
	;; [unrolled: 1-line block ×3, first 2 shown]
	v_mul_f32_e32 v2, s15, v33
	v_mul_f32_e32 v3, s14, v33
	v_add_co_ci_u32_e64 v49, null, s7, v50, vcc_lo
	v_mul_f32_e32 v6, s15, v31
	v_mul_f32_e32 v7, s14, v31
	;; [unrolled: 1-line block ×4, first 2 shown]
	v_add_co_u32 v44, vcc_lo, v48, v8
	v_fma_f32 v2, v32, s14, -v2
	v_fmac_f32_e32 v3, s15, v32
	v_add_co_ci_u32_e64 v45, null, v49, v9, vcc_lo
	v_fma_f32 v6, v30, s14, -v6
	v_fmac_f32_e32 v7, s15, v30
	v_fma_f32 v42, v28, s14, -v42
	v_fmac_f32_e32 v43, s15, v28
	v_add_co_u32 v52, vcc_lo, v48, s6
	v_mul_f32_e32 v46, s15, v27
	v_mul_f32_e32 v47, s14, v27
	global_store_dwordx2 v[44:45], v[2:3], off
	global_store_dwordx2 v[44:45], v[6:7], off offset:128
	global_store_dwordx2 v[44:45], v[42:43], off offset:256
	v_mul_f32_e32 v2, s15, v25
	v_mul_f32_e32 v3, s14, v25
	v_add_co_ci_u32_e64 v53, null, s7, v49, vcc_lo
	v_mul_f32_e32 v42, s15, v23
	v_mul_f32_e32 v43, s14, v23
	;; [unrolled: 1-line block ×4, first 2 shown]
	v_add_co_u32 v6, vcc_lo, v52, v8
	v_mul_f32_e32 v50, s15, v19
	v_mul_f32_e32 v51, s14, v19
	v_fma_f32 v46, v26, s14, -v46
	v_fmac_f32_e32 v47, s15, v26
	v_fma_f32 v2, v24, s14, -v2
	v_fmac_f32_e32 v3, s15, v24
	v_add_co_ci_u32_e64 v7, null, v53, v9, vcc_lo
	v_fma_f32 v42, v22, s14, -v42
	v_fmac_f32_e32 v43, s15, v22
	v_fma_f32 v48, v20, s14, -v48
	v_fmac_f32_e32 v49, s15, v20
	;; [unrolled: 2-line block ×3, first 2 shown]
	global_store_dwordx2 v[44:45], v[46:47], off offset:384
	global_store_dwordx2 v[6:7], v[2:3], off
	global_store_dwordx2 v[6:7], v[42:43], off offset:128
	global_store_dwordx2 v[6:7], v[48:49], off offset:256
	;; [unrolled: 1-line block ×3, first 2 shown]
	v_mul_f32_e32 v2, s15, v17
	v_add_co_u32 v3, vcc_lo, v52, s6
	v_add_co_ci_u32_e64 v6, null, s7, v53, vcc_lo
	v_fma_f32 v42, v16, s14, -v2
	v_mul_f32_e32 v2, s15, v15
	v_add_co_u32 v7, vcc_lo, v3, v8
	v_mul_f32_e32 v43, s14, v17
	v_add_co_ci_u32_e64 v8, null, v6, v9, vcc_lo
	v_fma_f32 v44, v14, s14, -v2
	v_mul_f32_e32 v2, s15, v13
	v_mul_f32_e32 v3, s15, v10
	;; [unrolled: 1-line block ×5, first 2 shown]
	v_fma_f32 v46, v12, s14, -v2
	v_add_co_u32 v2, vcc_lo, 0x180, v7
	v_fmac_f32_e32 v43, s15, v16
	v_fma_f32 v9, v11, s14, -v3
	v_fmac_f32_e32 v6, s15, v11
	v_add_co_ci_u32_e64 v3, null, 0, v8, vcc_lo
	v_fmac_f32_e32 v45, s15, v14
	v_fmac_f32_e32 v47, s15, v12
	global_store_dwordx2 v[7:8], v[42:43], off
	global_store_dwordx2 v[7:8], v[44:45], off offset:128
	global_store_dwordx2 v[7:8], v[46:47], off offset:256
	global_store_dword v[7:8], v9, off offset:384
	s_andn2_b32 vcc_lo, exec_lo, s13
	s_cbranch_vccz .LBB89_6
	s_branch .LBB89_7
.LBB89_5:
                                        ; implicit-def: $vgpr6
                                        ; implicit-def: $vgpr2_vgpr3
.LBB89_6:
	v_mul_lo_u32 v6, v5, s2
	v_mul_lo_u32 v7, v4, s3
	v_mad_u64_u32 v[2:3], null, v4, s2, 0
	s_mul_i32 s5, s5, s8
	s_mul_hi_u32 s6, s4, s8
	s_mul_i32 s4, s4, s8
	s_add_i32 s5, s6, s5
	v_lshlrev_b64 v[0:1], 3, v[0:1]
	s_lshl_b64 s[4:5], s[4:5], 3
	v_add3_u32 v3, v3, v7, v6
	s_add_u32 s0, s0, s4
	s_addc_u32 s1, s1, s5
	v_mul_lo_u32 v42, v5, s16
	v_mul_lo_u32 v43, v4, s17
	v_lshlrev_b64 v[2:3], 3, v[2:3]
	v_mad_u64_u32 v[4:5], null, v4, s16, 0
	v_add_co_u32 v8, vcc_lo, s0, v2
	v_add_co_ci_u32_e64 v9, null, s1, v3, vcc_lo
	v_add3_u32 v5, v5, v43, v42
	v_add_co_u32 v2, vcc_lo, v8, v0
	v_add_co_ci_u32_e64 v3, null, v9, v1, vcc_lo
	v_mul_f32_e32 v42, s15, v41
	v_mul_f32_e32 v41, s14, v41
	v_lshlrev_b64 v[4:5], 3, v[4:5]
	global_load_dwordx2 v[6:7], v[2:3], off
	s_lshl_b64 s[0:1], s[2:3], 7
	v_fma_f32 v42, v40, s14, -v42
	v_fmac_f32_e32 v41, s15, v40
	s_lshl_b64 s[2:3], s[16:17], 7
	v_add_co_u32 v43, vcc_lo, s9, v4
	v_add_co_ci_u32_e64 v44, null, s12, v5, vcc_lo
	v_add_co_u32 v4, vcc_lo, v43, v0
	v_add_co_ci_u32_e64 v5, null, v44, v1, vcc_lo
	;; [unrolled: 2-line block ×3, first 2 shown]
	s_waitcnt vmcnt(0)
	v_mul_f32_e32 v40, s11, v7
	v_mul_f32_e32 v7, s10, v7
	v_fma_f32 v40, v6, s10, -v40
	v_fmac_f32_e32 v7, s11, v6
	v_add_f32_e32 v6, v42, v40
	v_add_f32_e32 v7, v41, v7
	v_mul_f32_e32 v40, s15, v39
	v_mul_f32_e32 v39, s14, v39
	global_store_dwordx2 v[4:5], v[6:7], off
	global_load_dwordx2 v[6:7], v[2:3], off offset:128
	v_fma_f32 v40, v38, s14, -v40
	v_fmac_f32_e32 v39, s15, v38
	s_waitcnt vmcnt(0)
	v_mul_f32_e32 v41, s11, v7
	v_mul_f32_e32 v7, s10, v7
	v_fma_f32 v38, v6, s10, -v41
	v_fmac_f32_e32 v7, s11, v6
	v_add_f32_e32 v6, v40, v38
	v_add_f32_e32 v7, v39, v7
	v_mul_f32_e32 v38, s15, v37
	v_mul_f32_e32 v37, s14, v37
	global_store_dwordx2 v[4:5], v[6:7], off offset:128
	global_load_dwordx2 v[6:7], v[2:3], off offset:256
	v_fma_f32 v38, v36, s14, -v38
	v_fmac_f32_e32 v37, s15, v36
	s_waitcnt vmcnt(0)
	v_mul_f32_e32 v39, s11, v7
	v_mul_f32_e32 v7, s10, v7
	v_fma_f32 v36, v6, s10, -v39
	v_fmac_f32_e32 v7, s11, v6
	v_add_f32_e32 v6, v38, v36
	v_add_f32_e32 v7, v37, v7
	global_store_dwordx2 v[4:5], v[6:7], off offset:256
	global_load_dwordx2 v[2:3], v[2:3], off offset:384
	v_mul_f32_e32 v6, s15, v35
	v_mul_f32_e32 v7, s14, v35
	v_fma_f32 v6, v34, s14, -v6
	v_fmac_f32_e32 v7, s15, v34
	s_waitcnt vmcnt(0)
	v_mul_f32_e32 v35, s11, v3
	v_mul_f32_e32 v3, s10, v3
	v_fma_f32 v34, v2, s10, -v35
	v_fmac_f32_e32 v3, s11, v2
	v_add_f32_e32 v2, v6, v34
	v_add_co_u32 v6, vcc_lo, v8, v0
	v_add_f32_e32 v3, v7, v3
	v_add_co_ci_u32_e64 v7, null, v9, v1, vcc_lo
	v_add_co_u32 v34, vcc_lo, v43, s2
	global_store_dwordx2 v[4:5], v[2:3], off offset:384
	global_load_dwordx2 v[2:3], v[6:7], off
	v_mul_f32_e32 v4, s15, v33
	v_mul_f32_e32 v5, s14, v33
	v_add_co_ci_u32_e64 v35, null, s3, v44, vcc_lo
	v_fma_f32 v4, v32, s14, -v4
	v_fmac_f32_e32 v5, s15, v32
	s_waitcnt vmcnt(0)
	v_mul_f32_e32 v32, s11, v3
	v_mul_f32_e32 v33, s10, v3
	v_fma_f32 v32, v2, s10, -v32
	v_fmac_f32_e32 v33, s11, v2
	v_add_co_u32 v2, vcc_lo, v34, v0
	v_add_co_ci_u32_e64 v3, null, v35, v1, vcc_lo
	v_add_f32_e32 v4, v4, v32
	v_add_f32_e32 v5, v5, v33
	v_mul_f32_e32 v32, s15, v31
	v_mul_f32_e32 v31, s14, v31
	v_add_co_u32 v8, vcc_lo, v8, s0
	global_store_dwordx2 v[2:3], v[4:5], off
	global_load_dwordx2 v[4:5], v[6:7], off offset:128
	v_fma_f32 v32, v30, s14, -v32
	v_fmac_f32_e32 v31, s15, v30
	v_add_co_ci_u32_e64 v9, null, s1, v9, vcc_lo
	s_waitcnt vmcnt(0)
	v_mul_f32_e32 v33, s11, v5
	v_mul_f32_e32 v5, s10, v5
	v_fma_f32 v30, v4, s10, -v33
	v_fmac_f32_e32 v5, s11, v4
	v_add_f32_e32 v4, v32, v30
	v_add_f32_e32 v5, v31, v5
	v_mul_f32_e32 v30, s15, v29
	v_mul_f32_e32 v29, s14, v29
	global_store_dwordx2 v[2:3], v[4:5], off offset:128
	global_load_dwordx2 v[4:5], v[6:7], off offset:256
	v_fma_f32 v30, v28, s14, -v30
	v_fmac_f32_e32 v29, s15, v28
	s_waitcnt vmcnt(0)
	v_mul_f32_e32 v31, s11, v5
	v_mul_f32_e32 v5, s10, v5
	v_fma_f32 v28, v4, s10, -v31
	v_fmac_f32_e32 v5, s11, v4
	v_add_f32_e32 v4, v30, v28
	v_add_f32_e32 v5, v29, v5
	global_store_dwordx2 v[2:3], v[4:5], off offset:256
	global_load_dwordx2 v[4:5], v[6:7], off offset:384
	v_mul_f32_e32 v6, s15, v27
	v_mul_f32_e32 v7, s14, v27
	v_fma_f32 v6, v26, s14, -v6
	v_fmac_f32_e32 v7, s15, v26
	s_waitcnt vmcnt(0)
	v_mul_f32_e32 v27, s11, v5
	v_mul_f32_e32 v5, s10, v5
	v_fma_f32 v26, v4, s10, -v27
	v_fmac_f32_e32 v5, s11, v4
	v_add_f32_e32 v4, v6, v26
	v_add_co_u32 v6, vcc_lo, v8, v0
	v_add_f32_e32 v5, v7, v5
	v_add_co_ci_u32_e64 v7, null, v9, v1, vcc_lo
	v_add_co_u32 v26, vcc_lo, v34, s2
	global_store_dwordx2 v[2:3], v[4:5], off offset:384
	global_load_dwordx2 v[2:3], v[6:7], off
	v_mul_f32_e32 v4, s15, v25
	v_mul_f32_e32 v5, s14, v25
	v_add_co_ci_u32_e64 v27, null, s3, v35, vcc_lo
	v_fma_f32 v4, v24, s14, -v4
	v_fmac_f32_e32 v5, s15, v24
	s_waitcnt vmcnt(0)
	v_mul_f32_e32 v24, s11, v3
	v_mul_f32_e32 v25, s10, v3
	v_fma_f32 v24, v2, s10, -v24
	v_fmac_f32_e32 v25, s11, v2
	v_add_co_u32 v2, vcc_lo, v26, v0
	v_add_co_ci_u32_e64 v3, null, v27, v1, vcc_lo
	v_add_f32_e32 v4, v4, v24
	v_add_f32_e32 v5, v5, v25
	v_mul_f32_e32 v24, s15, v23
	v_mul_f32_e32 v23, s14, v23
	v_add_co_u32 v8, vcc_lo, v8, s0
	global_store_dwordx2 v[2:3], v[4:5], off
	global_load_dwordx2 v[4:5], v[6:7], off offset:128
	v_fma_f32 v24, v22, s14, -v24
	v_fmac_f32_e32 v23, s15, v22
	v_add_co_ci_u32_e64 v9, null, s1, v9, vcc_lo
	s_waitcnt vmcnt(0)
	v_mul_f32_e32 v25, s11, v5
	v_mul_f32_e32 v5, s10, v5
	v_fma_f32 v22, v4, s10, -v25
	v_fmac_f32_e32 v5, s11, v4
	v_add_f32_e32 v4, v24, v22
	v_add_f32_e32 v5, v23, v5
	v_mul_f32_e32 v22, s15, v21
	v_mul_f32_e32 v21, s14, v21
	global_store_dwordx2 v[2:3], v[4:5], off offset:128
	global_load_dwordx2 v[4:5], v[6:7], off offset:256
	v_fma_f32 v22, v20, s14, -v22
	v_fmac_f32_e32 v21, s15, v20
	s_waitcnt vmcnt(0)
	v_mul_f32_e32 v23, s11, v5
	v_mul_f32_e32 v5, s10, v5
	v_fma_f32 v20, v4, s10, -v23
	v_fmac_f32_e32 v5, s11, v4
	v_add_f32_e32 v4, v22, v20
	v_add_f32_e32 v5, v21, v5
	global_store_dwordx2 v[2:3], v[4:5], off offset:256
	global_load_dwordx2 v[4:5], v[6:7], off offset:384
	v_mul_f32_e32 v6, s15, v19
	v_mul_f32_e32 v7, s14, v19
	v_fma_f32 v6, v18, s14, -v6
	v_fmac_f32_e32 v7, s15, v18
	s_waitcnt vmcnt(0)
	v_mul_f32_e32 v19, s11, v5
	v_mul_f32_e32 v5, s10, v5
	v_fma_f32 v18, v4, s10, -v19
	v_fmac_f32_e32 v5, s11, v4
	v_add_f32_e32 v4, v6, v18
	v_add_co_u32 v6, vcc_lo, v8, v0
	v_add_f32_e32 v5, v7, v5
	v_add_co_ci_u32_e64 v7, null, v9, v1, vcc_lo
	v_add_co_u32 v9, vcc_lo, v26, s2
	global_store_dwordx2 v[2:3], v[4:5], off offset:384
	global_load_dwordx2 v[2:3], v[6:7], off
	v_mul_f32_e32 v4, s15, v17
	v_mul_f32_e32 v5, s14, v17
	v_fma_f32 v4, v16, s14, -v4
	v_fmac_f32_e32 v5, s15, v16
	v_add_co_ci_u32_e64 v16, null, s3, v27, vcc_lo
	v_add_co_u32 v0, vcc_lo, v9, v0
	v_add_co_ci_u32_e64 v1, null, v16, v1, vcc_lo
	s_waitcnt vmcnt(0)
	v_mul_f32_e32 v8, s11, v3
	v_mul_f32_e32 v3, s10, v3
	v_fma_f32 v8, v2, s10, -v8
	v_fmac_f32_e32 v3, s11, v2
	v_add_f32_e32 v2, v4, v8
	v_add_f32_e32 v3, v5, v3
	v_mul_f32_e32 v4, s15, v15
	v_mul_f32_e32 v5, s14, v15
	global_store_dwordx2 v[0:1], v[2:3], off
	global_load_dwordx2 v[2:3], v[6:7], off offset:128
	v_fma_f32 v4, v14, s14, -v4
	v_fmac_f32_e32 v5, s15, v14
	s_waitcnt vmcnt(0)
	v_mul_f32_e32 v8, s11, v3
	v_mul_f32_e32 v3, s10, v3
	v_fma_f32 v8, v2, s10, -v8
	v_fmac_f32_e32 v3, s11, v2
	v_add_f32_e32 v2, v4, v8
	v_add_f32_e32 v3, v5, v3
	v_mul_f32_e32 v4, s15, v13
	v_mul_f32_e32 v5, s14, v13
	global_store_dwordx2 v[0:1], v[2:3], off offset:128
	global_load_dwordx2 v[2:3], v[6:7], off offset:256
	v_fma_f32 v4, v12, s14, -v4
	v_fmac_f32_e32 v5, s15, v12
	s_waitcnt vmcnt(0)
	v_mul_f32_e32 v8, s11, v3
	v_mul_f32_e32 v3, s10, v3
	v_fma_f32 v8, v2, s10, -v8
	v_fmac_f32_e32 v3, s11, v2
	v_add_f32_e32 v2, v4, v8
	v_add_f32_e32 v3, v5, v3
	v_mul_f32_e32 v4, s15, v10
	v_mul_f32_e32 v5, s14, v10
	global_store_dwordx2 v[0:1], v[2:3], off offset:256
	global_load_dwordx2 v[2:3], v[6:7], off offset:384
	v_fma_f32 v4, v11, s14, -v4
	v_fmac_f32_e32 v5, s15, v11
	s_waitcnt vmcnt(0)
	v_mul_f32_e32 v6, s11, v3
	v_mul_f32_e32 v3, s10, v3
	v_fma_f32 v6, v2, s10, -v6
	v_fmac_f32_e32 v3, s11, v2
	v_add_co_u32 v2, vcc_lo, 0x180, v0
	v_add_f32_e32 v4, v4, v6
	v_add_f32_e32 v6, v5, v3
	v_add_co_ci_u32_e64 v3, null, 0, v1, vcc_lo
	global_store_dword v[0:1], v4, off offset:384
.LBB89_7:
	global_store_dword v[2:3], v6, off offset:4
	s_endpgm
	.section	.rodata,"a",@progbits
	.p2align	6, 0x0
	.amdhsa_kernel _ZN12_GLOBAL__N_127rocblas_gemm_batched_kernelI19rocblas_complex_numIfELi16ELi16ELi64ELi64ELi4ELi64ELi4ELi4ELi64ELc78ELc78EKS2_S3_S2_EEvlllT_PT11_llS6_llS4_PT12_llPT13_lli
		.amdhsa_group_segment_fixed_size 4096
		.amdhsa_private_segment_fixed_size 0
		.amdhsa_kernarg_size 140
		.amdhsa_user_sgpr_count 6
		.amdhsa_user_sgpr_private_segment_buffer 1
		.amdhsa_user_sgpr_dispatch_ptr 0
		.amdhsa_user_sgpr_queue_ptr 0
		.amdhsa_user_sgpr_kernarg_segment_ptr 1
		.amdhsa_user_sgpr_dispatch_id 0
		.amdhsa_user_sgpr_flat_scratch_init 0
		.amdhsa_user_sgpr_private_segment_size 0
		.amdhsa_wavefront_size32 1
		.amdhsa_uses_dynamic_stack 0
		.amdhsa_system_sgpr_private_segment_wavefront_offset 0
		.amdhsa_system_sgpr_workgroup_id_x 1
		.amdhsa_system_sgpr_workgroup_id_y 1
		.amdhsa_system_sgpr_workgroup_id_z 1
		.amdhsa_system_sgpr_workgroup_info 0
		.amdhsa_system_vgpr_workitem_id 1
		.amdhsa_next_free_vgpr 188
		.amdhsa_next_free_sgpr 32
		.amdhsa_reserve_vcc 1
		.amdhsa_reserve_flat_scratch 0
		.amdhsa_float_round_mode_32 0
		.amdhsa_float_round_mode_16_64 0
		.amdhsa_float_denorm_mode_32 3
		.amdhsa_float_denorm_mode_16_64 3
		.amdhsa_dx10_clamp 1
		.amdhsa_ieee_mode 1
		.amdhsa_fp16_overflow 0
		.amdhsa_workgroup_processor_mode 1
		.amdhsa_memory_ordered 1
		.amdhsa_forward_progress 1
		.amdhsa_shared_vgpr_count 0
		.amdhsa_exception_fp_ieee_invalid_op 0
		.amdhsa_exception_fp_denorm_src 0
		.amdhsa_exception_fp_ieee_div_zero 0
		.amdhsa_exception_fp_ieee_overflow 0
		.amdhsa_exception_fp_ieee_underflow 0
		.amdhsa_exception_fp_ieee_inexact 0
		.amdhsa_exception_int_div_zero 0
	.end_amdhsa_kernel
	.section	.text._ZN12_GLOBAL__N_127rocblas_gemm_batched_kernelI19rocblas_complex_numIfELi16ELi16ELi64ELi64ELi4ELi64ELi4ELi4ELi64ELc78ELc78EKS2_S3_S2_EEvlllT_PT11_llS6_llS4_PT12_llPT13_lli,"axG",@progbits,_ZN12_GLOBAL__N_127rocblas_gemm_batched_kernelI19rocblas_complex_numIfELi16ELi16ELi64ELi64ELi4ELi64ELi4ELi4ELi64ELc78ELc78EKS2_S3_S2_EEvlllT_PT11_llS6_llS4_PT12_llPT13_lli,comdat
.Lfunc_end89:
	.size	_ZN12_GLOBAL__N_127rocblas_gemm_batched_kernelI19rocblas_complex_numIfELi16ELi16ELi64ELi64ELi4ELi64ELi4ELi4ELi64ELc78ELc78EKS2_S3_S2_EEvlllT_PT11_llS6_llS4_PT12_llPT13_lli, .Lfunc_end89-_ZN12_GLOBAL__N_127rocblas_gemm_batched_kernelI19rocblas_complex_numIfELi16ELi16ELi64ELi64ELi4ELi64ELi4ELi4ELi64ELc78ELc78EKS2_S3_S2_EEvlllT_PT11_llS6_llS4_PT12_llPT13_lli
                                        ; -- End function
	.set _ZN12_GLOBAL__N_127rocblas_gemm_batched_kernelI19rocblas_complex_numIfELi16ELi16ELi64ELi64ELi4ELi64ELi4ELi4ELi64ELc78ELc78EKS2_S3_S2_EEvlllT_PT11_llS6_llS4_PT12_llPT13_lli.num_vgpr, 188
	.set _ZN12_GLOBAL__N_127rocblas_gemm_batched_kernelI19rocblas_complex_numIfELi16ELi16ELi64ELi64ELi4ELi64ELi4ELi4ELi64ELc78ELc78EKS2_S3_S2_EEvlllT_PT11_llS6_llS4_PT12_llPT13_lli.num_agpr, 0
	.set _ZN12_GLOBAL__N_127rocblas_gemm_batched_kernelI19rocblas_complex_numIfELi16ELi16ELi64ELi64ELi4ELi64ELi4ELi4ELi64ELc78ELc78EKS2_S3_S2_EEvlllT_PT11_llS6_llS4_PT12_llPT13_lli.numbered_sgpr, 32
	.set _ZN12_GLOBAL__N_127rocblas_gemm_batched_kernelI19rocblas_complex_numIfELi16ELi16ELi64ELi64ELi4ELi64ELi4ELi4ELi64ELc78ELc78EKS2_S3_S2_EEvlllT_PT11_llS6_llS4_PT12_llPT13_lli.num_named_barrier, 0
	.set _ZN12_GLOBAL__N_127rocblas_gemm_batched_kernelI19rocblas_complex_numIfELi16ELi16ELi64ELi64ELi4ELi64ELi4ELi4ELi64ELc78ELc78EKS2_S3_S2_EEvlllT_PT11_llS6_llS4_PT12_llPT13_lli.private_seg_size, 0
	.set _ZN12_GLOBAL__N_127rocblas_gemm_batched_kernelI19rocblas_complex_numIfELi16ELi16ELi64ELi64ELi4ELi64ELi4ELi4ELi64ELc78ELc78EKS2_S3_S2_EEvlllT_PT11_llS6_llS4_PT12_llPT13_lli.uses_vcc, 1
	.set _ZN12_GLOBAL__N_127rocblas_gemm_batched_kernelI19rocblas_complex_numIfELi16ELi16ELi64ELi64ELi4ELi64ELi4ELi4ELi64ELc78ELc78EKS2_S3_S2_EEvlllT_PT11_llS6_llS4_PT12_llPT13_lli.uses_flat_scratch, 0
	.set _ZN12_GLOBAL__N_127rocblas_gemm_batched_kernelI19rocblas_complex_numIfELi16ELi16ELi64ELi64ELi4ELi64ELi4ELi4ELi64ELc78ELc78EKS2_S3_S2_EEvlllT_PT11_llS6_llS4_PT12_llPT13_lli.has_dyn_sized_stack, 0
	.set _ZN12_GLOBAL__N_127rocblas_gemm_batched_kernelI19rocblas_complex_numIfELi16ELi16ELi64ELi64ELi4ELi64ELi4ELi4ELi64ELc78ELc78EKS2_S3_S2_EEvlllT_PT11_llS6_llS4_PT12_llPT13_lli.has_recursion, 0
	.set _ZN12_GLOBAL__N_127rocblas_gemm_batched_kernelI19rocblas_complex_numIfELi16ELi16ELi64ELi64ELi4ELi64ELi4ELi4ELi64ELc78ELc78EKS2_S3_S2_EEvlllT_PT11_llS6_llS4_PT12_llPT13_lli.has_indirect_call, 0
	.section	.AMDGPU.csdata,"",@progbits
; Kernel info:
; codeLenInByte = 4916
; TotalNumSgprs: 34
; NumVgprs: 188
; ScratchSize: 0
; MemoryBound: 0
; FloatMode: 240
; IeeeMode: 1
; LDSByteSize: 4096 bytes/workgroup (compile time only)
; SGPRBlocks: 0
; VGPRBlocks: 23
; NumSGPRsForWavesPerEU: 34
; NumVGPRsForWavesPerEU: 188
; Occupancy: 5
; WaveLimiterHint : 1
; COMPUTE_PGM_RSRC2:SCRATCH_EN: 0
; COMPUTE_PGM_RSRC2:USER_SGPR: 6
; COMPUTE_PGM_RSRC2:TRAP_HANDLER: 0
; COMPUTE_PGM_RSRC2:TGID_X_EN: 1
; COMPUTE_PGM_RSRC2:TGID_Y_EN: 1
; COMPUTE_PGM_RSRC2:TGID_Z_EN: 1
; COMPUTE_PGM_RSRC2:TIDIG_COMP_CNT: 1
	.section	.text._ZN12_GLOBAL__N_127rocblas_gemm_batched_kernelI19rocblas_complex_numIfELi16ELi16ELi64ELi64ELi4ELi64ELi4ELi4ELi64ELc84ELc78EKS2_S3_S2_EEvlllT_PT11_llS6_llS4_PT12_llPT13_lli,"axG",@progbits,_ZN12_GLOBAL__N_127rocblas_gemm_batched_kernelI19rocblas_complex_numIfELi16ELi16ELi64ELi64ELi4ELi64ELi4ELi4ELi64ELc84ELc78EKS2_S3_S2_EEvlllT_PT11_llS6_llS4_PT12_llPT13_lli,comdat
	.globl	_ZN12_GLOBAL__N_127rocblas_gemm_batched_kernelI19rocblas_complex_numIfELi16ELi16ELi64ELi64ELi4ELi64ELi4ELi4ELi64ELc84ELc78EKS2_S3_S2_EEvlllT_PT11_llS6_llS4_PT12_llPT13_lli ; -- Begin function _ZN12_GLOBAL__N_127rocblas_gemm_batched_kernelI19rocblas_complex_numIfELi16ELi16ELi64ELi64ELi4ELi64ELi4ELi4ELi64ELc84ELc78EKS2_S3_S2_EEvlllT_PT11_llS6_llS4_PT12_llPT13_lli
	.p2align	8
	.type	_ZN12_GLOBAL__N_127rocblas_gemm_batched_kernelI19rocblas_complex_numIfELi16ELi16ELi64ELi64ELi4ELi64ELi4ELi4ELi64ELc84ELc78EKS2_S3_S2_EEvlllT_PT11_llS6_llS4_PT12_llPT13_lli,@function
_ZN12_GLOBAL__N_127rocblas_gemm_batched_kernelI19rocblas_complex_numIfELi16ELi16ELi64ELi64ELi4ELi64ELi4ELi4ELi64ELc84ELc78EKS2_S3_S2_EEvlllT_PT11_llS6_llS4_PT12_llPT13_lli: ; @_ZN12_GLOBAL__N_127rocblas_gemm_batched_kernelI19rocblas_complex_numIfELi16ELi16ELi64ELi64ELi4ELi64ELi4ELi4ELi64ELc84ELc78EKS2_S3_S2_EEvlllT_PT11_llS6_llS4_PT12_llPT13_lli
; %bb.0:
	s_clause 0x1
	s_load_dwordx16 s[12:27], s[4:5], 0x10
	s_load_dwordx2 s[10:11], s[4:5], 0x50
	s_mov_b32 s0, s7
	v_mov_b32_e32 v40, 0
	v_mov_b32_e32 v41, 0
	;; [unrolled: 1-line block ×17, first 2 shown]
	s_waitcnt lgkmcnt(0)
	v_cmp_lt_i64_e64 s2, s[12:13], 1
	v_mov_b32_e32 v25, 0
	v_mov_b32_e32 v22, 0
	;; [unrolled: 1-line block ×15, first 2 shown]
	s_ashr_i32 s7, s6, 31
	s_ashr_i32 s1, s0, 31
	s_lshl_b64 s[28:29], s[6:7], 6
	s_and_b32 vcc_lo, exec_lo, s2
	s_lshl_b64 s[30:31], s[0:1], 6
	s_cbranch_vccnz .LBB90_3
; %bb.1:
	v_lshl_add_u32 v2, v1, 4, v0
	v_and_b32_e32 v3, 3, v0
	s_mul_hi_u32 s1, s20, s8
	v_mov_b32_e32 v10, 0
	v_lshlrev_b32_e32 v44, 3, v0
	v_and_b32_e32 v4, 63, v2
	v_lshlrev_b32_e32 v6, 3, v3
	v_lshrrev_b32_e32 v5, 2, v2
	v_lshrrev_b32_e32 v8, 6, v2
	v_lshl_add_u32 v45, v1, 5, 0x800
	v_add_co_u32 v3, s0, s28, v4
	v_add_co_ci_u32_e64 v7, null, s29, 0, s0
	v_lshl_or_b32 v9, v5, 5, v6
	v_mul_lo_u32 v11, s19, v3
	v_mad_u64_u32 v[2:3], null, s18, v3, 0
	v_mul_lo_u32 v7, s18, v7
	v_add_co_u32 v5, s0, v5, s30
	v_lshlrev_b32_e32 v4, 3, v4
	v_add_co_ci_u32_e64 v12, null, 0, s31, s0
	v_add_nc_u32_e32 v43, 0x800, v9
	s_mul_i32 s0, s21, s8
	v_lshl_or_b32 v42, v8, 9, v4
	v_add3_u32 v3, v3, v7, v11
	v_mul_lo_u32 v7, s25, v5
	v_mul_lo_u32 v9, s24, v12
	v_mad_u64_u32 v[4:5], null, s24, v5, 0
	v_lshlrev_b64 v[2:3], 3, v[2:3]
	s_add_i32 s1, s1, s0
	s_mul_i32 s0, s20, s8
	v_mov_b32_e32 v11, 0
	s_lshl_b64 s[0:1], s[0:1], 3
	v_mov_b32_e32 v13, 0
	v_add3_u32 v5, v5, v9, v7
	v_add_co_u32 v7, vcc_lo, v2, s0
	v_add_co_ci_u32_e64 v9, null, s1, v3, vcc_lo
	s_mul_i32 s0, s27, s8
	s_mul_hi_u32 s1, s26, s8
	v_lshlrev_b64 v[2:3], 3, v[4:5]
	s_add_i32 s1, s1, s0
	s_mul_i32 s0, s26, s8
	v_lshlrev_b32_e32 v4, 3, v8
	s_lshl_b64 s[0:1], s[0:1], 3
	v_mov_b32_e32 v12, 0
	v_add_co_u32 v2, vcc_lo, v2, s0
	v_add_co_ci_u32_e64 v3, null, s1, v3, vcc_lo
	v_add_co_u32 v4, vcc_lo, v7, v4
	v_add_co_ci_u32_e64 v5, null, 0, v9, vcc_lo
	;; [unrolled: 2-line block ×5, first 2 shown]
	v_mov_b32_e32 v15, 0
	v_mov_b32_e32 v14, 0
	;; [unrolled: 1-line block ×28, first 2 shown]
	s_mov_b64 s[0:1], 0
.LBB90_2:                               ; =>This Inner Loop Header: Depth=1
	global_load_dwordx2 v[6:7], v[2:3], off
	global_load_dwordx2 v[8:9], v[4:5], off
	s_add_u32 s0, s0, 4
	s_addc_u32 s1, s1, 0
	v_add_co_u32 v2, vcc_lo, v2, 32
	v_cmp_lt_i64_e64 s2, s[0:1], s[12:13]
	v_add_co_ci_u32_e64 v3, null, 0, v3, vcc_lo
	v_add_co_u32 v4, vcc_lo, v4, 32
	v_add_co_ci_u32_e64 v5, null, 0, v5, vcc_lo
	s_and_b32 vcc_lo, exec_lo, s2
	s_waitcnt vmcnt(1)
	ds_write_b64 v42, v[6:7]
	s_waitcnt vmcnt(0)
	ds_write_b64 v43, v[8:9]
	s_waitcnt lgkmcnt(0)
	s_barrier
	buffer_gl0_inv
	ds_read_b128 v[6:9], v45
	ds_read2_b64 v[46:49], v44 offset1:16
	ds_read_b128 v[50:53], v45 offset:512
	ds_read_b128 v[54:57], v45 offset:16
	;; [unrolled: 1-line block ×7, first 2 shown]
	ds_read2_b64 v[78:81], v44 offset0:32 offset1:48
	ds_read2_b64 v[82:85], v44 offset0:64 offset1:80
	;; [unrolled: 1-line block ×7, first 2 shown]
	s_waitcnt lgkmcnt(0)
	s_barrier
	buffer_gl0_inv
	v_mul_f32_e32 v106, v7, v47
	v_mul_f32_e32 v107, v6, v47
	;; [unrolled: 1-line block ×64, first 2 shown]
	v_fma_f32 v106, v6, v46, -v106
	v_fmac_f32_e32 v107, v7, v46
	v_fma_f32 v108, v6, v48, -v108
	v_fmac_f32_e32 v109, v7, v48
	;; [unrolled: 2-line block ×16, first 2 shown]
	v_mul_f32_e32 v162, v55, v91
	v_mul_f32_e32 v163, v54, v91
	;; [unrolled: 1-line block ×28, first 2 shown]
	v_fma_f32 v124, v8, v82, -v134
	v_fmac_f32_e32 v135, v9, v82
	v_fma_f32 v126, v8, v84, -v136
	v_fmac_f32_e32 v137, v9, v84
	v_fma_f32 v128, v8, v86, -v138
	v_fmac_f32_e32 v139, v9, v86
	v_fma_f32 v8, v8, v88, -v140
	v_fmac_f32_e32 v141, v9, v88
	v_mul_f32_e32 v9, v75, v95
	v_mul_f32_e32 v95, v74, v95
	;; [unrolled: 1-line block ×4, first 2 shown]
	v_fma_f32 v132, v52, v82, -v142
	v_fmac_f32_e32 v143, v53, v82
	v_fma_f32 v133, v52, v84, -v144
	v_fmac_f32_e32 v145, v53, v84
	;; [unrolled: 2-line block ×4, first 2 shown]
	v_mul_f32_e32 v136, v56, v99
	v_mul_f32_e32 v140, v56, v101
	v_fma_f32 v142, v64, v82, -v150
	v_fmac_f32_e32 v151, v65, v82
	v_fma_f32 v144, v64, v84, -v152
	v_fmac_f32_e32 v153, v65, v84
	v_fma_f32 v146, v64, v86, -v154
	v_fmac_f32_e32 v155, v65, v86
	v_fma_f32 v64, v64, v88, -v156
	v_fmac_f32_e32 v157, v65, v88
	v_mul_f32_e32 v148, v56, v103
	v_mul_f32_e32 v152, v56, v105
	v_fma_f32 v154, v72, v82, -v158
	v_fmac_f32_e32 v83, v73, v82
	v_fma_f32 v82, v72, v84, -v159
	v_fmac_f32_e32 v85, v73, v84
	;; [unrolled: 2-line block ×4, first 2 shown]
	v_add_f32_e32 v40, v40, v106
	v_add_f32_e32 v41, v41, v107
	;; [unrolled: 1-line block ×32, first 2 shown]
	v_mul_f32_e32 v53, v57, v99
	v_mul_f32_e32 v138, v57, v101
	;; [unrolled: 1-line block ×16, first 2 shown]
	v_fma_f32 v162, v54, v90, -v162
	v_fmac_f32_e32 v163, v55, v90
	v_fma_f32 v164, v54, v92, -v164
	v_fmac_f32_e32 v165, v55, v92
	;; [unrolled: 2-line block ×8, first 2 shown]
	v_mul_f32_e32 v92, v69, v103
	v_mul_f32_e32 v175, v68, v103
	;; [unrolled: 1-line block ×4, first 2 shown]
	v_fma_f32 v176, v54, v94, -v176
	v_fmac_f32_e32 v177, v55, v94
	v_fma_f32 v54, v54, v96, -v178
	v_fmac_f32_e32 v179, v55, v96
	;; [unrolled: 2-line block ×8, first 2 shown]
	v_mul_f32_e32 v67, v77, v99
	v_mul_f32_e32 v71, v76, v99
	;; [unrolled: 1-line block ×4, first 2 shown]
	v_fmac_f32_e32 v136, v57, v98
	v_fmac_f32_e32 v140, v57, v100
	;; [unrolled: 1-line block ×4, first 2 shown]
	v_mul_f32_e32 v57, v77, v103
	v_mul_f32_e32 v94, v76, v103
	;; [unrolled: 1-line block ×4, first 2 shown]
	v_add_f32_e32 v29, v40, v124
	v_add_f32_e32 v35, v41, v135
	;; [unrolled: 1-line block ×32, first 2 shown]
	v_fma_f32 v53, v56, v98, -v53
	v_fma_f32 v80, v56, v100, -v138
	;; [unrolled: 1-line block ×5, first 2 shown]
	v_fmac_f32_e32 v156, v61, v98
	v_fma_f32 v101, v60, v100, -v158
	v_fmac_f32_e32 v159, v61, v100
	v_fma_f32 v73, v60, v102, -v73
	;; [unrolled: 2-line block ×11, first 2 shown]
	v_fmac_f32_e32 v99, v77, v104
	v_add_f32_e32 v29, v29, v162
	v_add_f32_e32 v34, v35, v163
	;; [unrolled: 1-line block ×64, first 2 shown]
	s_cbranch_vccnz .LBB90_2
.LBB90_3:
	s_clause 0x1
	s_load_dwordx4 s[16:19], s[4:5], 0x78
	s_load_dwordx8 s[0:7], s[4:5], 0x58
	s_waitcnt lgkmcnt(0)
	s_mul_i32 s9, s19, s8
	s_mul_hi_u32 s13, s18, s8
	s_mul_i32 s12, s18, s8
	s_add_i32 s13, s13, s9
	s_lshl_b64 s[12:13], s[12:13], 3
	s_add_u32 s9, s6, s12
	s_addc_u32 s12, s7, s13
	v_add_co_u32 v4, s7, s30, v1
	v_add_co_ci_u32_e64 v5, null, s31, 0, s7
	v_add_co_u32 v0, s7, s28, v0
	s_or_b32 s6, s10, s11
	v_add_co_ci_u32_e64 v1, null, s29, 0, s7
	s_bitset0_b32 s6, 31
	s_mov_b32 s13, 0
	s_cmp_lg_u32 s6, 0
	s_cbranch_scc1 .LBB90_5
; %bb.4:
	v_mul_lo_u32 v6, v5, s16
	v_mul_lo_u32 v8, v4, s17
	v_mad_u64_u32 v[2:3], null, v4, s16, 0
	v_mul_f32_e32 v42, s15, v41
	v_mul_f32_e32 v7, s14, v41
	;; [unrolled: 1-line block ×6, first 2 shown]
	v_add3_u32 v3, v3, v8, v6
	v_lshlrev_b64 v[8:9], 3, v[0:1]
	v_mul_f32_e32 v48, s15, v35
	v_mul_f32_e32 v47, s14, v35
	v_fma_f32 v6, v40, s14, -v42
	v_lshlrev_b64 v[2:3], 3, v[2:3]
	v_fmac_f32_e32 v7, s15, v40
	v_fma_f32 v42, v38, s14, -v44
	v_fmac_f32_e32 v43, s15, v38
	s_lshl_b64 s[6:7], s[16:17], 7
	v_fma_f32 v44, v36, s14, -v46
	v_add_co_u32 v49, vcc_lo, s9, v2
	v_add_co_ci_u32_e64 v50, null, s12, v3, vcc_lo
	v_fmac_f32_e32 v45, s15, v36
	v_add_co_u32 v2, vcc_lo, v49, v8
	v_add_co_ci_u32_e64 v3, null, v50, v9, vcc_lo
	v_fma_f32 v46, v34, s14, -v48
	v_fmac_f32_e32 v47, s15, v34
	v_add_co_u32 v48, vcc_lo, v49, s6
	global_store_dwordx2 v[2:3], v[6:7], off
	global_store_dwordx2 v[2:3], v[42:43], off offset:128
	global_store_dwordx2 v[2:3], v[44:45], off offset:256
	;; [unrolled: 1-line block ×3, first 2 shown]
	v_mul_f32_e32 v2, s15, v33
	v_mul_f32_e32 v3, s14, v33
	v_add_co_ci_u32_e64 v49, null, s7, v50, vcc_lo
	v_mul_f32_e32 v6, s15, v31
	v_mul_f32_e32 v7, s14, v31
	;; [unrolled: 1-line block ×4, first 2 shown]
	v_add_co_u32 v44, vcc_lo, v48, v8
	v_fma_f32 v2, v32, s14, -v2
	v_fmac_f32_e32 v3, s15, v32
	v_add_co_ci_u32_e64 v45, null, v49, v9, vcc_lo
	v_fma_f32 v6, v30, s14, -v6
	v_fmac_f32_e32 v7, s15, v30
	v_fma_f32 v42, v28, s14, -v42
	v_fmac_f32_e32 v43, s15, v28
	v_add_co_u32 v52, vcc_lo, v48, s6
	v_mul_f32_e32 v46, s15, v27
	v_mul_f32_e32 v47, s14, v27
	global_store_dwordx2 v[44:45], v[2:3], off
	global_store_dwordx2 v[44:45], v[6:7], off offset:128
	global_store_dwordx2 v[44:45], v[42:43], off offset:256
	v_mul_f32_e32 v2, s15, v25
	v_mul_f32_e32 v3, s14, v25
	v_add_co_ci_u32_e64 v53, null, s7, v49, vcc_lo
	v_mul_f32_e32 v42, s15, v23
	v_mul_f32_e32 v43, s14, v23
	v_mul_f32_e32 v48, s15, v21
	v_mul_f32_e32 v49, s14, v21
	v_add_co_u32 v6, vcc_lo, v52, v8
	v_mul_f32_e32 v50, s15, v19
	v_mul_f32_e32 v51, s14, v19
	v_fma_f32 v46, v26, s14, -v46
	v_fmac_f32_e32 v47, s15, v26
	v_fma_f32 v2, v24, s14, -v2
	v_fmac_f32_e32 v3, s15, v24
	v_add_co_ci_u32_e64 v7, null, v53, v9, vcc_lo
	v_fma_f32 v42, v22, s14, -v42
	v_fmac_f32_e32 v43, s15, v22
	v_fma_f32 v48, v20, s14, -v48
	v_fmac_f32_e32 v49, s15, v20
	;; [unrolled: 2-line block ×3, first 2 shown]
	global_store_dwordx2 v[44:45], v[46:47], off offset:384
	global_store_dwordx2 v[6:7], v[2:3], off
	global_store_dwordx2 v[6:7], v[42:43], off offset:128
	global_store_dwordx2 v[6:7], v[48:49], off offset:256
	;; [unrolled: 1-line block ×3, first 2 shown]
	v_mul_f32_e32 v2, s15, v17
	v_add_co_u32 v3, vcc_lo, v52, s6
	v_add_co_ci_u32_e64 v6, null, s7, v53, vcc_lo
	v_fma_f32 v42, v16, s14, -v2
	v_mul_f32_e32 v2, s15, v15
	v_add_co_u32 v7, vcc_lo, v3, v8
	v_mul_f32_e32 v43, s14, v17
	v_add_co_ci_u32_e64 v8, null, v6, v9, vcc_lo
	v_fma_f32 v44, v14, s14, -v2
	v_mul_f32_e32 v2, s15, v13
	v_mul_f32_e32 v3, s15, v10
	;; [unrolled: 1-line block ×5, first 2 shown]
	v_fma_f32 v46, v12, s14, -v2
	v_add_co_u32 v2, vcc_lo, 0x180, v7
	v_fmac_f32_e32 v43, s15, v16
	v_fma_f32 v9, v11, s14, -v3
	v_fmac_f32_e32 v6, s15, v11
	v_add_co_ci_u32_e64 v3, null, 0, v8, vcc_lo
	v_fmac_f32_e32 v45, s15, v14
	v_fmac_f32_e32 v47, s15, v12
	global_store_dwordx2 v[7:8], v[42:43], off
	global_store_dwordx2 v[7:8], v[44:45], off offset:128
	global_store_dwordx2 v[7:8], v[46:47], off offset:256
	global_store_dword v[7:8], v9, off offset:384
	s_andn2_b32 vcc_lo, exec_lo, s13
	s_cbranch_vccz .LBB90_6
	s_branch .LBB90_7
.LBB90_5:
                                        ; implicit-def: $vgpr6
                                        ; implicit-def: $vgpr2_vgpr3
.LBB90_6:
	v_mul_lo_u32 v6, v5, s2
	v_mul_lo_u32 v7, v4, s3
	v_mad_u64_u32 v[2:3], null, v4, s2, 0
	s_mul_i32 s5, s5, s8
	s_mul_hi_u32 s6, s4, s8
	s_mul_i32 s4, s4, s8
	s_add_i32 s5, s6, s5
	v_lshlrev_b64 v[0:1], 3, v[0:1]
	s_lshl_b64 s[4:5], s[4:5], 3
	v_add3_u32 v3, v3, v7, v6
	s_add_u32 s0, s0, s4
	s_addc_u32 s1, s1, s5
	v_mul_lo_u32 v42, v5, s16
	v_mul_lo_u32 v43, v4, s17
	v_lshlrev_b64 v[2:3], 3, v[2:3]
	v_mad_u64_u32 v[4:5], null, v4, s16, 0
	v_add_co_u32 v8, vcc_lo, s0, v2
	v_add_co_ci_u32_e64 v9, null, s1, v3, vcc_lo
	v_add3_u32 v5, v5, v43, v42
	v_add_co_u32 v2, vcc_lo, v8, v0
	v_add_co_ci_u32_e64 v3, null, v9, v1, vcc_lo
	v_mul_f32_e32 v42, s15, v41
	v_mul_f32_e32 v41, s14, v41
	v_lshlrev_b64 v[4:5], 3, v[4:5]
	global_load_dwordx2 v[6:7], v[2:3], off
	s_lshl_b64 s[0:1], s[2:3], 7
	v_fma_f32 v42, v40, s14, -v42
	v_fmac_f32_e32 v41, s15, v40
	s_lshl_b64 s[2:3], s[16:17], 7
	v_add_co_u32 v43, vcc_lo, s9, v4
	v_add_co_ci_u32_e64 v44, null, s12, v5, vcc_lo
	v_add_co_u32 v4, vcc_lo, v43, v0
	v_add_co_ci_u32_e64 v5, null, v44, v1, vcc_lo
	;; [unrolled: 2-line block ×3, first 2 shown]
	s_waitcnt vmcnt(0)
	v_mul_f32_e32 v40, s11, v7
	v_mul_f32_e32 v7, s10, v7
	v_fma_f32 v40, v6, s10, -v40
	v_fmac_f32_e32 v7, s11, v6
	v_add_f32_e32 v6, v42, v40
	v_add_f32_e32 v7, v41, v7
	v_mul_f32_e32 v40, s15, v39
	v_mul_f32_e32 v39, s14, v39
	global_store_dwordx2 v[4:5], v[6:7], off
	global_load_dwordx2 v[6:7], v[2:3], off offset:128
	v_fma_f32 v40, v38, s14, -v40
	v_fmac_f32_e32 v39, s15, v38
	s_waitcnt vmcnt(0)
	v_mul_f32_e32 v41, s11, v7
	v_mul_f32_e32 v7, s10, v7
	v_fma_f32 v38, v6, s10, -v41
	v_fmac_f32_e32 v7, s11, v6
	v_add_f32_e32 v6, v40, v38
	v_add_f32_e32 v7, v39, v7
	v_mul_f32_e32 v38, s15, v37
	v_mul_f32_e32 v37, s14, v37
	global_store_dwordx2 v[4:5], v[6:7], off offset:128
	global_load_dwordx2 v[6:7], v[2:3], off offset:256
	v_fma_f32 v38, v36, s14, -v38
	v_fmac_f32_e32 v37, s15, v36
	s_waitcnt vmcnt(0)
	v_mul_f32_e32 v39, s11, v7
	v_mul_f32_e32 v7, s10, v7
	v_fma_f32 v36, v6, s10, -v39
	v_fmac_f32_e32 v7, s11, v6
	v_add_f32_e32 v6, v38, v36
	v_add_f32_e32 v7, v37, v7
	global_store_dwordx2 v[4:5], v[6:7], off offset:256
	global_load_dwordx2 v[2:3], v[2:3], off offset:384
	v_mul_f32_e32 v6, s15, v35
	v_mul_f32_e32 v7, s14, v35
	v_fma_f32 v6, v34, s14, -v6
	v_fmac_f32_e32 v7, s15, v34
	s_waitcnt vmcnt(0)
	v_mul_f32_e32 v35, s11, v3
	v_mul_f32_e32 v3, s10, v3
	v_fma_f32 v34, v2, s10, -v35
	v_fmac_f32_e32 v3, s11, v2
	v_add_f32_e32 v2, v6, v34
	v_add_co_u32 v6, vcc_lo, v8, v0
	v_add_f32_e32 v3, v7, v3
	v_add_co_ci_u32_e64 v7, null, v9, v1, vcc_lo
	v_add_co_u32 v34, vcc_lo, v43, s2
	global_store_dwordx2 v[4:5], v[2:3], off offset:384
	global_load_dwordx2 v[2:3], v[6:7], off
	v_mul_f32_e32 v4, s15, v33
	v_mul_f32_e32 v5, s14, v33
	v_add_co_ci_u32_e64 v35, null, s3, v44, vcc_lo
	v_fma_f32 v4, v32, s14, -v4
	v_fmac_f32_e32 v5, s15, v32
	s_waitcnt vmcnt(0)
	v_mul_f32_e32 v32, s11, v3
	v_mul_f32_e32 v33, s10, v3
	v_fma_f32 v32, v2, s10, -v32
	v_fmac_f32_e32 v33, s11, v2
	v_add_co_u32 v2, vcc_lo, v34, v0
	v_add_co_ci_u32_e64 v3, null, v35, v1, vcc_lo
	v_add_f32_e32 v4, v4, v32
	v_add_f32_e32 v5, v5, v33
	v_mul_f32_e32 v32, s15, v31
	v_mul_f32_e32 v31, s14, v31
	v_add_co_u32 v8, vcc_lo, v8, s0
	global_store_dwordx2 v[2:3], v[4:5], off
	global_load_dwordx2 v[4:5], v[6:7], off offset:128
	v_fma_f32 v32, v30, s14, -v32
	v_fmac_f32_e32 v31, s15, v30
	v_add_co_ci_u32_e64 v9, null, s1, v9, vcc_lo
	s_waitcnt vmcnt(0)
	v_mul_f32_e32 v33, s11, v5
	v_mul_f32_e32 v5, s10, v5
	v_fma_f32 v30, v4, s10, -v33
	v_fmac_f32_e32 v5, s11, v4
	v_add_f32_e32 v4, v32, v30
	v_add_f32_e32 v5, v31, v5
	v_mul_f32_e32 v30, s15, v29
	v_mul_f32_e32 v29, s14, v29
	global_store_dwordx2 v[2:3], v[4:5], off offset:128
	global_load_dwordx2 v[4:5], v[6:7], off offset:256
	v_fma_f32 v30, v28, s14, -v30
	v_fmac_f32_e32 v29, s15, v28
	s_waitcnt vmcnt(0)
	v_mul_f32_e32 v31, s11, v5
	v_mul_f32_e32 v5, s10, v5
	v_fma_f32 v28, v4, s10, -v31
	v_fmac_f32_e32 v5, s11, v4
	v_add_f32_e32 v4, v30, v28
	v_add_f32_e32 v5, v29, v5
	global_store_dwordx2 v[2:3], v[4:5], off offset:256
	global_load_dwordx2 v[4:5], v[6:7], off offset:384
	v_mul_f32_e32 v6, s15, v27
	v_mul_f32_e32 v7, s14, v27
	v_fma_f32 v6, v26, s14, -v6
	v_fmac_f32_e32 v7, s15, v26
	s_waitcnt vmcnt(0)
	v_mul_f32_e32 v27, s11, v5
	v_mul_f32_e32 v5, s10, v5
	v_fma_f32 v26, v4, s10, -v27
	v_fmac_f32_e32 v5, s11, v4
	v_add_f32_e32 v4, v6, v26
	v_add_co_u32 v6, vcc_lo, v8, v0
	v_add_f32_e32 v5, v7, v5
	v_add_co_ci_u32_e64 v7, null, v9, v1, vcc_lo
	v_add_co_u32 v26, vcc_lo, v34, s2
	global_store_dwordx2 v[2:3], v[4:5], off offset:384
	global_load_dwordx2 v[2:3], v[6:7], off
	v_mul_f32_e32 v4, s15, v25
	v_mul_f32_e32 v5, s14, v25
	v_add_co_ci_u32_e64 v27, null, s3, v35, vcc_lo
	v_fma_f32 v4, v24, s14, -v4
	v_fmac_f32_e32 v5, s15, v24
	s_waitcnt vmcnt(0)
	v_mul_f32_e32 v24, s11, v3
	v_mul_f32_e32 v25, s10, v3
	v_fma_f32 v24, v2, s10, -v24
	v_fmac_f32_e32 v25, s11, v2
	v_add_co_u32 v2, vcc_lo, v26, v0
	v_add_co_ci_u32_e64 v3, null, v27, v1, vcc_lo
	v_add_f32_e32 v4, v4, v24
	v_add_f32_e32 v5, v5, v25
	v_mul_f32_e32 v24, s15, v23
	v_mul_f32_e32 v23, s14, v23
	v_add_co_u32 v8, vcc_lo, v8, s0
	global_store_dwordx2 v[2:3], v[4:5], off
	global_load_dwordx2 v[4:5], v[6:7], off offset:128
	v_fma_f32 v24, v22, s14, -v24
	v_fmac_f32_e32 v23, s15, v22
	v_add_co_ci_u32_e64 v9, null, s1, v9, vcc_lo
	s_waitcnt vmcnt(0)
	v_mul_f32_e32 v25, s11, v5
	v_mul_f32_e32 v5, s10, v5
	v_fma_f32 v22, v4, s10, -v25
	v_fmac_f32_e32 v5, s11, v4
	v_add_f32_e32 v4, v24, v22
	v_add_f32_e32 v5, v23, v5
	v_mul_f32_e32 v22, s15, v21
	v_mul_f32_e32 v21, s14, v21
	global_store_dwordx2 v[2:3], v[4:5], off offset:128
	global_load_dwordx2 v[4:5], v[6:7], off offset:256
	v_fma_f32 v22, v20, s14, -v22
	v_fmac_f32_e32 v21, s15, v20
	s_waitcnt vmcnt(0)
	v_mul_f32_e32 v23, s11, v5
	v_mul_f32_e32 v5, s10, v5
	v_fma_f32 v20, v4, s10, -v23
	v_fmac_f32_e32 v5, s11, v4
	v_add_f32_e32 v4, v22, v20
	v_add_f32_e32 v5, v21, v5
	global_store_dwordx2 v[2:3], v[4:5], off offset:256
	global_load_dwordx2 v[4:5], v[6:7], off offset:384
	v_mul_f32_e32 v6, s15, v19
	v_mul_f32_e32 v7, s14, v19
	v_fma_f32 v6, v18, s14, -v6
	v_fmac_f32_e32 v7, s15, v18
	s_waitcnt vmcnt(0)
	v_mul_f32_e32 v19, s11, v5
	v_mul_f32_e32 v5, s10, v5
	v_fma_f32 v18, v4, s10, -v19
	v_fmac_f32_e32 v5, s11, v4
	v_add_f32_e32 v4, v6, v18
	v_add_co_u32 v6, vcc_lo, v8, v0
	v_add_f32_e32 v5, v7, v5
	v_add_co_ci_u32_e64 v7, null, v9, v1, vcc_lo
	v_add_co_u32 v9, vcc_lo, v26, s2
	global_store_dwordx2 v[2:3], v[4:5], off offset:384
	global_load_dwordx2 v[2:3], v[6:7], off
	v_mul_f32_e32 v4, s15, v17
	v_mul_f32_e32 v5, s14, v17
	v_fma_f32 v4, v16, s14, -v4
	v_fmac_f32_e32 v5, s15, v16
	v_add_co_ci_u32_e64 v16, null, s3, v27, vcc_lo
	v_add_co_u32 v0, vcc_lo, v9, v0
	v_add_co_ci_u32_e64 v1, null, v16, v1, vcc_lo
	s_waitcnt vmcnt(0)
	v_mul_f32_e32 v8, s11, v3
	v_mul_f32_e32 v3, s10, v3
	v_fma_f32 v8, v2, s10, -v8
	v_fmac_f32_e32 v3, s11, v2
	v_add_f32_e32 v2, v4, v8
	v_add_f32_e32 v3, v5, v3
	v_mul_f32_e32 v4, s15, v15
	v_mul_f32_e32 v5, s14, v15
	global_store_dwordx2 v[0:1], v[2:3], off
	global_load_dwordx2 v[2:3], v[6:7], off offset:128
	v_fma_f32 v4, v14, s14, -v4
	v_fmac_f32_e32 v5, s15, v14
	s_waitcnt vmcnt(0)
	v_mul_f32_e32 v8, s11, v3
	v_mul_f32_e32 v3, s10, v3
	v_fma_f32 v8, v2, s10, -v8
	v_fmac_f32_e32 v3, s11, v2
	v_add_f32_e32 v2, v4, v8
	v_add_f32_e32 v3, v5, v3
	v_mul_f32_e32 v4, s15, v13
	v_mul_f32_e32 v5, s14, v13
	global_store_dwordx2 v[0:1], v[2:3], off offset:128
	global_load_dwordx2 v[2:3], v[6:7], off offset:256
	v_fma_f32 v4, v12, s14, -v4
	v_fmac_f32_e32 v5, s15, v12
	s_waitcnt vmcnt(0)
	v_mul_f32_e32 v8, s11, v3
	v_mul_f32_e32 v3, s10, v3
	v_fma_f32 v8, v2, s10, -v8
	v_fmac_f32_e32 v3, s11, v2
	v_add_f32_e32 v2, v4, v8
	v_add_f32_e32 v3, v5, v3
	v_mul_f32_e32 v4, s15, v10
	v_mul_f32_e32 v5, s14, v10
	global_store_dwordx2 v[0:1], v[2:3], off offset:256
	global_load_dwordx2 v[2:3], v[6:7], off offset:384
	v_fma_f32 v4, v11, s14, -v4
	v_fmac_f32_e32 v5, s15, v11
	s_waitcnt vmcnt(0)
	v_mul_f32_e32 v6, s11, v3
	v_mul_f32_e32 v3, s10, v3
	v_fma_f32 v6, v2, s10, -v6
	v_fmac_f32_e32 v3, s11, v2
	v_add_co_u32 v2, vcc_lo, 0x180, v0
	v_add_f32_e32 v4, v4, v6
	v_add_f32_e32 v6, v5, v3
	v_add_co_ci_u32_e64 v3, null, 0, v1, vcc_lo
	global_store_dword v[0:1], v4, off offset:384
.LBB90_7:
	global_store_dword v[2:3], v6, off offset:4
	s_endpgm
	.section	.rodata,"a",@progbits
	.p2align	6, 0x0
	.amdhsa_kernel _ZN12_GLOBAL__N_127rocblas_gemm_batched_kernelI19rocblas_complex_numIfELi16ELi16ELi64ELi64ELi4ELi64ELi4ELi4ELi64ELc84ELc78EKS2_S3_S2_EEvlllT_PT11_llS6_llS4_PT12_llPT13_lli
		.amdhsa_group_segment_fixed_size 4096
		.amdhsa_private_segment_fixed_size 0
		.amdhsa_kernarg_size 140
		.amdhsa_user_sgpr_count 6
		.amdhsa_user_sgpr_private_segment_buffer 1
		.amdhsa_user_sgpr_dispatch_ptr 0
		.amdhsa_user_sgpr_queue_ptr 0
		.amdhsa_user_sgpr_kernarg_segment_ptr 1
		.amdhsa_user_sgpr_dispatch_id 0
		.amdhsa_user_sgpr_flat_scratch_init 0
		.amdhsa_user_sgpr_private_segment_size 0
		.amdhsa_wavefront_size32 1
		.amdhsa_uses_dynamic_stack 0
		.amdhsa_system_sgpr_private_segment_wavefront_offset 0
		.amdhsa_system_sgpr_workgroup_id_x 1
		.amdhsa_system_sgpr_workgroup_id_y 1
		.amdhsa_system_sgpr_workgroup_id_z 1
		.amdhsa_system_sgpr_workgroup_info 0
		.amdhsa_system_vgpr_workitem_id 1
		.amdhsa_next_free_vgpr 188
		.amdhsa_next_free_sgpr 32
		.amdhsa_reserve_vcc 1
		.amdhsa_reserve_flat_scratch 0
		.amdhsa_float_round_mode_32 0
		.amdhsa_float_round_mode_16_64 0
		.amdhsa_float_denorm_mode_32 3
		.amdhsa_float_denorm_mode_16_64 3
		.amdhsa_dx10_clamp 1
		.amdhsa_ieee_mode 1
		.amdhsa_fp16_overflow 0
		.amdhsa_workgroup_processor_mode 1
		.amdhsa_memory_ordered 1
		.amdhsa_forward_progress 1
		.amdhsa_shared_vgpr_count 0
		.amdhsa_exception_fp_ieee_invalid_op 0
		.amdhsa_exception_fp_denorm_src 0
		.amdhsa_exception_fp_ieee_div_zero 0
		.amdhsa_exception_fp_ieee_overflow 0
		.amdhsa_exception_fp_ieee_underflow 0
		.amdhsa_exception_fp_ieee_inexact 0
		.amdhsa_exception_int_div_zero 0
	.end_amdhsa_kernel
	.section	.text._ZN12_GLOBAL__N_127rocblas_gemm_batched_kernelI19rocblas_complex_numIfELi16ELi16ELi64ELi64ELi4ELi64ELi4ELi4ELi64ELc84ELc78EKS2_S3_S2_EEvlllT_PT11_llS6_llS4_PT12_llPT13_lli,"axG",@progbits,_ZN12_GLOBAL__N_127rocblas_gemm_batched_kernelI19rocblas_complex_numIfELi16ELi16ELi64ELi64ELi4ELi64ELi4ELi4ELi64ELc84ELc78EKS2_S3_S2_EEvlllT_PT11_llS6_llS4_PT12_llPT13_lli,comdat
.Lfunc_end90:
	.size	_ZN12_GLOBAL__N_127rocblas_gemm_batched_kernelI19rocblas_complex_numIfELi16ELi16ELi64ELi64ELi4ELi64ELi4ELi4ELi64ELc84ELc78EKS2_S3_S2_EEvlllT_PT11_llS6_llS4_PT12_llPT13_lli, .Lfunc_end90-_ZN12_GLOBAL__N_127rocblas_gemm_batched_kernelI19rocblas_complex_numIfELi16ELi16ELi64ELi64ELi4ELi64ELi4ELi4ELi64ELc84ELc78EKS2_S3_S2_EEvlllT_PT11_llS6_llS4_PT12_llPT13_lli
                                        ; -- End function
	.set _ZN12_GLOBAL__N_127rocblas_gemm_batched_kernelI19rocblas_complex_numIfELi16ELi16ELi64ELi64ELi4ELi64ELi4ELi4ELi64ELc84ELc78EKS2_S3_S2_EEvlllT_PT11_llS6_llS4_PT12_llPT13_lli.num_vgpr, 188
	.set _ZN12_GLOBAL__N_127rocblas_gemm_batched_kernelI19rocblas_complex_numIfELi16ELi16ELi64ELi64ELi4ELi64ELi4ELi4ELi64ELc84ELc78EKS2_S3_S2_EEvlllT_PT11_llS6_llS4_PT12_llPT13_lli.num_agpr, 0
	.set _ZN12_GLOBAL__N_127rocblas_gemm_batched_kernelI19rocblas_complex_numIfELi16ELi16ELi64ELi64ELi4ELi64ELi4ELi4ELi64ELc84ELc78EKS2_S3_S2_EEvlllT_PT11_llS6_llS4_PT12_llPT13_lli.numbered_sgpr, 32
	.set _ZN12_GLOBAL__N_127rocblas_gemm_batched_kernelI19rocblas_complex_numIfELi16ELi16ELi64ELi64ELi4ELi64ELi4ELi4ELi64ELc84ELc78EKS2_S3_S2_EEvlllT_PT11_llS6_llS4_PT12_llPT13_lli.num_named_barrier, 0
	.set _ZN12_GLOBAL__N_127rocblas_gemm_batched_kernelI19rocblas_complex_numIfELi16ELi16ELi64ELi64ELi4ELi64ELi4ELi4ELi64ELc84ELc78EKS2_S3_S2_EEvlllT_PT11_llS6_llS4_PT12_llPT13_lli.private_seg_size, 0
	.set _ZN12_GLOBAL__N_127rocblas_gemm_batched_kernelI19rocblas_complex_numIfELi16ELi16ELi64ELi64ELi4ELi64ELi4ELi4ELi64ELc84ELc78EKS2_S3_S2_EEvlllT_PT11_llS6_llS4_PT12_llPT13_lli.uses_vcc, 1
	.set _ZN12_GLOBAL__N_127rocblas_gemm_batched_kernelI19rocblas_complex_numIfELi16ELi16ELi64ELi64ELi4ELi64ELi4ELi4ELi64ELc84ELc78EKS2_S3_S2_EEvlllT_PT11_llS6_llS4_PT12_llPT13_lli.uses_flat_scratch, 0
	.set _ZN12_GLOBAL__N_127rocblas_gemm_batched_kernelI19rocblas_complex_numIfELi16ELi16ELi64ELi64ELi4ELi64ELi4ELi4ELi64ELc84ELc78EKS2_S3_S2_EEvlllT_PT11_llS6_llS4_PT12_llPT13_lli.has_dyn_sized_stack, 0
	.set _ZN12_GLOBAL__N_127rocblas_gemm_batched_kernelI19rocblas_complex_numIfELi16ELi16ELi64ELi64ELi4ELi64ELi4ELi4ELi64ELc84ELc78EKS2_S3_S2_EEvlllT_PT11_llS6_llS4_PT12_llPT13_lli.has_recursion, 0
	.set _ZN12_GLOBAL__N_127rocblas_gemm_batched_kernelI19rocblas_complex_numIfELi16ELi16ELi64ELi64ELi4ELi64ELi4ELi4ELi64ELc84ELc78EKS2_S3_S2_EEvlllT_PT11_llS6_llS4_PT12_llPT13_lli.has_indirect_call, 0
	.section	.AMDGPU.csdata,"",@progbits
; Kernel info:
; codeLenInByte = 4956
; TotalNumSgprs: 34
; NumVgprs: 188
; ScratchSize: 0
; MemoryBound: 0
; FloatMode: 240
; IeeeMode: 1
; LDSByteSize: 4096 bytes/workgroup (compile time only)
; SGPRBlocks: 0
; VGPRBlocks: 23
; NumSGPRsForWavesPerEU: 34
; NumVGPRsForWavesPerEU: 188
; Occupancy: 5
; WaveLimiterHint : 1
; COMPUTE_PGM_RSRC2:SCRATCH_EN: 0
; COMPUTE_PGM_RSRC2:USER_SGPR: 6
; COMPUTE_PGM_RSRC2:TRAP_HANDLER: 0
; COMPUTE_PGM_RSRC2:TGID_X_EN: 1
; COMPUTE_PGM_RSRC2:TGID_Y_EN: 1
; COMPUTE_PGM_RSRC2:TGID_Z_EN: 1
; COMPUTE_PGM_RSRC2:TIDIG_COMP_CNT: 1
	.section	.text._ZN12_GLOBAL__N_127rocblas_gemm_batched_kernelI19rocblas_complex_numIfELi16ELi16ELi64ELi64ELi4ELi64ELi4ELi4ELi64ELc78ELc84EKS2_S3_S2_EEvlllT_PT11_llS6_llS4_PT12_llPT13_lli,"axG",@progbits,_ZN12_GLOBAL__N_127rocblas_gemm_batched_kernelI19rocblas_complex_numIfELi16ELi16ELi64ELi64ELi4ELi64ELi4ELi4ELi64ELc78ELc84EKS2_S3_S2_EEvlllT_PT11_llS6_llS4_PT12_llPT13_lli,comdat
	.globl	_ZN12_GLOBAL__N_127rocblas_gemm_batched_kernelI19rocblas_complex_numIfELi16ELi16ELi64ELi64ELi4ELi64ELi4ELi4ELi64ELc78ELc84EKS2_S3_S2_EEvlllT_PT11_llS6_llS4_PT12_llPT13_lli ; -- Begin function _ZN12_GLOBAL__N_127rocblas_gemm_batched_kernelI19rocblas_complex_numIfELi16ELi16ELi64ELi64ELi4ELi64ELi4ELi4ELi64ELc78ELc84EKS2_S3_S2_EEvlllT_PT11_llS6_llS4_PT12_llPT13_lli
	.p2align	8
	.type	_ZN12_GLOBAL__N_127rocblas_gemm_batched_kernelI19rocblas_complex_numIfELi16ELi16ELi64ELi64ELi4ELi64ELi4ELi4ELi64ELc78ELc84EKS2_S3_S2_EEvlllT_PT11_llS6_llS4_PT12_llPT13_lli,@function
_ZN12_GLOBAL__N_127rocblas_gemm_batched_kernelI19rocblas_complex_numIfELi16ELi16ELi64ELi64ELi4ELi64ELi4ELi4ELi64ELc78ELc84EKS2_S3_S2_EEvlllT_PT11_llS6_llS4_PT12_llPT13_lli: ; @_ZN12_GLOBAL__N_127rocblas_gemm_batched_kernelI19rocblas_complex_numIfELi16ELi16ELi64ELi64ELi4ELi64ELi4ELi4ELi64ELc78ELc84EKS2_S3_S2_EEvlllT_PT11_llS6_llS4_PT12_llPT13_lli
; %bb.0:
	s_clause 0x1
	s_load_dwordx16 s[12:27], s[4:5], 0x10
	s_load_dwordx2 s[10:11], s[4:5], 0x50
	s_mov_b32 s0, s7
	v_mov_b32_e32 v40, 0
	v_mov_b32_e32 v41, 0
	;; [unrolled: 1-line block ×17, first 2 shown]
	s_waitcnt lgkmcnt(0)
	v_cmp_lt_i64_e64 s2, s[12:13], 1
	v_mov_b32_e32 v25, 0
	v_mov_b32_e32 v22, 0
	;; [unrolled: 1-line block ×15, first 2 shown]
	s_ashr_i32 s7, s6, 31
	s_ashr_i32 s1, s0, 31
	s_lshl_b64 s[28:29], s[6:7], 6
	s_and_b32 vcc_lo, exec_lo, s2
	s_lshl_b64 s[30:31], s[0:1], 6
	s_cbranch_vccnz .LBB91_3
; %bb.1:
	v_lshl_add_u32 v8, v1, 4, v0
	v_and_b32_e32 v11, 3, v0
	s_mul_i32 s1, s21, s8
	s_mul_hi_u32 s2, s20, s8
	s_mul_hi_u32 s3, s26, s8
	v_lshrrev_b32_e32 v9, 2, v8
	v_lshrrev_b32_e32 v12, 6, v8
	s_add_i32 s1, s2, s1
	v_lshlrev_b32_e32 v13, 3, v11
	s_mul_i32 s2, s27, s8
	v_add_co_u32 v2, s0, v9, s30
	v_add_co_ci_u32_e64 v3, null, 0, s31, s0
	v_mad_u64_u32 v[4:5], null, s18, v12, s[28:29]
	s_mul_i32 s0, s20, s8
	v_mad_u64_u32 v[6:7], null, s24, v11, v[2:3]
	s_lshl_b64 s[0:1], s[0:1], 3
	v_lshl_or_b32 v9, v9, 5, v13
	s_add_u32 s0, s16, s0
	v_mov_b32_e32 v2, v5
	v_and_b32_e32 v5, 63, v8
	s_addc_u32 s1, s17, s1
	v_mov_b32_e32 v3, v7
	v_mov_b32_e32 v10, 0
	v_lshlrev_b32_e32 v42, 3, v0
	v_lshl_add_u32 v43, v1, 5, 0x800
	v_add_nc_u32_e32 v45, 0x800, v9
	v_mad_u64_u32 v[7:8], null, s19, v12, v[2:3]
	v_mad_u64_u32 v[2:3], null, s25, v11, v[3:4]
	v_add_co_u32 v3, vcc_lo, v4, v5
	v_lshlrev_b32_e32 v8, 3, v5
	v_mov_b32_e32 v11, 0
	v_add_co_ci_u32_e64 v4, null, 0, v7, vcc_lo
	v_mov_b32_e32 v7, v2
	v_lshl_or_b32 v44, v12, 9, v8
	v_mov_b32_e32 v13, 0
	v_lshlrev_b64 v[2:3], 3, v[3:4]
	v_mov_b32_e32 v12, 0
	v_lshlrev_b64 v[4:5], 3, v[6:7]
	v_mov_b32_e32 v15, 0
	v_mov_b32_e32 v14, 0
	;; [unrolled: 1-line block ×3, first 2 shown]
	v_add_co_u32 v2, vcc_lo, s0, v2
	v_add_co_ci_u32_e64 v3, null, s1, v3, vcc_lo
	s_add_i32 s1, s3, s2
	s_mul_i32 s0, s26, s8
	v_mov_b32_e32 v16, 0
	s_lshl_b64 s[2:3], s[0:1], 3
	s_lshl_b64 s[0:1], s[18:19], 5
	s_add_u32 s2, s22, s2
	s_addc_u32 s3, s23, s3
	v_add_co_u32 v4, vcc_lo, s2, v4
	v_add_co_ci_u32_e64 v5, null, s3, v5, vcc_lo
	v_mov_b32_e32 v19, 0
	v_mov_b32_e32 v18, 0
	;; [unrolled: 1-line block ×24, first 2 shown]
	s_lshl_b64 s[2:3], s[24:25], 5
	s_mov_b64 s[6:7], 0
.LBB91_2:                               ; =>This Inner Loop Header: Depth=1
	global_load_dwordx2 v[6:7], v[2:3], off
	global_load_dwordx2 v[8:9], v[4:5], off
	s_add_u32 s6, s6, 4
	s_addc_u32 s7, s7, 0
	v_add_co_u32 v2, vcc_lo, v2, s0
	v_cmp_lt_i64_e64 s9, s[6:7], s[12:13]
	v_add_co_ci_u32_e64 v3, null, s1, v3, vcc_lo
	v_add_co_u32 v4, vcc_lo, v4, s2
	v_add_co_ci_u32_e64 v5, null, s3, v5, vcc_lo
	s_and_b32 vcc_lo, exec_lo, s9
	s_waitcnt vmcnt(1)
	ds_write_b64 v44, v[6:7]
	s_waitcnt vmcnt(0)
	ds_write_b64 v45, v[8:9]
	s_waitcnt lgkmcnt(0)
	s_barrier
	buffer_gl0_inv
	ds_read_b128 v[6:9], v43
	ds_read2_b64 v[46:49], v42 offset1:16
	ds_read_b128 v[50:53], v43 offset:512
	ds_read_b128 v[54:57], v43 offset:16
	;; [unrolled: 1-line block ×7, first 2 shown]
	ds_read2_b64 v[78:81], v42 offset0:32 offset1:48
	ds_read2_b64 v[82:85], v42 offset0:64 offset1:80
	;; [unrolled: 1-line block ×7, first 2 shown]
	s_waitcnt lgkmcnt(0)
	s_barrier
	buffer_gl0_inv
	v_mul_f32_e32 v106, v7, v47
	v_mul_f32_e32 v107, v6, v47
	;; [unrolled: 1-line block ×64, first 2 shown]
	v_fma_f32 v106, v6, v46, -v106
	v_fmac_f32_e32 v107, v7, v46
	v_fma_f32 v108, v6, v48, -v108
	v_fmac_f32_e32 v109, v7, v48
	;; [unrolled: 2-line block ×16, first 2 shown]
	v_mul_f32_e32 v162, v55, v91
	v_mul_f32_e32 v163, v54, v91
	;; [unrolled: 1-line block ×28, first 2 shown]
	v_fma_f32 v124, v8, v82, -v134
	v_fmac_f32_e32 v135, v9, v82
	v_fma_f32 v126, v8, v84, -v136
	v_fmac_f32_e32 v137, v9, v84
	;; [unrolled: 2-line block ×4, first 2 shown]
	v_mul_f32_e32 v9, v75, v95
	v_mul_f32_e32 v95, v74, v95
	;; [unrolled: 1-line block ×4, first 2 shown]
	v_fma_f32 v132, v52, v82, -v142
	v_fmac_f32_e32 v143, v53, v82
	v_fma_f32 v133, v52, v84, -v144
	v_fmac_f32_e32 v145, v53, v84
	;; [unrolled: 2-line block ×4, first 2 shown]
	v_mul_f32_e32 v136, v56, v99
	v_mul_f32_e32 v140, v56, v101
	v_fma_f32 v142, v64, v82, -v150
	v_fmac_f32_e32 v151, v65, v82
	v_fma_f32 v144, v64, v84, -v152
	v_fmac_f32_e32 v153, v65, v84
	;; [unrolled: 2-line block ×4, first 2 shown]
	v_mul_f32_e32 v148, v56, v103
	v_mul_f32_e32 v152, v56, v105
	v_fma_f32 v154, v72, v82, -v158
	v_fmac_f32_e32 v83, v73, v82
	v_fma_f32 v82, v72, v84, -v159
	v_fmac_f32_e32 v85, v73, v84
	;; [unrolled: 2-line block ×4, first 2 shown]
	v_add_f32_e32 v40, v40, v106
	v_add_f32_e32 v41, v41, v107
	;; [unrolled: 1-line block ×32, first 2 shown]
	v_mul_f32_e32 v53, v57, v99
	v_mul_f32_e32 v138, v57, v101
	;; [unrolled: 1-line block ×16, first 2 shown]
	v_fma_f32 v162, v54, v90, -v162
	v_fmac_f32_e32 v163, v55, v90
	v_fma_f32 v164, v54, v92, -v164
	v_fmac_f32_e32 v165, v55, v92
	;; [unrolled: 2-line block ×8, first 2 shown]
	v_mul_f32_e32 v92, v69, v103
	v_mul_f32_e32 v175, v68, v103
	;; [unrolled: 1-line block ×4, first 2 shown]
	v_fma_f32 v176, v54, v94, -v176
	v_fmac_f32_e32 v177, v55, v94
	v_fma_f32 v54, v54, v96, -v178
	v_fmac_f32_e32 v179, v55, v96
	;; [unrolled: 2-line block ×8, first 2 shown]
	v_mul_f32_e32 v67, v77, v99
	v_mul_f32_e32 v71, v76, v99
	;; [unrolled: 1-line block ×4, first 2 shown]
	v_fmac_f32_e32 v136, v57, v98
	v_fmac_f32_e32 v140, v57, v100
	;; [unrolled: 1-line block ×4, first 2 shown]
	v_mul_f32_e32 v57, v77, v103
	v_mul_f32_e32 v94, v76, v103
	;; [unrolled: 1-line block ×4, first 2 shown]
	v_add_f32_e32 v29, v40, v124
	v_add_f32_e32 v35, v41, v135
	;; [unrolled: 1-line block ×32, first 2 shown]
	v_fma_f32 v53, v56, v98, -v53
	v_fma_f32 v80, v56, v100, -v138
	;; [unrolled: 1-line block ×5, first 2 shown]
	v_fmac_f32_e32 v156, v61, v98
	v_fma_f32 v101, v60, v100, -v158
	v_fmac_f32_e32 v159, v61, v100
	v_fma_f32 v73, v60, v102, -v73
	;; [unrolled: 2-line block ×11, first 2 shown]
	v_fmac_f32_e32 v99, v77, v104
	v_add_f32_e32 v29, v29, v162
	v_add_f32_e32 v34, v35, v163
	;; [unrolled: 1-line block ×64, first 2 shown]
	s_cbranch_vccnz .LBB91_2
.LBB91_3:
	s_clause 0x1
	s_load_dwordx4 s[16:19], s[4:5], 0x78
	s_load_dwordx8 s[0:7], s[4:5], 0x58
	s_waitcnt lgkmcnt(0)
	s_mul_i32 s9, s19, s8
	s_mul_hi_u32 s13, s18, s8
	s_mul_i32 s12, s18, s8
	s_add_i32 s13, s13, s9
	s_lshl_b64 s[12:13], s[12:13], 3
	s_add_u32 s9, s6, s12
	s_addc_u32 s12, s7, s13
	v_add_co_u32 v4, s7, s30, v1
	v_add_co_ci_u32_e64 v5, null, s31, 0, s7
	v_add_co_u32 v0, s7, s28, v0
	s_or_b32 s6, s10, s11
	v_add_co_ci_u32_e64 v1, null, s29, 0, s7
	s_bitset0_b32 s6, 31
	s_mov_b32 s13, 0
	s_cmp_lg_u32 s6, 0
	s_cbranch_scc1 .LBB91_5
; %bb.4:
	v_mul_lo_u32 v6, v5, s16
	v_mul_lo_u32 v8, v4, s17
	v_mad_u64_u32 v[2:3], null, v4, s16, 0
	v_mul_f32_e32 v42, s15, v41
	v_mul_f32_e32 v7, s14, v41
	;; [unrolled: 1-line block ×6, first 2 shown]
	v_add3_u32 v3, v3, v8, v6
	v_lshlrev_b64 v[8:9], 3, v[0:1]
	v_mul_f32_e32 v48, s15, v35
	v_mul_f32_e32 v47, s14, v35
	v_fma_f32 v6, v40, s14, -v42
	v_lshlrev_b64 v[2:3], 3, v[2:3]
	v_fmac_f32_e32 v7, s15, v40
	v_fma_f32 v42, v38, s14, -v44
	v_fmac_f32_e32 v43, s15, v38
	s_lshl_b64 s[6:7], s[16:17], 7
	v_fma_f32 v44, v36, s14, -v46
	v_add_co_u32 v49, vcc_lo, s9, v2
	v_add_co_ci_u32_e64 v50, null, s12, v3, vcc_lo
	v_fmac_f32_e32 v45, s15, v36
	v_add_co_u32 v2, vcc_lo, v49, v8
	v_add_co_ci_u32_e64 v3, null, v50, v9, vcc_lo
	v_fma_f32 v46, v34, s14, -v48
	v_fmac_f32_e32 v47, s15, v34
	v_add_co_u32 v48, vcc_lo, v49, s6
	global_store_dwordx2 v[2:3], v[6:7], off
	global_store_dwordx2 v[2:3], v[42:43], off offset:128
	global_store_dwordx2 v[2:3], v[44:45], off offset:256
	;; [unrolled: 1-line block ×3, first 2 shown]
	v_mul_f32_e32 v2, s15, v33
	v_mul_f32_e32 v3, s14, v33
	v_add_co_ci_u32_e64 v49, null, s7, v50, vcc_lo
	v_mul_f32_e32 v6, s15, v31
	v_mul_f32_e32 v7, s14, v31
	;; [unrolled: 1-line block ×4, first 2 shown]
	v_add_co_u32 v44, vcc_lo, v48, v8
	v_fma_f32 v2, v32, s14, -v2
	v_fmac_f32_e32 v3, s15, v32
	v_add_co_ci_u32_e64 v45, null, v49, v9, vcc_lo
	v_fma_f32 v6, v30, s14, -v6
	v_fmac_f32_e32 v7, s15, v30
	v_fma_f32 v42, v28, s14, -v42
	v_fmac_f32_e32 v43, s15, v28
	v_add_co_u32 v52, vcc_lo, v48, s6
	v_mul_f32_e32 v46, s15, v27
	v_mul_f32_e32 v47, s14, v27
	global_store_dwordx2 v[44:45], v[2:3], off
	global_store_dwordx2 v[44:45], v[6:7], off offset:128
	global_store_dwordx2 v[44:45], v[42:43], off offset:256
	v_mul_f32_e32 v2, s15, v25
	v_mul_f32_e32 v3, s14, v25
	v_add_co_ci_u32_e64 v53, null, s7, v49, vcc_lo
	v_mul_f32_e32 v42, s15, v23
	v_mul_f32_e32 v43, s14, v23
	v_mul_f32_e32 v48, s15, v21
	v_mul_f32_e32 v49, s14, v21
	v_add_co_u32 v6, vcc_lo, v52, v8
	v_mul_f32_e32 v50, s15, v19
	v_mul_f32_e32 v51, s14, v19
	v_fma_f32 v46, v26, s14, -v46
	v_fmac_f32_e32 v47, s15, v26
	v_fma_f32 v2, v24, s14, -v2
	v_fmac_f32_e32 v3, s15, v24
	v_add_co_ci_u32_e64 v7, null, v53, v9, vcc_lo
	v_fma_f32 v42, v22, s14, -v42
	v_fmac_f32_e32 v43, s15, v22
	v_fma_f32 v48, v20, s14, -v48
	v_fmac_f32_e32 v49, s15, v20
	;; [unrolled: 2-line block ×3, first 2 shown]
	global_store_dwordx2 v[44:45], v[46:47], off offset:384
	global_store_dwordx2 v[6:7], v[2:3], off
	global_store_dwordx2 v[6:7], v[42:43], off offset:128
	global_store_dwordx2 v[6:7], v[48:49], off offset:256
	;; [unrolled: 1-line block ×3, first 2 shown]
	v_mul_f32_e32 v2, s15, v17
	v_add_co_u32 v3, vcc_lo, v52, s6
	v_add_co_ci_u32_e64 v6, null, s7, v53, vcc_lo
	v_fma_f32 v42, v16, s14, -v2
	v_mul_f32_e32 v2, s15, v15
	v_add_co_u32 v7, vcc_lo, v3, v8
	v_mul_f32_e32 v43, s14, v17
	v_add_co_ci_u32_e64 v8, null, v6, v9, vcc_lo
	v_fma_f32 v44, v14, s14, -v2
	v_mul_f32_e32 v2, s15, v13
	v_mul_f32_e32 v3, s15, v10
	;; [unrolled: 1-line block ×5, first 2 shown]
	v_fma_f32 v46, v12, s14, -v2
	v_add_co_u32 v2, vcc_lo, 0x180, v7
	v_fmac_f32_e32 v43, s15, v16
	v_fma_f32 v9, v11, s14, -v3
	v_fmac_f32_e32 v6, s15, v11
	v_add_co_ci_u32_e64 v3, null, 0, v8, vcc_lo
	v_fmac_f32_e32 v45, s15, v14
	v_fmac_f32_e32 v47, s15, v12
	global_store_dwordx2 v[7:8], v[42:43], off
	global_store_dwordx2 v[7:8], v[44:45], off offset:128
	global_store_dwordx2 v[7:8], v[46:47], off offset:256
	global_store_dword v[7:8], v9, off offset:384
	s_andn2_b32 vcc_lo, exec_lo, s13
	s_cbranch_vccz .LBB91_6
	s_branch .LBB91_7
.LBB91_5:
                                        ; implicit-def: $vgpr6
                                        ; implicit-def: $vgpr2_vgpr3
.LBB91_6:
	v_mul_lo_u32 v6, v5, s2
	v_mul_lo_u32 v7, v4, s3
	v_mad_u64_u32 v[2:3], null, v4, s2, 0
	s_mul_i32 s5, s5, s8
	s_mul_hi_u32 s6, s4, s8
	s_mul_i32 s4, s4, s8
	s_add_i32 s5, s6, s5
	v_lshlrev_b64 v[0:1], 3, v[0:1]
	s_lshl_b64 s[4:5], s[4:5], 3
	v_add3_u32 v3, v3, v7, v6
	s_add_u32 s0, s0, s4
	s_addc_u32 s1, s1, s5
	v_mul_lo_u32 v42, v5, s16
	v_mul_lo_u32 v43, v4, s17
	v_lshlrev_b64 v[2:3], 3, v[2:3]
	v_mad_u64_u32 v[4:5], null, v4, s16, 0
	v_add_co_u32 v8, vcc_lo, s0, v2
	v_add_co_ci_u32_e64 v9, null, s1, v3, vcc_lo
	v_add3_u32 v5, v5, v43, v42
	v_add_co_u32 v2, vcc_lo, v8, v0
	v_add_co_ci_u32_e64 v3, null, v9, v1, vcc_lo
	v_mul_f32_e32 v42, s15, v41
	v_mul_f32_e32 v41, s14, v41
	v_lshlrev_b64 v[4:5], 3, v[4:5]
	global_load_dwordx2 v[6:7], v[2:3], off
	s_lshl_b64 s[0:1], s[2:3], 7
	v_fma_f32 v42, v40, s14, -v42
	v_fmac_f32_e32 v41, s15, v40
	s_lshl_b64 s[2:3], s[16:17], 7
	v_add_co_u32 v43, vcc_lo, s9, v4
	v_add_co_ci_u32_e64 v44, null, s12, v5, vcc_lo
	v_add_co_u32 v4, vcc_lo, v43, v0
	v_add_co_ci_u32_e64 v5, null, v44, v1, vcc_lo
	v_add_co_u32 v8, vcc_lo, v8, s0
	v_add_co_ci_u32_e64 v9, null, s1, v9, vcc_lo
	s_waitcnt vmcnt(0)
	v_mul_f32_e32 v40, s11, v7
	v_mul_f32_e32 v7, s10, v7
	v_fma_f32 v40, v6, s10, -v40
	v_fmac_f32_e32 v7, s11, v6
	v_add_f32_e32 v6, v42, v40
	v_add_f32_e32 v7, v41, v7
	v_mul_f32_e32 v40, s15, v39
	v_mul_f32_e32 v39, s14, v39
	global_store_dwordx2 v[4:5], v[6:7], off
	global_load_dwordx2 v[6:7], v[2:3], off offset:128
	v_fma_f32 v40, v38, s14, -v40
	v_fmac_f32_e32 v39, s15, v38
	s_waitcnt vmcnt(0)
	v_mul_f32_e32 v41, s11, v7
	v_mul_f32_e32 v7, s10, v7
	v_fma_f32 v38, v6, s10, -v41
	v_fmac_f32_e32 v7, s11, v6
	v_add_f32_e32 v6, v40, v38
	v_add_f32_e32 v7, v39, v7
	v_mul_f32_e32 v38, s15, v37
	v_mul_f32_e32 v37, s14, v37
	global_store_dwordx2 v[4:5], v[6:7], off offset:128
	global_load_dwordx2 v[6:7], v[2:3], off offset:256
	v_fma_f32 v38, v36, s14, -v38
	v_fmac_f32_e32 v37, s15, v36
	s_waitcnt vmcnt(0)
	v_mul_f32_e32 v39, s11, v7
	v_mul_f32_e32 v7, s10, v7
	v_fma_f32 v36, v6, s10, -v39
	v_fmac_f32_e32 v7, s11, v6
	v_add_f32_e32 v6, v38, v36
	v_add_f32_e32 v7, v37, v7
	global_store_dwordx2 v[4:5], v[6:7], off offset:256
	global_load_dwordx2 v[2:3], v[2:3], off offset:384
	v_mul_f32_e32 v6, s15, v35
	v_mul_f32_e32 v7, s14, v35
	v_fma_f32 v6, v34, s14, -v6
	v_fmac_f32_e32 v7, s15, v34
	s_waitcnt vmcnt(0)
	v_mul_f32_e32 v35, s11, v3
	v_mul_f32_e32 v3, s10, v3
	v_fma_f32 v34, v2, s10, -v35
	v_fmac_f32_e32 v3, s11, v2
	v_add_f32_e32 v2, v6, v34
	v_add_co_u32 v6, vcc_lo, v8, v0
	v_add_f32_e32 v3, v7, v3
	v_add_co_ci_u32_e64 v7, null, v9, v1, vcc_lo
	v_add_co_u32 v34, vcc_lo, v43, s2
	global_store_dwordx2 v[4:5], v[2:3], off offset:384
	global_load_dwordx2 v[2:3], v[6:7], off
	v_mul_f32_e32 v4, s15, v33
	v_mul_f32_e32 v5, s14, v33
	v_add_co_ci_u32_e64 v35, null, s3, v44, vcc_lo
	v_fma_f32 v4, v32, s14, -v4
	v_fmac_f32_e32 v5, s15, v32
	s_waitcnt vmcnt(0)
	v_mul_f32_e32 v32, s11, v3
	v_mul_f32_e32 v33, s10, v3
	v_fma_f32 v32, v2, s10, -v32
	v_fmac_f32_e32 v33, s11, v2
	v_add_co_u32 v2, vcc_lo, v34, v0
	v_add_co_ci_u32_e64 v3, null, v35, v1, vcc_lo
	v_add_f32_e32 v4, v4, v32
	v_add_f32_e32 v5, v5, v33
	v_mul_f32_e32 v32, s15, v31
	v_mul_f32_e32 v31, s14, v31
	v_add_co_u32 v8, vcc_lo, v8, s0
	global_store_dwordx2 v[2:3], v[4:5], off
	global_load_dwordx2 v[4:5], v[6:7], off offset:128
	v_fma_f32 v32, v30, s14, -v32
	v_fmac_f32_e32 v31, s15, v30
	v_add_co_ci_u32_e64 v9, null, s1, v9, vcc_lo
	s_waitcnt vmcnt(0)
	v_mul_f32_e32 v33, s11, v5
	v_mul_f32_e32 v5, s10, v5
	v_fma_f32 v30, v4, s10, -v33
	v_fmac_f32_e32 v5, s11, v4
	v_add_f32_e32 v4, v32, v30
	v_add_f32_e32 v5, v31, v5
	v_mul_f32_e32 v30, s15, v29
	v_mul_f32_e32 v29, s14, v29
	global_store_dwordx2 v[2:3], v[4:5], off offset:128
	global_load_dwordx2 v[4:5], v[6:7], off offset:256
	v_fma_f32 v30, v28, s14, -v30
	v_fmac_f32_e32 v29, s15, v28
	s_waitcnt vmcnt(0)
	v_mul_f32_e32 v31, s11, v5
	v_mul_f32_e32 v5, s10, v5
	v_fma_f32 v28, v4, s10, -v31
	v_fmac_f32_e32 v5, s11, v4
	v_add_f32_e32 v4, v30, v28
	v_add_f32_e32 v5, v29, v5
	global_store_dwordx2 v[2:3], v[4:5], off offset:256
	global_load_dwordx2 v[4:5], v[6:7], off offset:384
	v_mul_f32_e32 v6, s15, v27
	v_mul_f32_e32 v7, s14, v27
	v_fma_f32 v6, v26, s14, -v6
	v_fmac_f32_e32 v7, s15, v26
	s_waitcnt vmcnt(0)
	v_mul_f32_e32 v27, s11, v5
	v_mul_f32_e32 v5, s10, v5
	v_fma_f32 v26, v4, s10, -v27
	v_fmac_f32_e32 v5, s11, v4
	v_add_f32_e32 v4, v6, v26
	v_add_co_u32 v6, vcc_lo, v8, v0
	v_add_f32_e32 v5, v7, v5
	v_add_co_ci_u32_e64 v7, null, v9, v1, vcc_lo
	v_add_co_u32 v26, vcc_lo, v34, s2
	global_store_dwordx2 v[2:3], v[4:5], off offset:384
	global_load_dwordx2 v[2:3], v[6:7], off
	v_mul_f32_e32 v4, s15, v25
	v_mul_f32_e32 v5, s14, v25
	v_add_co_ci_u32_e64 v27, null, s3, v35, vcc_lo
	v_fma_f32 v4, v24, s14, -v4
	v_fmac_f32_e32 v5, s15, v24
	s_waitcnt vmcnt(0)
	v_mul_f32_e32 v24, s11, v3
	v_mul_f32_e32 v25, s10, v3
	v_fma_f32 v24, v2, s10, -v24
	v_fmac_f32_e32 v25, s11, v2
	v_add_co_u32 v2, vcc_lo, v26, v0
	v_add_co_ci_u32_e64 v3, null, v27, v1, vcc_lo
	v_add_f32_e32 v4, v4, v24
	v_add_f32_e32 v5, v5, v25
	v_mul_f32_e32 v24, s15, v23
	v_mul_f32_e32 v23, s14, v23
	v_add_co_u32 v8, vcc_lo, v8, s0
	global_store_dwordx2 v[2:3], v[4:5], off
	global_load_dwordx2 v[4:5], v[6:7], off offset:128
	v_fma_f32 v24, v22, s14, -v24
	v_fmac_f32_e32 v23, s15, v22
	v_add_co_ci_u32_e64 v9, null, s1, v9, vcc_lo
	s_waitcnt vmcnt(0)
	v_mul_f32_e32 v25, s11, v5
	v_mul_f32_e32 v5, s10, v5
	v_fma_f32 v22, v4, s10, -v25
	v_fmac_f32_e32 v5, s11, v4
	v_add_f32_e32 v4, v24, v22
	v_add_f32_e32 v5, v23, v5
	v_mul_f32_e32 v22, s15, v21
	v_mul_f32_e32 v21, s14, v21
	global_store_dwordx2 v[2:3], v[4:5], off offset:128
	global_load_dwordx2 v[4:5], v[6:7], off offset:256
	v_fma_f32 v22, v20, s14, -v22
	v_fmac_f32_e32 v21, s15, v20
	s_waitcnt vmcnt(0)
	v_mul_f32_e32 v23, s11, v5
	v_mul_f32_e32 v5, s10, v5
	v_fma_f32 v20, v4, s10, -v23
	v_fmac_f32_e32 v5, s11, v4
	v_add_f32_e32 v4, v22, v20
	v_add_f32_e32 v5, v21, v5
	global_store_dwordx2 v[2:3], v[4:5], off offset:256
	global_load_dwordx2 v[4:5], v[6:7], off offset:384
	v_mul_f32_e32 v6, s15, v19
	v_mul_f32_e32 v7, s14, v19
	v_fma_f32 v6, v18, s14, -v6
	v_fmac_f32_e32 v7, s15, v18
	s_waitcnt vmcnt(0)
	v_mul_f32_e32 v19, s11, v5
	v_mul_f32_e32 v5, s10, v5
	v_fma_f32 v18, v4, s10, -v19
	v_fmac_f32_e32 v5, s11, v4
	v_add_f32_e32 v4, v6, v18
	v_add_co_u32 v6, vcc_lo, v8, v0
	v_add_f32_e32 v5, v7, v5
	v_add_co_ci_u32_e64 v7, null, v9, v1, vcc_lo
	v_add_co_u32 v9, vcc_lo, v26, s2
	global_store_dwordx2 v[2:3], v[4:5], off offset:384
	global_load_dwordx2 v[2:3], v[6:7], off
	v_mul_f32_e32 v4, s15, v17
	v_mul_f32_e32 v5, s14, v17
	v_fma_f32 v4, v16, s14, -v4
	v_fmac_f32_e32 v5, s15, v16
	v_add_co_ci_u32_e64 v16, null, s3, v27, vcc_lo
	v_add_co_u32 v0, vcc_lo, v9, v0
	v_add_co_ci_u32_e64 v1, null, v16, v1, vcc_lo
	s_waitcnt vmcnt(0)
	v_mul_f32_e32 v8, s11, v3
	v_mul_f32_e32 v3, s10, v3
	v_fma_f32 v8, v2, s10, -v8
	v_fmac_f32_e32 v3, s11, v2
	v_add_f32_e32 v2, v4, v8
	v_add_f32_e32 v3, v5, v3
	v_mul_f32_e32 v4, s15, v15
	v_mul_f32_e32 v5, s14, v15
	global_store_dwordx2 v[0:1], v[2:3], off
	global_load_dwordx2 v[2:3], v[6:7], off offset:128
	v_fma_f32 v4, v14, s14, -v4
	v_fmac_f32_e32 v5, s15, v14
	s_waitcnt vmcnt(0)
	v_mul_f32_e32 v8, s11, v3
	v_mul_f32_e32 v3, s10, v3
	v_fma_f32 v8, v2, s10, -v8
	v_fmac_f32_e32 v3, s11, v2
	v_add_f32_e32 v2, v4, v8
	v_add_f32_e32 v3, v5, v3
	v_mul_f32_e32 v4, s15, v13
	v_mul_f32_e32 v5, s14, v13
	global_store_dwordx2 v[0:1], v[2:3], off offset:128
	global_load_dwordx2 v[2:3], v[6:7], off offset:256
	v_fma_f32 v4, v12, s14, -v4
	v_fmac_f32_e32 v5, s15, v12
	s_waitcnt vmcnt(0)
	v_mul_f32_e32 v8, s11, v3
	v_mul_f32_e32 v3, s10, v3
	v_fma_f32 v8, v2, s10, -v8
	v_fmac_f32_e32 v3, s11, v2
	v_add_f32_e32 v2, v4, v8
	v_add_f32_e32 v3, v5, v3
	v_mul_f32_e32 v4, s15, v10
	v_mul_f32_e32 v5, s14, v10
	global_store_dwordx2 v[0:1], v[2:3], off offset:256
	global_load_dwordx2 v[2:3], v[6:7], off offset:384
	v_fma_f32 v4, v11, s14, -v4
	v_fmac_f32_e32 v5, s15, v11
	s_waitcnt vmcnt(0)
	v_mul_f32_e32 v6, s11, v3
	v_mul_f32_e32 v3, s10, v3
	v_fma_f32 v6, v2, s10, -v6
	v_fmac_f32_e32 v3, s11, v2
	v_add_co_u32 v2, vcc_lo, 0x180, v0
	v_add_f32_e32 v4, v4, v6
	v_add_f32_e32 v6, v5, v3
	v_add_co_ci_u32_e64 v3, null, 0, v1, vcc_lo
	global_store_dword v[0:1], v4, off offset:384
.LBB91_7:
	global_store_dword v[2:3], v6, off offset:4
	s_endpgm
	.section	.rodata,"a",@progbits
	.p2align	6, 0x0
	.amdhsa_kernel _ZN12_GLOBAL__N_127rocblas_gemm_batched_kernelI19rocblas_complex_numIfELi16ELi16ELi64ELi64ELi4ELi64ELi4ELi4ELi64ELc78ELc84EKS2_S3_S2_EEvlllT_PT11_llS6_llS4_PT12_llPT13_lli
		.amdhsa_group_segment_fixed_size 4096
		.amdhsa_private_segment_fixed_size 0
		.amdhsa_kernarg_size 140
		.amdhsa_user_sgpr_count 6
		.amdhsa_user_sgpr_private_segment_buffer 1
		.amdhsa_user_sgpr_dispatch_ptr 0
		.amdhsa_user_sgpr_queue_ptr 0
		.amdhsa_user_sgpr_kernarg_segment_ptr 1
		.amdhsa_user_sgpr_dispatch_id 0
		.amdhsa_user_sgpr_flat_scratch_init 0
		.amdhsa_user_sgpr_private_segment_size 0
		.amdhsa_wavefront_size32 1
		.amdhsa_uses_dynamic_stack 0
		.amdhsa_system_sgpr_private_segment_wavefront_offset 0
		.amdhsa_system_sgpr_workgroup_id_x 1
		.amdhsa_system_sgpr_workgroup_id_y 1
		.amdhsa_system_sgpr_workgroup_id_z 1
		.amdhsa_system_sgpr_workgroup_info 0
		.amdhsa_system_vgpr_workitem_id 1
		.amdhsa_next_free_vgpr 188
		.amdhsa_next_free_sgpr 32
		.amdhsa_reserve_vcc 1
		.amdhsa_reserve_flat_scratch 0
		.amdhsa_float_round_mode_32 0
		.amdhsa_float_round_mode_16_64 0
		.amdhsa_float_denorm_mode_32 3
		.amdhsa_float_denorm_mode_16_64 3
		.amdhsa_dx10_clamp 1
		.amdhsa_ieee_mode 1
		.amdhsa_fp16_overflow 0
		.amdhsa_workgroup_processor_mode 1
		.amdhsa_memory_ordered 1
		.amdhsa_forward_progress 1
		.amdhsa_shared_vgpr_count 0
		.amdhsa_exception_fp_ieee_invalid_op 0
		.amdhsa_exception_fp_denorm_src 0
		.amdhsa_exception_fp_ieee_div_zero 0
		.amdhsa_exception_fp_ieee_overflow 0
		.amdhsa_exception_fp_ieee_underflow 0
		.amdhsa_exception_fp_ieee_inexact 0
		.amdhsa_exception_int_div_zero 0
	.end_amdhsa_kernel
	.section	.text._ZN12_GLOBAL__N_127rocblas_gemm_batched_kernelI19rocblas_complex_numIfELi16ELi16ELi64ELi64ELi4ELi64ELi4ELi4ELi64ELc78ELc84EKS2_S3_S2_EEvlllT_PT11_llS6_llS4_PT12_llPT13_lli,"axG",@progbits,_ZN12_GLOBAL__N_127rocblas_gemm_batched_kernelI19rocblas_complex_numIfELi16ELi16ELi64ELi64ELi4ELi64ELi4ELi4ELi64ELc78ELc84EKS2_S3_S2_EEvlllT_PT11_llS6_llS4_PT12_llPT13_lli,comdat
.Lfunc_end91:
	.size	_ZN12_GLOBAL__N_127rocblas_gemm_batched_kernelI19rocblas_complex_numIfELi16ELi16ELi64ELi64ELi4ELi64ELi4ELi4ELi64ELc78ELc84EKS2_S3_S2_EEvlllT_PT11_llS6_llS4_PT12_llPT13_lli, .Lfunc_end91-_ZN12_GLOBAL__N_127rocblas_gemm_batched_kernelI19rocblas_complex_numIfELi16ELi16ELi64ELi64ELi4ELi64ELi4ELi4ELi64ELc78ELc84EKS2_S3_S2_EEvlllT_PT11_llS6_llS4_PT12_llPT13_lli
                                        ; -- End function
	.set _ZN12_GLOBAL__N_127rocblas_gemm_batched_kernelI19rocblas_complex_numIfELi16ELi16ELi64ELi64ELi4ELi64ELi4ELi4ELi64ELc78ELc84EKS2_S3_S2_EEvlllT_PT11_llS6_llS4_PT12_llPT13_lli.num_vgpr, 188
	.set _ZN12_GLOBAL__N_127rocblas_gemm_batched_kernelI19rocblas_complex_numIfELi16ELi16ELi64ELi64ELi4ELi64ELi4ELi4ELi64ELc78ELc84EKS2_S3_S2_EEvlllT_PT11_llS6_llS4_PT12_llPT13_lli.num_agpr, 0
	.set _ZN12_GLOBAL__N_127rocblas_gemm_batched_kernelI19rocblas_complex_numIfELi16ELi16ELi64ELi64ELi4ELi64ELi4ELi4ELi64ELc78ELc84EKS2_S3_S2_EEvlllT_PT11_llS6_llS4_PT12_llPT13_lli.numbered_sgpr, 32
	.set _ZN12_GLOBAL__N_127rocblas_gemm_batched_kernelI19rocblas_complex_numIfELi16ELi16ELi64ELi64ELi4ELi64ELi4ELi4ELi64ELc78ELc84EKS2_S3_S2_EEvlllT_PT11_llS6_llS4_PT12_llPT13_lli.num_named_barrier, 0
	.set _ZN12_GLOBAL__N_127rocblas_gemm_batched_kernelI19rocblas_complex_numIfELi16ELi16ELi64ELi64ELi4ELi64ELi4ELi4ELi64ELc78ELc84EKS2_S3_S2_EEvlllT_PT11_llS6_llS4_PT12_llPT13_lli.private_seg_size, 0
	.set _ZN12_GLOBAL__N_127rocblas_gemm_batched_kernelI19rocblas_complex_numIfELi16ELi16ELi64ELi64ELi4ELi64ELi4ELi4ELi64ELc78ELc84EKS2_S3_S2_EEvlllT_PT11_llS6_llS4_PT12_llPT13_lli.uses_vcc, 1
	.set _ZN12_GLOBAL__N_127rocblas_gemm_batched_kernelI19rocblas_complex_numIfELi16ELi16ELi64ELi64ELi4ELi64ELi4ELi4ELi64ELc78ELc84EKS2_S3_S2_EEvlllT_PT11_llS6_llS4_PT12_llPT13_lli.uses_flat_scratch, 0
	.set _ZN12_GLOBAL__N_127rocblas_gemm_batched_kernelI19rocblas_complex_numIfELi16ELi16ELi64ELi64ELi4ELi64ELi4ELi4ELi64ELc78ELc84EKS2_S3_S2_EEvlllT_PT11_llS6_llS4_PT12_llPT13_lli.has_dyn_sized_stack, 0
	.set _ZN12_GLOBAL__N_127rocblas_gemm_batched_kernelI19rocblas_complex_numIfELi16ELi16ELi64ELi64ELi4ELi64ELi4ELi4ELi64ELc78ELc84EKS2_S3_S2_EEvlllT_PT11_llS6_llS4_PT12_llPT13_lli.has_recursion, 0
	.set _ZN12_GLOBAL__N_127rocblas_gemm_batched_kernelI19rocblas_complex_numIfELi16ELi16ELi64ELi64ELi4ELi64ELi4ELi4ELi64ELc78ELc84EKS2_S3_S2_EEvlllT_PT11_llS6_llS4_PT12_llPT13_lli.has_indirect_call, 0
	.section	.AMDGPU.csdata,"",@progbits
; Kernel info:
; codeLenInByte = 4892
; TotalNumSgprs: 34
; NumVgprs: 188
; ScratchSize: 0
; MemoryBound: 0
; FloatMode: 240
; IeeeMode: 1
; LDSByteSize: 4096 bytes/workgroup (compile time only)
; SGPRBlocks: 0
; VGPRBlocks: 23
; NumSGPRsForWavesPerEU: 34
; NumVGPRsForWavesPerEU: 188
; Occupancy: 5
; WaveLimiterHint : 1
; COMPUTE_PGM_RSRC2:SCRATCH_EN: 0
; COMPUTE_PGM_RSRC2:USER_SGPR: 6
; COMPUTE_PGM_RSRC2:TRAP_HANDLER: 0
; COMPUTE_PGM_RSRC2:TGID_X_EN: 1
; COMPUTE_PGM_RSRC2:TGID_Y_EN: 1
; COMPUTE_PGM_RSRC2:TGID_Z_EN: 1
; COMPUTE_PGM_RSRC2:TIDIG_COMP_CNT: 1
	.section	.text._ZN12_GLOBAL__N_127rocblas_gemm_batched_kernelI19rocblas_complex_numIfELi16ELi16ELi64ELi64ELi4ELi64ELi4ELi4ELi64ELc84ELc84EKS2_S3_S2_EEvlllT_PT11_llS6_llS4_PT12_llPT13_lli,"axG",@progbits,_ZN12_GLOBAL__N_127rocblas_gemm_batched_kernelI19rocblas_complex_numIfELi16ELi16ELi64ELi64ELi4ELi64ELi4ELi4ELi64ELc84ELc84EKS2_S3_S2_EEvlllT_PT11_llS6_llS4_PT12_llPT13_lli,comdat
	.globl	_ZN12_GLOBAL__N_127rocblas_gemm_batched_kernelI19rocblas_complex_numIfELi16ELi16ELi64ELi64ELi4ELi64ELi4ELi4ELi64ELc84ELc84EKS2_S3_S2_EEvlllT_PT11_llS6_llS4_PT12_llPT13_lli ; -- Begin function _ZN12_GLOBAL__N_127rocblas_gemm_batched_kernelI19rocblas_complex_numIfELi16ELi16ELi64ELi64ELi4ELi64ELi4ELi4ELi64ELc84ELc84EKS2_S3_S2_EEvlllT_PT11_llS6_llS4_PT12_llPT13_lli
	.p2align	8
	.type	_ZN12_GLOBAL__N_127rocblas_gemm_batched_kernelI19rocblas_complex_numIfELi16ELi16ELi64ELi64ELi4ELi64ELi4ELi4ELi64ELc84ELc84EKS2_S3_S2_EEvlllT_PT11_llS6_llS4_PT12_llPT13_lli,@function
_ZN12_GLOBAL__N_127rocblas_gemm_batched_kernelI19rocblas_complex_numIfELi16ELi16ELi64ELi64ELi4ELi64ELi4ELi4ELi64ELc84ELc84EKS2_S3_S2_EEvlllT_PT11_llS6_llS4_PT12_llPT13_lli: ; @_ZN12_GLOBAL__N_127rocblas_gemm_batched_kernelI19rocblas_complex_numIfELi16ELi16ELi64ELi64ELi4ELi64ELi4ELi4ELi64ELc84ELc84EKS2_S3_S2_EEvlllT_PT11_llS6_llS4_PT12_llPT13_lli
; %bb.0:
	s_clause 0x1
	s_load_dwordx16 s[12:27], s[4:5], 0x10
	s_load_dwordx2 s[10:11], s[4:5], 0x50
	s_mov_b32 s0, s7
	v_mov_b32_e32 v40, 0
	v_mov_b32_e32 v41, 0
	;; [unrolled: 1-line block ×17, first 2 shown]
	s_waitcnt lgkmcnt(0)
	v_cmp_lt_i64_e64 s2, s[12:13], 1
	v_mov_b32_e32 v25, 0
	v_mov_b32_e32 v22, 0
	;; [unrolled: 1-line block ×15, first 2 shown]
	s_ashr_i32 s7, s6, 31
	s_ashr_i32 s1, s0, 31
	s_lshl_b64 s[28:29], s[6:7], 6
	s_and_b32 vcc_lo, exec_lo, s2
	s_lshl_b64 s[30:31], s[0:1], 6
	s_cbranch_vccnz .LBB92_3
; %bb.1:
	v_lshl_add_u32 v6, v1, 4, v0
	v_and_b32_e32 v7, 3, v0
	s_mul_i32 s1, s21, s8
	s_mul_hi_u32 s2, s20, s8
	s_mul_hi_u32 s3, s26, s8
	v_lshrrev_b32_e32 v8, 2, v6
	v_and_b32_e32 v9, 63, v6
	v_lshlrev_b32_e32 v13, 3, v7
	v_lshrrev_b32_e32 v14, 6, v6
	s_add_i32 s1, s2, s1
	v_add_co_u32 v2, s0, v8, s30
	v_add_co_ci_u32_e64 v3, null, 0, s31, s0
	v_add_co_u32 v4, s0, s28, v9
	v_add_co_ci_u32_e64 v5, null, s29, 0, s0
	v_mad_u64_u32 v[2:3], null, s24, v7, v[2:3]
	v_mul_lo_u32 v11, s19, v4
	v_mul_lo_u32 v12, s18, v5
	v_mad_u64_u32 v[4:5], null, s18, v4, 0
	s_mul_i32 s0, s20, s8
	s_mul_i32 s2, s27, s8
	s_lshl_b64 s[0:1], s[0:1], 3
	v_lshlrev_b32_e32 v9, 3, v9
	v_mov_b32_e32 v10, 0
	v_lshlrev_b32_e32 v42, 3, v0
	v_add3_u32 v5, v5, v12, v11
	v_mad_u64_u32 v[6:7], null, s25, v7, v[3:4]
	v_lshl_or_b32 v3, v8, 5, v13
	v_lshl_add_u32 v43, v1, 5, 0x800
	v_lshlrev_b64 v[4:5], 3, v[4:5]
	v_lshl_or_b32 v44, v14, 9, v9
	v_mov_b32_e32 v11, 0
	v_add_nc_u32_e32 v45, 0x800, v3
	v_mov_b32_e32 v3, v6
	v_lshlrev_b32_e32 v6, 3, v14
	v_add_co_u32 v4, vcc_lo, v4, s0
	v_add_co_ci_u32_e64 v5, null, s1, v5, vcc_lo
	s_add_i32 s1, s3, s2
	v_add_co_u32 v6, vcc_lo, v4, v6
	s_mul_i32 s0, s26, s8
	v_add_co_ci_u32_e64 v7, null, 0, v5, vcc_lo
	v_lshlrev_b64 v[4:5], 3, v[2:3]
	s_lshl_b64 s[0:1], s[0:1], 3
	v_add_co_u32 v2, vcc_lo, s16, v6
	s_add_u32 s0, s22, s0
	v_add_co_ci_u32_e64 v3, null, s17, v7, vcc_lo
	s_addc_u32 s1, s23, s1
	v_add_co_u32 v4, vcc_lo, s0, v4
	v_add_co_ci_u32_e64 v5, null, s1, v5, vcc_lo
	v_mov_b32_e32 v13, 0
	v_mov_b32_e32 v12, 0
	;; [unrolled: 1-line block ×30, first 2 shown]
	s_lshl_b64 s[0:1], s[24:25], 5
	s_mov_b64 s[2:3], 0
.LBB92_2:                               ; =>This Inner Loop Header: Depth=1
	global_load_dwordx2 v[6:7], v[2:3], off
	global_load_dwordx2 v[8:9], v[4:5], off
	s_add_u32 s2, s2, 4
	s_addc_u32 s3, s3, 0
	v_add_co_u32 v2, vcc_lo, v2, 32
	v_cmp_lt_i64_e64 s6, s[2:3], s[12:13]
	v_add_co_ci_u32_e64 v3, null, 0, v3, vcc_lo
	v_add_co_u32 v4, vcc_lo, v4, s0
	v_add_co_ci_u32_e64 v5, null, s1, v5, vcc_lo
	s_and_b32 vcc_lo, exec_lo, s6
	s_waitcnt vmcnt(1)
	ds_write_b64 v44, v[6:7]
	s_waitcnt vmcnt(0)
	ds_write_b64 v45, v[8:9]
	s_waitcnt lgkmcnt(0)
	s_barrier
	buffer_gl0_inv
	ds_read_b128 v[6:9], v43
	ds_read2_b64 v[46:49], v42 offset1:16
	ds_read_b128 v[50:53], v43 offset:512
	ds_read_b128 v[54:57], v43 offset:16
	ds_read_b128 v[58:61], v43 offset:528
	ds_read_b128 v[62:65], v43 offset:1024
	ds_read_b128 v[66:69], v43 offset:1040
	ds_read_b128 v[70:73], v43 offset:1536
	ds_read_b128 v[74:77], v43 offset:1552
	ds_read2_b64 v[78:81], v42 offset0:32 offset1:48
	ds_read2_b64 v[82:85], v42 offset0:64 offset1:80
	;; [unrolled: 1-line block ×7, first 2 shown]
	s_waitcnt lgkmcnt(0)
	s_barrier
	buffer_gl0_inv
	v_mul_f32_e32 v106, v7, v47
	v_mul_f32_e32 v107, v6, v47
	;; [unrolled: 1-line block ×64, first 2 shown]
	v_fma_f32 v106, v6, v46, -v106
	v_fmac_f32_e32 v107, v7, v46
	v_fma_f32 v108, v6, v48, -v108
	v_fmac_f32_e32 v109, v7, v48
	;; [unrolled: 2-line block ×16, first 2 shown]
	v_mul_f32_e32 v162, v55, v91
	v_mul_f32_e32 v163, v54, v91
	;; [unrolled: 1-line block ×28, first 2 shown]
	v_fma_f32 v124, v8, v82, -v134
	v_fmac_f32_e32 v135, v9, v82
	v_fma_f32 v126, v8, v84, -v136
	v_fmac_f32_e32 v137, v9, v84
	v_fma_f32 v128, v8, v86, -v138
	v_fmac_f32_e32 v139, v9, v86
	v_fma_f32 v8, v8, v88, -v140
	v_fmac_f32_e32 v141, v9, v88
	v_mul_f32_e32 v9, v75, v95
	v_mul_f32_e32 v95, v74, v95
	;; [unrolled: 1-line block ×4, first 2 shown]
	v_fma_f32 v132, v52, v82, -v142
	v_fmac_f32_e32 v143, v53, v82
	v_fma_f32 v133, v52, v84, -v144
	v_fmac_f32_e32 v145, v53, v84
	;; [unrolled: 2-line block ×4, first 2 shown]
	v_mul_f32_e32 v136, v56, v99
	v_mul_f32_e32 v140, v56, v101
	v_fma_f32 v142, v64, v82, -v150
	v_fmac_f32_e32 v151, v65, v82
	v_fma_f32 v144, v64, v84, -v152
	v_fmac_f32_e32 v153, v65, v84
	v_fma_f32 v146, v64, v86, -v154
	v_fmac_f32_e32 v155, v65, v86
	v_fma_f32 v64, v64, v88, -v156
	v_fmac_f32_e32 v157, v65, v88
	v_mul_f32_e32 v148, v56, v103
	v_mul_f32_e32 v152, v56, v105
	v_fma_f32 v154, v72, v82, -v158
	v_fmac_f32_e32 v83, v73, v82
	v_fma_f32 v82, v72, v84, -v159
	v_fmac_f32_e32 v85, v73, v84
	;; [unrolled: 2-line block ×4, first 2 shown]
	v_add_f32_e32 v40, v40, v106
	v_add_f32_e32 v41, v41, v107
	;; [unrolled: 1-line block ×32, first 2 shown]
	v_mul_f32_e32 v53, v57, v99
	v_mul_f32_e32 v138, v57, v101
	;; [unrolled: 1-line block ×16, first 2 shown]
	v_fma_f32 v162, v54, v90, -v162
	v_fmac_f32_e32 v163, v55, v90
	v_fma_f32 v164, v54, v92, -v164
	v_fmac_f32_e32 v165, v55, v92
	;; [unrolled: 2-line block ×8, first 2 shown]
	v_mul_f32_e32 v92, v69, v103
	v_mul_f32_e32 v175, v68, v103
	v_mul_f32_e32 v186, v69, v105
	v_mul_f32_e32 v187, v68, v105
	v_fma_f32 v176, v54, v94, -v176
	v_fmac_f32_e32 v177, v55, v94
	v_fma_f32 v54, v54, v96, -v178
	v_fmac_f32_e32 v179, v55, v96
	;; [unrolled: 2-line block ×8, first 2 shown]
	v_mul_f32_e32 v67, v77, v99
	v_mul_f32_e32 v71, v76, v99
	;; [unrolled: 1-line block ×4, first 2 shown]
	v_fmac_f32_e32 v136, v57, v98
	v_fmac_f32_e32 v140, v57, v100
	;; [unrolled: 1-line block ×4, first 2 shown]
	v_mul_f32_e32 v57, v77, v103
	v_mul_f32_e32 v94, v76, v103
	;; [unrolled: 1-line block ×4, first 2 shown]
	v_add_f32_e32 v29, v40, v124
	v_add_f32_e32 v35, v41, v135
	;; [unrolled: 1-line block ×32, first 2 shown]
	v_fma_f32 v53, v56, v98, -v53
	v_fma_f32 v80, v56, v100, -v138
	;; [unrolled: 1-line block ×5, first 2 shown]
	v_fmac_f32_e32 v156, v61, v98
	v_fma_f32 v101, v60, v100, -v158
	v_fmac_f32_e32 v159, v61, v100
	v_fma_f32 v73, v60, v102, -v73
	;; [unrolled: 2-line block ×11, first 2 shown]
	v_fmac_f32_e32 v99, v77, v104
	v_add_f32_e32 v29, v29, v162
	v_add_f32_e32 v34, v35, v163
	;; [unrolled: 1-line block ×64, first 2 shown]
	s_cbranch_vccnz .LBB92_2
.LBB92_3:
	s_clause 0x1
	s_load_dwordx4 s[16:19], s[4:5], 0x78
	s_load_dwordx8 s[0:7], s[4:5], 0x58
	s_waitcnt lgkmcnt(0)
	s_mul_i32 s9, s19, s8
	s_mul_hi_u32 s13, s18, s8
	s_mul_i32 s12, s18, s8
	s_add_i32 s13, s13, s9
	s_lshl_b64 s[12:13], s[12:13], 3
	s_add_u32 s9, s6, s12
	s_addc_u32 s12, s7, s13
	v_add_co_u32 v4, s7, s30, v1
	v_add_co_ci_u32_e64 v5, null, s31, 0, s7
	v_add_co_u32 v0, s7, s28, v0
	s_or_b32 s6, s10, s11
	v_add_co_ci_u32_e64 v1, null, s29, 0, s7
	s_bitset0_b32 s6, 31
	s_mov_b32 s13, 0
	s_cmp_lg_u32 s6, 0
	s_cbranch_scc1 .LBB92_5
; %bb.4:
	v_mul_lo_u32 v6, v5, s16
	v_mul_lo_u32 v8, v4, s17
	v_mad_u64_u32 v[2:3], null, v4, s16, 0
	v_mul_f32_e32 v42, s15, v41
	v_mul_f32_e32 v7, s14, v41
	;; [unrolled: 1-line block ×6, first 2 shown]
	v_add3_u32 v3, v3, v8, v6
	v_lshlrev_b64 v[8:9], 3, v[0:1]
	v_mul_f32_e32 v48, s15, v35
	v_mul_f32_e32 v47, s14, v35
	v_fma_f32 v6, v40, s14, -v42
	v_lshlrev_b64 v[2:3], 3, v[2:3]
	v_fmac_f32_e32 v7, s15, v40
	v_fma_f32 v42, v38, s14, -v44
	v_fmac_f32_e32 v43, s15, v38
	s_lshl_b64 s[6:7], s[16:17], 7
	v_fma_f32 v44, v36, s14, -v46
	v_add_co_u32 v49, vcc_lo, s9, v2
	v_add_co_ci_u32_e64 v50, null, s12, v3, vcc_lo
	v_fmac_f32_e32 v45, s15, v36
	v_add_co_u32 v2, vcc_lo, v49, v8
	v_add_co_ci_u32_e64 v3, null, v50, v9, vcc_lo
	v_fma_f32 v46, v34, s14, -v48
	v_fmac_f32_e32 v47, s15, v34
	v_add_co_u32 v48, vcc_lo, v49, s6
	global_store_dwordx2 v[2:3], v[6:7], off
	global_store_dwordx2 v[2:3], v[42:43], off offset:128
	global_store_dwordx2 v[2:3], v[44:45], off offset:256
	;; [unrolled: 1-line block ×3, first 2 shown]
	v_mul_f32_e32 v2, s15, v33
	v_mul_f32_e32 v3, s14, v33
	v_add_co_ci_u32_e64 v49, null, s7, v50, vcc_lo
	v_mul_f32_e32 v6, s15, v31
	v_mul_f32_e32 v7, s14, v31
	;; [unrolled: 1-line block ×4, first 2 shown]
	v_add_co_u32 v44, vcc_lo, v48, v8
	v_fma_f32 v2, v32, s14, -v2
	v_fmac_f32_e32 v3, s15, v32
	v_add_co_ci_u32_e64 v45, null, v49, v9, vcc_lo
	v_fma_f32 v6, v30, s14, -v6
	v_fmac_f32_e32 v7, s15, v30
	v_fma_f32 v42, v28, s14, -v42
	v_fmac_f32_e32 v43, s15, v28
	v_add_co_u32 v52, vcc_lo, v48, s6
	v_mul_f32_e32 v46, s15, v27
	v_mul_f32_e32 v47, s14, v27
	global_store_dwordx2 v[44:45], v[2:3], off
	global_store_dwordx2 v[44:45], v[6:7], off offset:128
	global_store_dwordx2 v[44:45], v[42:43], off offset:256
	v_mul_f32_e32 v2, s15, v25
	v_mul_f32_e32 v3, s14, v25
	v_add_co_ci_u32_e64 v53, null, s7, v49, vcc_lo
	v_mul_f32_e32 v42, s15, v23
	v_mul_f32_e32 v43, s14, v23
	;; [unrolled: 1-line block ×4, first 2 shown]
	v_add_co_u32 v6, vcc_lo, v52, v8
	v_mul_f32_e32 v50, s15, v19
	v_mul_f32_e32 v51, s14, v19
	v_fma_f32 v46, v26, s14, -v46
	v_fmac_f32_e32 v47, s15, v26
	v_fma_f32 v2, v24, s14, -v2
	v_fmac_f32_e32 v3, s15, v24
	v_add_co_ci_u32_e64 v7, null, v53, v9, vcc_lo
	v_fma_f32 v42, v22, s14, -v42
	v_fmac_f32_e32 v43, s15, v22
	v_fma_f32 v48, v20, s14, -v48
	v_fmac_f32_e32 v49, s15, v20
	;; [unrolled: 2-line block ×3, first 2 shown]
	global_store_dwordx2 v[44:45], v[46:47], off offset:384
	global_store_dwordx2 v[6:7], v[2:3], off
	global_store_dwordx2 v[6:7], v[42:43], off offset:128
	global_store_dwordx2 v[6:7], v[48:49], off offset:256
	;; [unrolled: 1-line block ×3, first 2 shown]
	v_mul_f32_e32 v2, s15, v17
	v_add_co_u32 v3, vcc_lo, v52, s6
	v_add_co_ci_u32_e64 v6, null, s7, v53, vcc_lo
	v_fma_f32 v42, v16, s14, -v2
	v_mul_f32_e32 v2, s15, v15
	v_add_co_u32 v7, vcc_lo, v3, v8
	v_mul_f32_e32 v43, s14, v17
	v_add_co_ci_u32_e64 v8, null, v6, v9, vcc_lo
	v_fma_f32 v44, v14, s14, -v2
	v_mul_f32_e32 v2, s15, v13
	v_mul_f32_e32 v3, s15, v10
	;; [unrolled: 1-line block ×5, first 2 shown]
	v_fma_f32 v46, v12, s14, -v2
	v_add_co_u32 v2, vcc_lo, 0x180, v7
	v_fmac_f32_e32 v43, s15, v16
	v_fma_f32 v9, v11, s14, -v3
	v_fmac_f32_e32 v6, s15, v11
	v_add_co_ci_u32_e64 v3, null, 0, v8, vcc_lo
	v_fmac_f32_e32 v45, s15, v14
	v_fmac_f32_e32 v47, s15, v12
	global_store_dwordx2 v[7:8], v[42:43], off
	global_store_dwordx2 v[7:8], v[44:45], off offset:128
	global_store_dwordx2 v[7:8], v[46:47], off offset:256
	global_store_dword v[7:8], v9, off offset:384
	s_andn2_b32 vcc_lo, exec_lo, s13
	s_cbranch_vccz .LBB92_6
	s_branch .LBB92_7
.LBB92_5:
                                        ; implicit-def: $vgpr6
                                        ; implicit-def: $vgpr2_vgpr3
.LBB92_6:
	v_mul_lo_u32 v6, v5, s2
	v_mul_lo_u32 v7, v4, s3
	v_mad_u64_u32 v[2:3], null, v4, s2, 0
	s_mul_i32 s5, s5, s8
	s_mul_hi_u32 s6, s4, s8
	s_mul_i32 s4, s4, s8
	s_add_i32 s5, s6, s5
	v_lshlrev_b64 v[0:1], 3, v[0:1]
	s_lshl_b64 s[4:5], s[4:5], 3
	v_add3_u32 v3, v3, v7, v6
	s_add_u32 s0, s0, s4
	s_addc_u32 s1, s1, s5
	v_mul_lo_u32 v42, v5, s16
	v_mul_lo_u32 v43, v4, s17
	v_lshlrev_b64 v[2:3], 3, v[2:3]
	v_mad_u64_u32 v[4:5], null, v4, s16, 0
	v_add_co_u32 v8, vcc_lo, s0, v2
	v_add_co_ci_u32_e64 v9, null, s1, v3, vcc_lo
	v_add3_u32 v5, v5, v43, v42
	v_add_co_u32 v2, vcc_lo, v8, v0
	v_add_co_ci_u32_e64 v3, null, v9, v1, vcc_lo
	v_mul_f32_e32 v42, s15, v41
	v_mul_f32_e32 v41, s14, v41
	v_lshlrev_b64 v[4:5], 3, v[4:5]
	global_load_dwordx2 v[6:7], v[2:3], off
	s_lshl_b64 s[0:1], s[2:3], 7
	v_fma_f32 v42, v40, s14, -v42
	v_fmac_f32_e32 v41, s15, v40
	s_lshl_b64 s[2:3], s[16:17], 7
	v_add_co_u32 v43, vcc_lo, s9, v4
	v_add_co_ci_u32_e64 v44, null, s12, v5, vcc_lo
	v_add_co_u32 v4, vcc_lo, v43, v0
	v_add_co_ci_u32_e64 v5, null, v44, v1, vcc_lo
	;; [unrolled: 2-line block ×3, first 2 shown]
	s_waitcnt vmcnt(0)
	v_mul_f32_e32 v40, s11, v7
	v_mul_f32_e32 v7, s10, v7
	v_fma_f32 v40, v6, s10, -v40
	v_fmac_f32_e32 v7, s11, v6
	v_add_f32_e32 v6, v42, v40
	v_add_f32_e32 v7, v41, v7
	v_mul_f32_e32 v40, s15, v39
	v_mul_f32_e32 v39, s14, v39
	global_store_dwordx2 v[4:5], v[6:7], off
	global_load_dwordx2 v[6:7], v[2:3], off offset:128
	v_fma_f32 v40, v38, s14, -v40
	v_fmac_f32_e32 v39, s15, v38
	s_waitcnt vmcnt(0)
	v_mul_f32_e32 v41, s11, v7
	v_mul_f32_e32 v7, s10, v7
	v_fma_f32 v38, v6, s10, -v41
	v_fmac_f32_e32 v7, s11, v6
	v_add_f32_e32 v6, v40, v38
	v_add_f32_e32 v7, v39, v7
	v_mul_f32_e32 v38, s15, v37
	v_mul_f32_e32 v37, s14, v37
	global_store_dwordx2 v[4:5], v[6:7], off offset:128
	global_load_dwordx2 v[6:7], v[2:3], off offset:256
	v_fma_f32 v38, v36, s14, -v38
	v_fmac_f32_e32 v37, s15, v36
	s_waitcnt vmcnt(0)
	v_mul_f32_e32 v39, s11, v7
	v_mul_f32_e32 v7, s10, v7
	v_fma_f32 v36, v6, s10, -v39
	v_fmac_f32_e32 v7, s11, v6
	v_add_f32_e32 v6, v38, v36
	v_add_f32_e32 v7, v37, v7
	global_store_dwordx2 v[4:5], v[6:7], off offset:256
	global_load_dwordx2 v[2:3], v[2:3], off offset:384
	v_mul_f32_e32 v6, s15, v35
	v_mul_f32_e32 v7, s14, v35
	v_fma_f32 v6, v34, s14, -v6
	v_fmac_f32_e32 v7, s15, v34
	s_waitcnt vmcnt(0)
	v_mul_f32_e32 v35, s11, v3
	v_mul_f32_e32 v3, s10, v3
	v_fma_f32 v34, v2, s10, -v35
	v_fmac_f32_e32 v3, s11, v2
	v_add_f32_e32 v2, v6, v34
	v_add_co_u32 v6, vcc_lo, v8, v0
	v_add_f32_e32 v3, v7, v3
	v_add_co_ci_u32_e64 v7, null, v9, v1, vcc_lo
	v_add_co_u32 v34, vcc_lo, v43, s2
	global_store_dwordx2 v[4:5], v[2:3], off offset:384
	global_load_dwordx2 v[2:3], v[6:7], off
	v_mul_f32_e32 v4, s15, v33
	v_mul_f32_e32 v5, s14, v33
	v_add_co_ci_u32_e64 v35, null, s3, v44, vcc_lo
	v_fma_f32 v4, v32, s14, -v4
	v_fmac_f32_e32 v5, s15, v32
	s_waitcnt vmcnt(0)
	v_mul_f32_e32 v32, s11, v3
	v_mul_f32_e32 v33, s10, v3
	v_fma_f32 v32, v2, s10, -v32
	v_fmac_f32_e32 v33, s11, v2
	v_add_co_u32 v2, vcc_lo, v34, v0
	v_add_co_ci_u32_e64 v3, null, v35, v1, vcc_lo
	v_add_f32_e32 v4, v4, v32
	v_add_f32_e32 v5, v5, v33
	v_mul_f32_e32 v32, s15, v31
	v_mul_f32_e32 v31, s14, v31
	v_add_co_u32 v8, vcc_lo, v8, s0
	global_store_dwordx2 v[2:3], v[4:5], off
	global_load_dwordx2 v[4:5], v[6:7], off offset:128
	v_fma_f32 v32, v30, s14, -v32
	v_fmac_f32_e32 v31, s15, v30
	v_add_co_ci_u32_e64 v9, null, s1, v9, vcc_lo
	s_waitcnt vmcnt(0)
	v_mul_f32_e32 v33, s11, v5
	v_mul_f32_e32 v5, s10, v5
	v_fma_f32 v30, v4, s10, -v33
	v_fmac_f32_e32 v5, s11, v4
	v_add_f32_e32 v4, v32, v30
	v_add_f32_e32 v5, v31, v5
	v_mul_f32_e32 v30, s15, v29
	v_mul_f32_e32 v29, s14, v29
	global_store_dwordx2 v[2:3], v[4:5], off offset:128
	global_load_dwordx2 v[4:5], v[6:7], off offset:256
	v_fma_f32 v30, v28, s14, -v30
	v_fmac_f32_e32 v29, s15, v28
	s_waitcnt vmcnt(0)
	v_mul_f32_e32 v31, s11, v5
	v_mul_f32_e32 v5, s10, v5
	v_fma_f32 v28, v4, s10, -v31
	v_fmac_f32_e32 v5, s11, v4
	v_add_f32_e32 v4, v30, v28
	v_add_f32_e32 v5, v29, v5
	global_store_dwordx2 v[2:3], v[4:5], off offset:256
	global_load_dwordx2 v[4:5], v[6:7], off offset:384
	v_mul_f32_e32 v6, s15, v27
	v_mul_f32_e32 v7, s14, v27
	v_fma_f32 v6, v26, s14, -v6
	v_fmac_f32_e32 v7, s15, v26
	s_waitcnt vmcnt(0)
	v_mul_f32_e32 v27, s11, v5
	v_mul_f32_e32 v5, s10, v5
	v_fma_f32 v26, v4, s10, -v27
	v_fmac_f32_e32 v5, s11, v4
	v_add_f32_e32 v4, v6, v26
	v_add_co_u32 v6, vcc_lo, v8, v0
	v_add_f32_e32 v5, v7, v5
	v_add_co_ci_u32_e64 v7, null, v9, v1, vcc_lo
	v_add_co_u32 v26, vcc_lo, v34, s2
	global_store_dwordx2 v[2:3], v[4:5], off offset:384
	global_load_dwordx2 v[2:3], v[6:7], off
	v_mul_f32_e32 v4, s15, v25
	v_mul_f32_e32 v5, s14, v25
	v_add_co_ci_u32_e64 v27, null, s3, v35, vcc_lo
	v_fma_f32 v4, v24, s14, -v4
	v_fmac_f32_e32 v5, s15, v24
	s_waitcnt vmcnt(0)
	v_mul_f32_e32 v24, s11, v3
	v_mul_f32_e32 v25, s10, v3
	v_fma_f32 v24, v2, s10, -v24
	v_fmac_f32_e32 v25, s11, v2
	v_add_co_u32 v2, vcc_lo, v26, v0
	v_add_co_ci_u32_e64 v3, null, v27, v1, vcc_lo
	v_add_f32_e32 v4, v4, v24
	v_add_f32_e32 v5, v5, v25
	v_mul_f32_e32 v24, s15, v23
	v_mul_f32_e32 v23, s14, v23
	v_add_co_u32 v8, vcc_lo, v8, s0
	global_store_dwordx2 v[2:3], v[4:5], off
	global_load_dwordx2 v[4:5], v[6:7], off offset:128
	v_fma_f32 v24, v22, s14, -v24
	v_fmac_f32_e32 v23, s15, v22
	v_add_co_ci_u32_e64 v9, null, s1, v9, vcc_lo
	s_waitcnt vmcnt(0)
	v_mul_f32_e32 v25, s11, v5
	v_mul_f32_e32 v5, s10, v5
	v_fma_f32 v22, v4, s10, -v25
	v_fmac_f32_e32 v5, s11, v4
	v_add_f32_e32 v4, v24, v22
	v_add_f32_e32 v5, v23, v5
	v_mul_f32_e32 v22, s15, v21
	v_mul_f32_e32 v21, s14, v21
	global_store_dwordx2 v[2:3], v[4:5], off offset:128
	global_load_dwordx2 v[4:5], v[6:7], off offset:256
	v_fma_f32 v22, v20, s14, -v22
	v_fmac_f32_e32 v21, s15, v20
	s_waitcnt vmcnt(0)
	v_mul_f32_e32 v23, s11, v5
	v_mul_f32_e32 v5, s10, v5
	v_fma_f32 v20, v4, s10, -v23
	v_fmac_f32_e32 v5, s11, v4
	v_add_f32_e32 v4, v22, v20
	v_add_f32_e32 v5, v21, v5
	global_store_dwordx2 v[2:3], v[4:5], off offset:256
	global_load_dwordx2 v[4:5], v[6:7], off offset:384
	v_mul_f32_e32 v6, s15, v19
	v_mul_f32_e32 v7, s14, v19
	v_fma_f32 v6, v18, s14, -v6
	v_fmac_f32_e32 v7, s15, v18
	s_waitcnt vmcnt(0)
	v_mul_f32_e32 v19, s11, v5
	v_mul_f32_e32 v5, s10, v5
	v_fma_f32 v18, v4, s10, -v19
	v_fmac_f32_e32 v5, s11, v4
	v_add_f32_e32 v4, v6, v18
	v_add_co_u32 v6, vcc_lo, v8, v0
	v_add_f32_e32 v5, v7, v5
	v_add_co_ci_u32_e64 v7, null, v9, v1, vcc_lo
	v_add_co_u32 v9, vcc_lo, v26, s2
	global_store_dwordx2 v[2:3], v[4:5], off offset:384
	global_load_dwordx2 v[2:3], v[6:7], off
	v_mul_f32_e32 v4, s15, v17
	v_mul_f32_e32 v5, s14, v17
	v_fma_f32 v4, v16, s14, -v4
	v_fmac_f32_e32 v5, s15, v16
	v_add_co_ci_u32_e64 v16, null, s3, v27, vcc_lo
	v_add_co_u32 v0, vcc_lo, v9, v0
	v_add_co_ci_u32_e64 v1, null, v16, v1, vcc_lo
	s_waitcnt vmcnt(0)
	v_mul_f32_e32 v8, s11, v3
	v_mul_f32_e32 v3, s10, v3
	v_fma_f32 v8, v2, s10, -v8
	v_fmac_f32_e32 v3, s11, v2
	v_add_f32_e32 v2, v4, v8
	v_add_f32_e32 v3, v5, v3
	v_mul_f32_e32 v4, s15, v15
	v_mul_f32_e32 v5, s14, v15
	global_store_dwordx2 v[0:1], v[2:3], off
	global_load_dwordx2 v[2:3], v[6:7], off offset:128
	v_fma_f32 v4, v14, s14, -v4
	v_fmac_f32_e32 v5, s15, v14
	s_waitcnt vmcnt(0)
	v_mul_f32_e32 v8, s11, v3
	v_mul_f32_e32 v3, s10, v3
	v_fma_f32 v8, v2, s10, -v8
	v_fmac_f32_e32 v3, s11, v2
	v_add_f32_e32 v2, v4, v8
	v_add_f32_e32 v3, v5, v3
	v_mul_f32_e32 v4, s15, v13
	v_mul_f32_e32 v5, s14, v13
	global_store_dwordx2 v[0:1], v[2:3], off offset:128
	global_load_dwordx2 v[2:3], v[6:7], off offset:256
	v_fma_f32 v4, v12, s14, -v4
	v_fmac_f32_e32 v5, s15, v12
	s_waitcnt vmcnt(0)
	v_mul_f32_e32 v8, s11, v3
	v_mul_f32_e32 v3, s10, v3
	v_fma_f32 v8, v2, s10, -v8
	v_fmac_f32_e32 v3, s11, v2
	v_add_f32_e32 v2, v4, v8
	v_add_f32_e32 v3, v5, v3
	v_mul_f32_e32 v4, s15, v10
	v_mul_f32_e32 v5, s14, v10
	global_store_dwordx2 v[0:1], v[2:3], off offset:256
	global_load_dwordx2 v[2:3], v[6:7], off offset:384
	v_fma_f32 v4, v11, s14, -v4
	v_fmac_f32_e32 v5, s15, v11
	s_waitcnt vmcnt(0)
	v_mul_f32_e32 v6, s11, v3
	v_mul_f32_e32 v3, s10, v3
	v_fma_f32 v6, v2, s10, -v6
	v_fmac_f32_e32 v3, s11, v2
	v_add_co_u32 v2, vcc_lo, 0x180, v0
	v_add_f32_e32 v4, v4, v6
	v_add_f32_e32 v6, v5, v3
	v_add_co_ci_u32_e64 v3, null, 0, v1, vcc_lo
	global_store_dword v[0:1], v4, off offset:384
.LBB92_7:
	global_store_dword v[2:3], v6, off offset:4
	s_endpgm
	.section	.rodata,"a",@progbits
	.p2align	6, 0x0
	.amdhsa_kernel _ZN12_GLOBAL__N_127rocblas_gemm_batched_kernelI19rocblas_complex_numIfELi16ELi16ELi64ELi64ELi4ELi64ELi4ELi4ELi64ELc84ELc84EKS2_S3_S2_EEvlllT_PT11_llS6_llS4_PT12_llPT13_lli
		.amdhsa_group_segment_fixed_size 4096
		.amdhsa_private_segment_fixed_size 0
		.amdhsa_kernarg_size 140
		.amdhsa_user_sgpr_count 6
		.amdhsa_user_sgpr_private_segment_buffer 1
		.amdhsa_user_sgpr_dispatch_ptr 0
		.amdhsa_user_sgpr_queue_ptr 0
		.amdhsa_user_sgpr_kernarg_segment_ptr 1
		.amdhsa_user_sgpr_dispatch_id 0
		.amdhsa_user_sgpr_flat_scratch_init 0
		.amdhsa_user_sgpr_private_segment_size 0
		.amdhsa_wavefront_size32 1
		.amdhsa_uses_dynamic_stack 0
		.amdhsa_system_sgpr_private_segment_wavefront_offset 0
		.amdhsa_system_sgpr_workgroup_id_x 1
		.amdhsa_system_sgpr_workgroup_id_y 1
		.amdhsa_system_sgpr_workgroup_id_z 1
		.amdhsa_system_sgpr_workgroup_info 0
		.amdhsa_system_vgpr_workitem_id 1
		.amdhsa_next_free_vgpr 188
		.amdhsa_next_free_sgpr 32
		.amdhsa_reserve_vcc 1
		.amdhsa_reserve_flat_scratch 0
		.amdhsa_float_round_mode_32 0
		.amdhsa_float_round_mode_16_64 0
		.amdhsa_float_denorm_mode_32 3
		.amdhsa_float_denorm_mode_16_64 3
		.amdhsa_dx10_clamp 1
		.amdhsa_ieee_mode 1
		.amdhsa_fp16_overflow 0
		.amdhsa_workgroup_processor_mode 1
		.amdhsa_memory_ordered 1
		.amdhsa_forward_progress 1
		.amdhsa_shared_vgpr_count 0
		.amdhsa_exception_fp_ieee_invalid_op 0
		.amdhsa_exception_fp_denorm_src 0
		.amdhsa_exception_fp_ieee_div_zero 0
		.amdhsa_exception_fp_ieee_overflow 0
		.amdhsa_exception_fp_ieee_underflow 0
		.amdhsa_exception_fp_ieee_inexact 0
		.amdhsa_exception_int_div_zero 0
	.end_amdhsa_kernel
	.section	.text._ZN12_GLOBAL__N_127rocblas_gemm_batched_kernelI19rocblas_complex_numIfELi16ELi16ELi64ELi64ELi4ELi64ELi4ELi4ELi64ELc84ELc84EKS2_S3_S2_EEvlllT_PT11_llS6_llS4_PT12_llPT13_lli,"axG",@progbits,_ZN12_GLOBAL__N_127rocblas_gemm_batched_kernelI19rocblas_complex_numIfELi16ELi16ELi64ELi64ELi4ELi64ELi4ELi4ELi64ELc84ELc84EKS2_S3_S2_EEvlllT_PT11_llS6_llS4_PT12_llPT13_lli,comdat
.Lfunc_end92:
	.size	_ZN12_GLOBAL__N_127rocblas_gemm_batched_kernelI19rocblas_complex_numIfELi16ELi16ELi64ELi64ELi4ELi64ELi4ELi4ELi64ELc84ELc84EKS2_S3_S2_EEvlllT_PT11_llS6_llS4_PT12_llPT13_lli, .Lfunc_end92-_ZN12_GLOBAL__N_127rocblas_gemm_batched_kernelI19rocblas_complex_numIfELi16ELi16ELi64ELi64ELi4ELi64ELi4ELi4ELi64ELc84ELc84EKS2_S3_S2_EEvlllT_PT11_llS6_llS4_PT12_llPT13_lli
                                        ; -- End function
	.set _ZN12_GLOBAL__N_127rocblas_gemm_batched_kernelI19rocblas_complex_numIfELi16ELi16ELi64ELi64ELi4ELi64ELi4ELi4ELi64ELc84ELc84EKS2_S3_S2_EEvlllT_PT11_llS6_llS4_PT12_llPT13_lli.num_vgpr, 188
	.set _ZN12_GLOBAL__N_127rocblas_gemm_batched_kernelI19rocblas_complex_numIfELi16ELi16ELi64ELi64ELi4ELi64ELi4ELi4ELi64ELc84ELc84EKS2_S3_S2_EEvlllT_PT11_llS6_llS4_PT12_llPT13_lli.num_agpr, 0
	.set _ZN12_GLOBAL__N_127rocblas_gemm_batched_kernelI19rocblas_complex_numIfELi16ELi16ELi64ELi64ELi4ELi64ELi4ELi4ELi64ELc84ELc84EKS2_S3_S2_EEvlllT_PT11_llS6_llS4_PT12_llPT13_lli.numbered_sgpr, 32
	.set _ZN12_GLOBAL__N_127rocblas_gemm_batched_kernelI19rocblas_complex_numIfELi16ELi16ELi64ELi64ELi4ELi64ELi4ELi4ELi64ELc84ELc84EKS2_S3_S2_EEvlllT_PT11_llS6_llS4_PT12_llPT13_lli.num_named_barrier, 0
	.set _ZN12_GLOBAL__N_127rocblas_gemm_batched_kernelI19rocblas_complex_numIfELi16ELi16ELi64ELi64ELi4ELi64ELi4ELi4ELi64ELc84ELc84EKS2_S3_S2_EEvlllT_PT11_llS6_llS4_PT12_llPT13_lli.private_seg_size, 0
	.set _ZN12_GLOBAL__N_127rocblas_gemm_batched_kernelI19rocblas_complex_numIfELi16ELi16ELi64ELi64ELi4ELi64ELi4ELi4ELi64ELc84ELc84EKS2_S3_S2_EEvlllT_PT11_llS6_llS4_PT12_llPT13_lli.uses_vcc, 1
	.set _ZN12_GLOBAL__N_127rocblas_gemm_batched_kernelI19rocblas_complex_numIfELi16ELi16ELi64ELi64ELi4ELi64ELi4ELi4ELi64ELc84ELc84EKS2_S3_S2_EEvlllT_PT11_llS6_llS4_PT12_llPT13_lli.uses_flat_scratch, 0
	.set _ZN12_GLOBAL__N_127rocblas_gemm_batched_kernelI19rocblas_complex_numIfELi16ELi16ELi64ELi64ELi4ELi64ELi4ELi4ELi64ELc84ELc84EKS2_S3_S2_EEvlllT_PT11_llS6_llS4_PT12_llPT13_lli.has_dyn_sized_stack, 0
	.set _ZN12_GLOBAL__N_127rocblas_gemm_batched_kernelI19rocblas_complex_numIfELi16ELi16ELi64ELi64ELi4ELi64ELi4ELi4ELi64ELc84ELc84EKS2_S3_S2_EEvlllT_PT11_llS6_llS4_PT12_llPT13_lli.has_recursion, 0
	.set _ZN12_GLOBAL__N_127rocblas_gemm_batched_kernelI19rocblas_complex_numIfELi16ELi16ELi64ELi64ELi4ELi64ELi4ELi4ELi64ELc84ELc84EKS2_S3_S2_EEvlllT_PT11_llS6_llS4_PT12_llPT13_lli.has_indirect_call, 0
	.section	.AMDGPU.csdata,"",@progbits
; Kernel info:
; codeLenInByte = 4924
; TotalNumSgprs: 34
; NumVgprs: 188
; ScratchSize: 0
; MemoryBound: 0
; FloatMode: 240
; IeeeMode: 1
; LDSByteSize: 4096 bytes/workgroup (compile time only)
; SGPRBlocks: 0
; VGPRBlocks: 23
; NumSGPRsForWavesPerEU: 34
; NumVGPRsForWavesPerEU: 188
; Occupancy: 5
; WaveLimiterHint : 1
; COMPUTE_PGM_RSRC2:SCRATCH_EN: 0
; COMPUTE_PGM_RSRC2:USER_SGPR: 6
; COMPUTE_PGM_RSRC2:TRAP_HANDLER: 0
; COMPUTE_PGM_RSRC2:TGID_X_EN: 1
; COMPUTE_PGM_RSRC2:TGID_Y_EN: 1
; COMPUTE_PGM_RSRC2:TGID_Z_EN: 1
; COMPUTE_PGM_RSRC2:TIDIG_COMP_CNT: 1
	.section	.text._ZN12_GLOBAL__N_127rocblas_gemm_batched_kernelI19rocblas_complex_numIfELi16ELi16ELi64ELi64ELi4ELi64ELi4ELi4ELi64ELc67ELc67EKS2_S3_S2_EEvlllT_PT11_llS6_llS4_PT12_llPT13_lli,"axG",@progbits,_ZN12_GLOBAL__N_127rocblas_gemm_batched_kernelI19rocblas_complex_numIfELi16ELi16ELi64ELi64ELi4ELi64ELi4ELi4ELi64ELc67ELc67EKS2_S3_S2_EEvlllT_PT11_llS6_llS4_PT12_llPT13_lli,comdat
	.globl	_ZN12_GLOBAL__N_127rocblas_gemm_batched_kernelI19rocblas_complex_numIfELi16ELi16ELi64ELi64ELi4ELi64ELi4ELi4ELi64ELc67ELc67EKS2_S3_S2_EEvlllT_PT11_llS6_llS4_PT12_llPT13_lli ; -- Begin function _ZN12_GLOBAL__N_127rocblas_gemm_batched_kernelI19rocblas_complex_numIfELi16ELi16ELi64ELi64ELi4ELi64ELi4ELi4ELi64ELc67ELc67EKS2_S3_S2_EEvlllT_PT11_llS6_llS4_PT12_llPT13_lli
	.p2align	8
	.type	_ZN12_GLOBAL__N_127rocblas_gemm_batched_kernelI19rocblas_complex_numIfELi16ELi16ELi64ELi64ELi4ELi64ELi4ELi4ELi64ELc67ELc67EKS2_S3_S2_EEvlllT_PT11_llS6_llS4_PT12_llPT13_lli,@function
_ZN12_GLOBAL__N_127rocblas_gemm_batched_kernelI19rocblas_complex_numIfELi16ELi16ELi64ELi64ELi4ELi64ELi4ELi4ELi64ELc67ELc67EKS2_S3_S2_EEvlllT_PT11_llS6_llS4_PT12_llPT13_lli: ; @_ZN12_GLOBAL__N_127rocblas_gemm_batched_kernelI19rocblas_complex_numIfELi16ELi16ELi64ELi64ELi4ELi64ELi4ELi4ELi64ELc67ELc67EKS2_S3_S2_EEvlllT_PT11_llS6_llS4_PT12_llPT13_lli
; %bb.0:
	s_clause 0x1
	s_load_dwordx16 s[12:27], s[4:5], 0x10
	s_load_dwordx2 s[10:11], s[4:5], 0x50
	s_mov_b32 s0, s7
	v_mov_b32_e32 v40, 0
	v_mov_b32_e32 v41, 0
	v_mov_b32_e32 v38, 0
	v_mov_b32_e32 v39, 0
	v_mov_b32_e32 v36, 0
	v_mov_b32_e32 v37, 0
	v_mov_b32_e32 v34, 0
	v_mov_b32_e32 v35, 0
	v_mov_b32_e32 v32, 0
	v_mov_b32_e32 v33, 0
	v_mov_b32_e32 v30, 0
	v_mov_b32_e32 v31, 0
	v_mov_b32_e32 v28, 0
	v_mov_b32_e32 v29, 0
	v_mov_b32_e32 v26, 0
	v_mov_b32_e32 v27, 0
	v_mov_b32_e32 v24, 0
	s_waitcnt lgkmcnt(0)
	v_cmp_lt_i64_e64 s2, s[12:13], 1
	v_mov_b32_e32 v25, 0
	v_mov_b32_e32 v22, 0
	;; [unrolled: 1-line block ×15, first 2 shown]
	s_ashr_i32 s7, s6, 31
	s_ashr_i32 s1, s0, 31
	s_lshl_b64 s[28:29], s[6:7], 6
	s_and_b32 vcc_lo, exec_lo, s2
	s_lshl_b64 s[30:31], s[0:1], 6
	s_cbranch_vccnz .LBB93_3
; %bb.1:
	v_lshl_add_u32 v6, v1, 4, v0
	v_and_b32_e32 v7, 3, v0
	s_mul_i32 s1, s21, s8
	s_mul_hi_u32 s2, s20, s8
	s_mul_hi_u32 s3, s26, s8
	v_lshrrev_b32_e32 v8, 2, v6
	v_and_b32_e32 v9, 63, v6
	v_lshlrev_b32_e32 v13, 3, v7
	v_lshrrev_b32_e32 v14, 6, v6
	s_add_i32 s1, s2, s1
	v_add_co_u32 v2, s0, v8, s30
	v_add_co_ci_u32_e64 v3, null, 0, s31, s0
	v_add_co_u32 v4, s0, s28, v9
	v_add_co_ci_u32_e64 v5, null, s29, 0, s0
	v_mad_u64_u32 v[2:3], null, s24, v7, v[2:3]
	v_mul_lo_u32 v11, s19, v4
	v_mul_lo_u32 v12, s18, v5
	v_mad_u64_u32 v[4:5], null, s18, v4, 0
	s_mul_i32 s0, s20, s8
	s_mul_i32 s2, s27, s8
	s_lshl_b64 s[0:1], s[0:1], 3
	s_add_i32 s3, s3, s2
	s_mul_i32 s2, s26, s8
	v_lshlrev_b32_e32 v9, 3, v9
	v_mad_u64_u32 v[6:7], null, s25, v7, v[3:4]
	v_add3_u32 v5, v5, v12, v11
	v_lshl_or_b32 v3, v8, 5, v13
	v_mov_b32_e32 v10, 0
	v_lshlrev_b32_e32 v42, 3, v0
	v_lshl_add_u32 v43, v1, 5, 0x800
	v_lshlrev_b64 v[4:5], 3, v[4:5]
	v_add_nc_u32_e32 v45, 0x800, v3
	v_mov_b32_e32 v3, v6
	v_lshlrev_b32_e32 v6, 3, v14
	v_lshl_or_b32 v44, v14, 9, v9
	v_mov_b32_e32 v11, 0
	v_add_co_u32 v4, vcc_lo, v4, s0
	v_lshlrev_b64 v[2:3], 3, v[2:3]
	v_add_co_ci_u32_e64 v5, null, s1, v5, vcc_lo
	s_lshl_b64 s[0:1], s[2:3], 3
	v_add_co_u32 v4, vcc_lo, v4, v6
	s_add_u32 s0, s22, s0
	v_add_co_ci_u32_e64 v5, null, 0, v5, vcc_lo
	s_addc_u32 s1, s23, s1
	v_add_co_u32 v6, vcc_lo, s0, v2
	v_add_co_ci_u32_e64 v7, null, s1, v3, vcc_lo
	v_add_co_u32 v2, vcc_lo, s16, v4
	v_add_co_ci_u32_e64 v3, null, s17, v5, vcc_lo
	v_add_co_u32 v4, vcc_lo, v6, 4
	v_add_co_ci_u32_e64 v5, null, 0, v7, vcc_lo
	v_mov_b32_e32 v13, 0
	v_mov_b32_e32 v12, 0
	;; [unrolled: 1-line block ×30, first 2 shown]
	s_lshl_b64 s[0:1], s[24:25], 5
	s_mov_b64 s[2:3], 0
.LBB93_2:                               ; =>This Inner Loop Header: Depth=1
	global_load_dwordx2 v[6:7], v[2:3], off
	global_load_dwordx2 v[8:9], v[4:5], off offset:-4
	s_add_u32 s2, s2, 4
	s_addc_u32 s3, s3, 0
	v_add_co_u32 v2, vcc_lo, v2, 32
	v_cmp_lt_i64_e64 s6, s[2:3], s[12:13]
	v_add_co_ci_u32_e64 v3, null, 0, v3, vcc_lo
	v_add_co_u32 v4, vcc_lo, v4, s0
	v_add_co_ci_u32_e64 v5, null, s1, v5, vcc_lo
	s_and_b32 vcc_lo, exec_lo, s6
	s_waitcnt vmcnt(1)
	v_xor_b32_e32 v7, 0x80000000, v7
	s_waitcnt vmcnt(0)
	v_xor_b32_e32 v9, 0x80000000, v9
	ds_write_b64 v44, v[6:7]
	ds_write_b64 v45, v[8:9]
	s_waitcnt lgkmcnt(0)
	s_barrier
	buffer_gl0_inv
	ds_read_b128 v[6:9], v43
	ds_read2_b64 v[46:49], v42 offset1:16
	ds_read_b128 v[50:53], v43 offset:512
	ds_read_b128 v[54:57], v43 offset:16
	;; [unrolled: 1-line block ×7, first 2 shown]
	ds_read2_b64 v[78:81], v42 offset0:32 offset1:48
	ds_read2_b64 v[82:85], v42 offset0:64 offset1:80
	;; [unrolled: 1-line block ×7, first 2 shown]
	s_waitcnt lgkmcnt(0)
	s_barrier
	buffer_gl0_inv
	v_mul_f32_e32 v106, v7, v47
	v_mul_f32_e32 v107, v6, v47
	;; [unrolled: 1-line block ×64, first 2 shown]
	v_fma_f32 v106, v6, v46, -v106
	v_fmac_f32_e32 v107, v7, v46
	v_fma_f32 v108, v6, v48, -v108
	v_fmac_f32_e32 v109, v7, v48
	;; [unrolled: 2-line block ×16, first 2 shown]
	v_mul_f32_e32 v162, v55, v91
	v_mul_f32_e32 v163, v54, v91
	v_mul_f32_e32 v164, v55, v93
	v_mul_f32_e32 v165, v54, v93
	v_mul_f32_e32 v166, v59, v91
	v_mul_f32_e32 v167, v58, v91
	v_mul_f32_e32 v168, v59, v93
	v_mul_f32_e32 v169, v58, v93
	v_mul_f32_e32 v170, v67, v91
	v_mul_f32_e32 v171, v66, v91
	v_mul_f32_e32 v172, v67, v93
	v_mul_f32_e32 v173, v66, v93
	v_mul_f32_e32 v174, v75, v91
	v_mul_f32_e32 v91, v74, v91
	v_mul_f32_e32 v175, v75, v93
	v_mul_f32_e32 v93, v74, v93
	v_mul_f32_e32 v176, v55, v95
	v_mul_f32_e32 v177, v54, v95
	v_mul_f32_e32 v178, v55, v97
	v_mul_f32_e32 v179, v54, v97
	v_mul_f32_e32 v48, v59, v95
	v_mul_f32_e32 v119, v58, v95
	v_mul_f32_e32 v180, v59, v97
	v_mul_f32_e32 v181, v58, v97
	v_mul_f32_e32 v71, v67, v95
	v_mul_f32_e32 v78, v66, v95
	v_mul_f32_e32 v80, v67, v97
	v_mul_f32_e32 v122, v66, v97
	v_fma_f32 v124, v8, v82, -v134
	v_fmac_f32_e32 v135, v9, v82
	v_fma_f32 v126, v8, v84, -v136
	v_fmac_f32_e32 v137, v9, v84
	;; [unrolled: 2-line block ×4, first 2 shown]
	v_mul_f32_e32 v9, v75, v95
	v_mul_f32_e32 v95, v74, v95
	;; [unrolled: 1-line block ×4, first 2 shown]
	v_fma_f32 v132, v52, v82, -v142
	v_fmac_f32_e32 v143, v53, v82
	v_fma_f32 v133, v52, v84, -v144
	v_fmac_f32_e32 v145, v53, v84
	;; [unrolled: 2-line block ×4, first 2 shown]
	v_mul_f32_e32 v136, v56, v99
	v_mul_f32_e32 v140, v56, v101
	v_fma_f32 v142, v64, v82, -v150
	v_fmac_f32_e32 v151, v65, v82
	v_fma_f32 v144, v64, v84, -v152
	v_fmac_f32_e32 v153, v65, v84
	v_fma_f32 v146, v64, v86, -v154
	v_fmac_f32_e32 v155, v65, v86
	v_fma_f32 v64, v64, v88, -v156
	v_fmac_f32_e32 v157, v65, v88
	v_mul_f32_e32 v148, v56, v103
	v_mul_f32_e32 v152, v56, v105
	v_fma_f32 v154, v72, v82, -v158
	v_fmac_f32_e32 v83, v73, v82
	v_fma_f32 v82, v72, v84, -v159
	v_fmac_f32_e32 v85, v73, v84
	;; [unrolled: 2-line block ×4, first 2 shown]
	v_add_f32_e32 v40, v40, v106
	v_add_f32_e32 v41, v41, v107
	;; [unrolled: 1-line block ×32, first 2 shown]
	v_mul_f32_e32 v53, v57, v99
	v_mul_f32_e32 v138, v57, v101
	;; [unrolled: 1-line block ×16, first 2 shown]
	v_fma_f32 v162, v54, v90, -v162
	v_fmac_f32_e32 v163, v55, v90
	v_fma_f32 v164, v54, v92, -v164
	v_fmac_f32_e32 v165, v55, v92
	;; [unrolled: 2-line block ×8, first 2 shown]
	v_mul_f32_e32 v92, v69, v103
	v_mul_f32_e32 v175, v68, v103
	;; [unrolled: 1-line block ×4, first 2 shown]
	v_fma_f32 v176, v54, v94, -v176
	v_fmac_f32_e32 v177, v55, v94
	v_fma_f32 v54, v54, v96, -v178
	v_fmac_f32_e32 v179, v55, v96
	;; [unrolled: 2-line block ×8, first 2 shown]
	v_mul_f32_e32 v67, v77, v99
	v_mul_f32_e32 v71, v76, v99
	;; [unrolled: 1-line block ×4, first 2 shown]
	v_fmac_f32_e32 v136, v57, v98
	v_fmac_f32_e32 v140, v57, v100
	;; [unrolled: 1-line block ×4, first 2 shown]
	v_mul_f32_e32 v57, v77, v103
	v_mul_f32_e32 v94, v76, v103
	;; [unrolled: 1-line block ×4, first 2 shown]
	v_add_f32_e32 v29, v40, v124
	v_add_f32_e32 v35, v41, v135
	;; [unrolled: 1-line block ×32, first 2 shown]
	v_fma_f32 v53, v56, v98, -v53
	v_fma_f32 v80, v56, v100, -v138
	;; [unrolled: 1-line block ×5, first 2 shown]
	v_fmac_f32_e32 v156, v61, v98
	v_fma_f32 v101, v60, v100, -v158
	v_fmac_f32_e32 v159, v61, v100
	v_fma_f32 v73, v60, v102, -v73
	;; [unrolled: 2-line block ×11, first 2 shown]
	v_fmac_f32_e32 v99, v77, v104
	v_add_f32_e32 v29, v29, v162
	v_add_f32_e32 v34, v35, v163
	;; [unrolled: 1-line block ×64, first 2 shown]
	s_cbranch_vccnz .LBB93_2
.LBB93_3:
	s_clause 0x1
	s_load_dwordx4 s[16:19], s[4:5], 0x78
	s_load_dwordx8 s[0:7], s[4:5], 0x58
	s_waitcnt lgkmcnt(0)
	s_mul_i32 s9, s19, s8
	s_mul_hi_u32 s13, s18, s8
	s_mul_i32 s12, s18, s8
	s_add_i32 s13, s13, s9
	s_lshl_b64 s[12:13], s[12:13], 3
	s_add_u32 s9, s6, s12
	s_addc_u32 s12, s7, s13
	v_add_co_u32 v4, s7, s30, v1
	v_add_co_ci_u32_e64 v5, null, s31, 0, s7
	v_add_co_u32 v0, s7, s28, v0
	s_or_b32 s6, s10, s11
	v_add_co_ci_u32_e64 v1, null, s29, 0, s7
	s_bitset0_b32 s6, 31
	s_mov_b32 s13, 0
	s_cmp_lg_u32 s6, 0
	s_cbranch_scc1 .LBB93_5
; %bb.4:
	v_mul_lo_u32 v6, v5, s16
	v_mul_lo_u32 v8, v4, s17
	v_mad_u64_u32 v[2:3], null, v4, s16, 0
	v_mul_f32_e32 v42, s15, v41
	v_mul_f32_e32 v7, s14, v41
	;; [unrolled: 1-line block ×6, first 2 shown]
	v_add3_u32 v3, v3, v8, v6
	v_lshlrev_b64 v[8:9], 3, v[0:1]
	v_mul_f32_e32 v48, s15, v35
	v_mul_f32_e32 v47, s14, v35
	v_fma_f32 v6, v40, s14, -v42
	v_lshlrev_b64 v[2:3], 3, v[2:3]
	v_fmac_f32_e32 v7, s15, v40
	v_fma_f32 v42, v38, s14, -v44
	v_fmac_f32_e32 v43, s15, v38
	s_lshl_b64 s[6:7], s[16:17], 7
	v_fma_f32 v44, v36, s14, -v46
	v_add_co_u32 v49, vcc_lo, s9, v2
	v_add_co_ci_u32_e64 v50, null, s12, v3, vcc_lo
	v_fmac_f32_e32 v45, s15, v36
	v_add_co_u32 v2, vcc_lo, v49, v8
	v_add_co_ci_u32_e64 v3, null, v50, v9, vcc_lo
	v_fma_f32 v46, v34, s14, -v48
	v_fmac_f32_e32 v47, s15, v34
	v_add_co_u32 v48, vcc_lo, v49, s6
	global_store_dwordx2 v[2:3], v[6:7], off
	global_store_dwordx2 v[2:3], v[42:43], off offset:128
	global_store_dwordx2 v[2:3], v[44:45], off offset:256
	;; [unrolled: 1-line block ×3, first 2 shown]
	v_mul_f32_e32 v2, s15, v33
	v_mul_f32_e32 v3, s14, v33
	v_add_co_ci_u32_e64 v49, null, s7, v50, vcc_lo
	v_mul_f32_e32 v6, s15, v31
	v_mul_f32_e32 v7, s14, v31
	;; [unrolled: 1-line block ×4, first 2 shown]
	v_add_co_u32 v44, vcc_lo, v48, v8
	v_fma_f32 v2, v32, s14, -v2
	v_fmac_f32_e32 v3, s15, v32
	v_add_co_ci_u32_e64 v45, null, v49, v9, vcc_lo
	v_fma_f32 v6, v30, s14, -v6
	v_fmac_f32_e32 v7, s15, v30
	v_fma_f32 v42, v28, s14, -v42
	v_fmac_f32_e32 v43, s15, v28
	v_add_co_u32 v52, vcc_lo, v48, s6
	v_mul_f32_e32 v46, s15, v27
	v_mul_f32_e32 v47, s14, v27
	global_store_dwordx2 v[44:45], v[2:3], off
	global_store_dwordx2 v[44:45], v[6:7], off offset:128
	global_store_dwordx2 v[44:45], v[42:43], off offset:256
	v_mul_f32_e32 v2, s15, v25
	v_mul_f32_e32 v3, s14, v25
	v_add_co_ci_u32_e64 v53, null, s7, v49, vcc_lo
	v_mul_f32_e32 v42, s15, v23
	v_mul_f32_e32 v43, s14, v23
	;; [unrolled: 1-line block ×4, first 2 shown]
	v_add_co_u32 v6, vcc_lo, v52, v8
	v_mul_f32_e32 v50, s15, v19
	v_mul_f32_e32 v51, s14, v19
	v_fma_f32 v46, v26, s14, -v46
	v_fmac_f32_e32 v47, s15, v26
	v_fma_f32 v2, v24, s14, -v2
	v_fmac_f32_e32 v3, s15, v24
	v_add_co_ci_u32_e64 v7, null, v53, v9, vcc_lo
	v_fma_f32 v42, v22, s14, -v42
	v_fmac_f32_e32 v43, s15, v22
	v_fma_f32 v48, v20, s14, -v48
	v_fmac_f32_e32 v49, s15, v20
	;; [unrolled: 2-line block ×3, first 2 shown]
	global_store_dwordx2 v[44:45], v[46:47], off offset:384
	global_store_dwordx2 v[6:7], v[2:3], off
	global_store_dwordx2 v[6:7], v[42:43], off offset:128
	global_store_dwordx2 v[6:7], v[48:49], off offset:256
	;; [unrolled: 1-line block ×3, first 2 shown]
	v_mul_f32_e32 v2, s15, v17
	v_add_co_u32 v3, vcc_lo, v52, s6
	v_add_co_ci_u32_e64 v6, null, s7, v53, vcc_lo
	v_fma_f32 v42, v16, s14, -v2
	v_mul_f32_e32 v2, s15, v15
	v_add_co_u32 v7, vcc_lo, v3, v8
	v_mul_f32_e32 v43, s14, v17
	v_add_co_ci_u32_e64 v8, null, v6, v9, vcc_lo
	v_fma_f32 v44, v14, s14, -v2
	v_mul_f32_e32 v2, s15, v13
	v_mul_f32_e32 v3, s15, v10
	;; [unrolled: 1-line block ×5, first 2 shown]
	v_fma_f32 v46, v12, s14, -v2
	v_add_co_u32 v2, vcc_lo, 0x180, v7
	v_fmac_f32_e32 v43, s15, v16
	v_fma_f32 v9, v11, s14, -v3
	v_fmac_f32_e32 v6, s15, v11
	v_add_co_ci_u32_e64 v3, null, 0, v8, vcc_lo
	v_fmac_f32_e32 v45, s15, v14
	v_fmac_f32_e32 v47, s15, v12
	global_store_dwordx2 v[7:8], v[42:43], off
	global_store_dwordx2 v[7:8], v[44:45], off offset:128
	global_store_dwordx2 v[7:8], v[46:47], off offset:256
	global_store_dword v[7:8], v9, off offset:384
	s_andn2_b32 vcc_lo, exec_lo, s13
	s_cbranch_vccz .LBB93_6
	s_branch .LBB93_7
.LBB93_5:
                                        ; implicit-def: $vgpr6
                                        ; implicit-def: $vgpr2_vgpr3
.LBB93_6:
	v_mul_lo_u32 v6, v5, s2
	v_mul_lo_u32 v7, v4, s3
	v_mad_u64_u32 v[2:3], null, v4, s2, 0
	s_mul_i32 s5, s5, s8
	s_mul_hi_u32 s6, s4, s8
	s_mul_i32 s4, s4, s8
	s_add_i32 s5, s6, s5
	v_lshlrev_b64 v[0:1], 3, v[0:1]
	s_lshl_b64 s[4:5], s[4:5], 3
	v_add3_u32 v3, v3, v7, v6
	s_add_u32 s0, s0, s4
	s_addc_u32 s1, s1, s5
	v_mul_lo_u32 v42, v5, s16
	v_mul_lo_u32 v43, v4, s17
	v_lshlrev_b64 v[2:3], 3, v[2:3]
	v_mad_u64_u32 v[4:5], null, v4, s16, 0
	v_add_co_u32 v8, vcc_lo, s0, v2
	v_add_co_ci_u32_e64 v9, null, s1, v3, vcc_lo
	v_add3_u32 v5, v5, v43, v42
	v_add_co_u32 v2, vcc_lo, v8, v0
	v_add_co_ci_u32_e64 v3, null, v9, v1, vcc_lo
	v_mul_f32_e32 v42, s15, v41
	v_mul_f32_e32 v41, s14, v41
	v_lshlrev_b64 v[4:5], 3, v[4:5]
	global_load_dwordx2 v[6:7], v[2:3], off
	s_lshl_b64 s[0:1], s[2:3], 7
	v_fma_f32 v42, v40, s14, -v42
	v_fmac_f32_e32 v41, s15, v40
	s_lshl_b64 s[2:3], s[16:17], 7
	v_add_co_u32 v43, vcc_lo, s9, v4
	v_add_co_ci_u32_e64 v44, null, s12, v5, vcc_lo
	v_add_co_u32 v4, vcc_lo, v43, v0
	v_add_co_ci_u32_e64 v5, null, v44, v1, vcc_lo
	;; [unrolled: 2-line block ×3, first 2 shown]
	s_waitcnt vmcnt(0)
	v_mul_f32_e32 v40, s11, v7
	v_mul_f32_e32 v7, s10, v7
	v_fma_f32 v40, v6, s10, -v40
	v_fmac_f32_e32 v7, s11, v6
	v_add_f32_e32 v6, v42, v40
	v_add_f32_e32 v7, v41, v7
	v_mul_f32_e32 v40, s15, v39
	v_mul_f32_e32 v39, s14, v39
	global_store_dwordx2 v[4:5], v[6:7], off
	global_load_dwordx2 v[6:7], v[2:3], off offset:128
	v_fma_f32 v40, v38, s14, -v40
	v_fmac_f32_e32 v39, s15, v38
	s_waitcnt vmcnt(0)
	v_mul_f32_e32 v41, s11, v7
	v_mul_f32_e32 v7, s10, v7
	v_fma_f32 v38, v6, s10, -v41
	v_fmac_f32_e32 v7, s11, v6
	v_add_f32_e32 v6, v40, v38
	v_add_f32_e32 v7, v39, v7
	v_mul_f32_e32 v38, s15, v37
	v_mul_f32_e32 v37, s14, v37
	global_store_dwordx2 v[4:5], v[6:7], off offset:128
	global_load_dwordx2 v[6:7], v[2:3], off offset:256
	v_fma_f32 v38, v36, s14, -v38
	v_fmac_f32_e32 v37, s15, v36
	s_waitcnt vmcnt(0)
	v_mul_f32_e32 v39, s11, v7
	v_mul_f32_e32 v7, s10, v7
	v_fma_f32 v36, v6, s10, -v39
	v_fmac_f32_e32 v7, s11, v6
	v_add_f32_e32 v6, v38, v36
	v_add_f32_e32 v7, v37, v7
	global_store_dwordx2 v[4:5], v[6:7], off offset:256
	global_load_dwordx2 v[2:3], v[2:3], off offset:384
	v_mul_f32_e32 v6, s15, v35
	v_mul_f32_e32 v7, s14, v35
	v_fma_f32 v6, v34, s14, -v6
	v_fmac_f32_e32 v7, s15, v34
	s_waitcnt vmcnt(0)
	v_mul_f32_e32 v35, s11, v3
	v_mul_f32_e32 v3, s10, v3
	v_fma_f32 v34, v2, s10, -v35
	v_fmac_f32_e32 v3, s11, v2
	v_add_f32_e32 v2, v6, v34
	v_add_co_u32 v6, vcc_lo, v8, v0
	v_add_f32_e32 v3, v7, v3
	v_add_co_ci_u32_e64 v7, null, v9, v1, vcc_lo
	v_add_co_u32 v34, vcc_lo, v43, s2
	global_store_dwordx2 v[4:5], v[2:3], off offset:384
	global_load_dwordx2 v[2:3], v[6:7], off
	v_mul_f32_e32 v4, s15, v33
	v_mul_f32_e32 v5, s14, v33
	v_add_co_ci_u32_e64 v35, null, s3, v44, vcc_lo
	v_fma_f32 v4, v32, s14, -v4
	v_fmac_f32_e32 v5, s15, v32
	s_waitcnt vmcnt(0)
	v_mul_f32_e32 v32, s11, v3
	v_mul_f32_e32 v33, s10, v3
	v_fma_f32 v32, v2, s10, -v32
	v_fmac_f32_e32 v33, s11, v2
	v_add_co_u32 v2, vcc_lo, v34, v0
	v_add_co_ci_u32_e64 v3, null, v35, v1, vcc_lo
	v_add_f32_e32 v4, v4, v32
	v_add_f32_e32 v5, v5, v33
	v_mul_f32_e32 v32, s15, v31
	v_mul_f32_e32 v31, s14, v31
	v_add_co_u32 v8, vcc_lo, v8, s0
	global_store_dwordx2 v[2:3], v[4:5], off
	global_load_dwordx2 v[4:5], v[6:7], off offset:128
	v_fma_f32 v32, v30, s14, -v32
	v_fmac_f32_e32 v31, s15, v30
	v_add_co_ci_u32_e64 v9, null, s1, v9, vcc_lo
	s_waitcnt vmcnt(0)
	v_mul_f32_e32 v33, s11, v5
	v_mul_f32_e32 v5, s10, v5
	v_fma_f32 v30, v4, s10, -v33
	v_fmac_f32_e32 v5, s11, v4
	v_add_f32_e32 v4, v32, v30
	v_add_f32_e32 v5, v31, v5
	v_mul_f32_e32 v30, s15, v29
	v_mul_f32_e32 v29, s14, v29
	global_store_dwordx2 v[2:3], v[4:5], off offset:128
	global_load_dwordx2 v[4:5], v[6:7], off offset:256
	v_fma_f32 v30, v28, s14, -v30
	v_fmac_f32_e32 v29, s15, v28
	s_waitcnt vmcnt(0)
	v_mul_f32_e32 v31, s11, v5
	v_mul_f32_e32 v5, s10, v5
	v_fma_f32 v28, v4, s10, -v31
	v_fmac_f32_e32 v5, s11, v4
	v_add_f32_e32 v4, v30, v28
	v_add_f32_e32 v5, v29, v5
	global_store_dwordx2 v[2:3], v[4:5], off offset:256
	global_load_dwordx2 v[4:5], v[6:7], off offset:384
	v_mul_f32_e32 v6, s15, v27
	v_mul_f32_e32 v7, s14, v27
	v_fma_f32 v6, v26, s14, -v6
	v_fmac_f32_e32 v7, s15, v26
	s_waitcnt vmcnt(0)
	v_mul_f32_e32 v27, s11, v5
	v_mul_f32_e32 v5, s10, v5
	v_fma_f32 v26, v4, s10, -v27
	v_fmac_f32_e32 v5, s11, v4
	v_add_f32_e32 v4, v6, v26
	v_add_co_u32 v6, vcc_lo, v8, v0
	v_add_f32_e32 v5, v7, v5
	v_add_co_ci_u32_e64 v7, null, v9, v1, vcc_lo
	v_add_co_u32 v26, vcc_lo, v34, s2
	global_store_dwordx2 v[2:3], v[4:5], off offset:384
	global_load_dwordx2 v[2:3], v[6:7], off
	v_mul_f32_e32 v4, s15, v25
	v_mul_f32_e32 v5, s14, v25
	v_add_co_ci_u32_e64 v27, null, s3, v35, vcc_lo
	v_fma_f32 v4, v24, s14, -v4
	v_fmac_f32_e32 v5, s15, v24
	s_waitcnt vmcnt(0)
	v_mul_f32_e32 v24, s11, v3
	v_mul_f32_e32 v25, s10, v3
	v_fma_f32 v24, v2, s10, -v24
	v_fmac_f32_e32 v25, s11, v2
	v_add_co_u32 v2, vcc_lo, v26, v0
	v_add_co_ci_u32_e64 v3, null, v27, v1, vcc_lo
	v_add_f32_e32 v4, v4, v24
	v_add_f32_e32 v5, v5, v25
	v_mul_f32_e32 v24, s15, v23
	v_mul_f32_e32 v23, s14, v23
	v_add_co_u32 v8, vcc_lo, v8, s0
	global_store_dwordx2 v[2:3], v[4:5], off
	global_load_dwordx2 v[4:5], v[6:7], off offset:128
	v_fma_f32 v24, v22, s14, -v24
	v_fmac_f32_e32 v23, s15, v22
	v_add_co_ci_u32_e64 v9, null, s1, v9, vcc_lo
	s_waitcnt vmcnt(0)
	v_mul_f32_e32 v25, s11, v5
	v_mul_f32_e32 v5, s10, v5
	v_fma_f32 v22, v4, s10, -v25
	v_fmac_f32_e32 v5, s11, v4
	v_add_f32_e32 v4, v24, v22
	v_add_f32_e32 v5, v23, v5
	v_mul_f32_e32 v22, s15, v21
	v_mul_f32_e32 v21, s14, v21
	global_store_dwordx2 v[2:3], v[4:5], off offset:128
	global_load_dwordx2 v[4:5], v[6:7], off offset:256
	v_fma_f32 v22, v20, s14, -v22
	v_fmac_f32_e32 v21, s15, v20
	s_waitcnt vmcnt(0)
	v_mul_f32_e32 v23, s11, v5
	v_mul_f32_e32 v5, s10, v5
	v_fma_f32 v20, v4, s10, -v23
	v_fmac_f32_e32 v5, s11, v4
	v_add_f32_e32 v4, v22, v20
	v_add_f32_e32 v5, v21, v5
	global_store_dwordx2 v[2:3], v[4:5], off offset:256
	global_load_dwordx2 v[4:5], v[6:7], off offset:384
	v_mul_f32_e32 v6, s15, v19
	v_mul_f32_e32 v7, s14, v19
	v_fma_f32 v6, v18, s14, -v6
	v_fmac_f32_e32 v7, s15, v18
	s_waitcnt vmcnt(0)
	v_mul_f32_e32 v19, s11, v5
	v_mul_f32_e32 v5, s10, v5
	v_fma_f32 v18, v4, s10, -v19
	v_fmac_f32_e32 v5, s11, v4
	v_add_f32_e32 v4, v6, v18
	v_add_co_u32 v6, vcc_lo, v8, v0
	v_add_f32_e32 v5, v7, v5
	v_add_co_ci_u32_e64 v7, null, v9, v1, vcc_lo
	v_add_co_u32 v9, vcc_lo, v26, s2
	global_store_dwordx2 v[2:3], v[4:5], off offset:384
	global_load_dwordx2 v[2:3], v[6:7], off
	v_mul_f32_e32 v4, s15, v17
	v_mul_f32_e32 v5, s14, v17
	v_fma_f32 v4, v16, s14, -v4
	v_fmac_f32_e32 v5, s15, v16
	v_add_co_ci_u32_e64 v16, null, s3, v27, vcc_lo
	v_add_co_u32 v0, vcc_lo, v9, v0
	v_add_co_ci_u32_e64 v1, null, v16, v1, vcc_lo
	s_waitcnt vmcnt(0)
	v_mul_f32_e32 v8, s11, v3
	v_mul_f32_e32 v3, s10, v3
	v_fma_f32 v8, v2, s10, -v8
	v_fmac_f32_e32 v3, s11, v2
	v_add_f32_e32 v2, v4, v8
	v_add_f32_e32 v3, v5, v3
	v_mul_f32_e32 v4, s15, v15
	v_mul_f32_e32 v5, s14, v15
	global_store_dwordx2 v[0:1], v[2:3], off
	global_load_dwordx2 v[2:3], v[6:7], off offset:128
	v_fma_f32 v4, v14, s14, -v4
	v_fmac_f32_e32 v5, s15, v14
	s_waitcnt vmcnt(0)
	v_mul_f32_e32 v8, s11, v3
	v_mul_f32_e32 v3, s10, v3
	v_fma_f32 v8, v2, s10, -v8
	v_fmac_f32_e32 v3, s11, v2
	v_add_f32_e32 v2, v4, v8
	v_add_f32_e32 v3, v5, v3
	v_mul_f32_e32 v4, s15, v13
	v_mul_f32_e32 v5, s14, v13
	global_store_dwordx2 v[0:1], v[2:3], off offset:128
	global_load_dwordx2 v[2:3], v[6:7], off offset:256
	v_fma_f32 v4, v12, s14, -v4
	v_fmac_f32_e32 v5, s15, v12
	s_waitcnt vmcnt(0)
	v_mul_f32_e32 v8, s11, v3
	v_mul_f32_e32 v3, s10, v3
	v_fma_f32 v8, v2, s10, -v8
	v_fmac_f32_e32 v3, s11, v2
	v_add_f32_e32 v2, v4, v8
	v_add_f32_e32 v3, v5, v3
	v_mul_f32_e32 v4, s15, v10
	v_mul_f32_e32 v5, s14, v10
	global_store_dwordx2 v[0:1], v[2:3], off offset:256
	global_load_dwordx2 v[2:3], v[6:7], off offset:384
	v_fma_f32 v4, v11, s14, -v4
	v_fmac_f32_e32 v5, s15, v11
	s_waitcnt vmcnt(0)
	v_mul_f32_e32 v6, s11, v3
	v_mul_f32_e32 v3, s10, v3
	v_fma_f32 v6, v2, s10, -v6
	v_fmac_f32_e32 v3, s11, v2
	v_add_co_u32 v2, vcc_lo, 0x180, v0
	v_add_f32_e32 v4, v4, v6
	v_add_f32_e32 v6, v5, v3
	v_add_co_ci_u32_e64 v3, null, 0, v1, vcc_lo
	global_store_dword v[0:1], v4, off offset:384
.LBB93_7:
	global_store_dword v[2:3], v6, off offset:4
	s_endpgm
	.section	.rodata,"a",@progbits
	.p2align	6, 0x0
	.amdhsa_kernel _ZN12_GLOBAL__N_127rocblas_gemm_batched_kernelI19rocblas_complex_numIfELi16ELi16ELi64ELi64ELi4ELi64ELi4ELi4ELi64ELc67ELc67EKS2_S3_S2_EEvlllT_PT11_llS6_llS4_PT12_llPT13_lli
		.amdhsa_group_segment_fixed_size 4096
		.amdhsa_private_segment_fixed_size 0
		.amdhsa_kernarg_size 140
		.amdhsa_user_sgpr_count 6
		.amdhsa_user_sgpr_private_segment_buffer 1
		.amdhsa_user_sgpr_dispatch_ptr 0
		.amdhsa_user_sgpr_queue_ptr 0
		.amdhsa_user_sgpr_kernarg_segment_ptr 1
		.amdhsa_user_sgpr_dispatch_id 0
		.amdhsa_user_sgpr_flat_scratch_init 0
		.amdhsa_user_sgpr_private_segment_size 0
		.amdhsa_wavefront_size32 1
		.amdhsa_uses_dynamic_stack 0
		.amdhsa_system_sgpr_private_segment_wavefront_offset 0
		.amdhsa_system_sgpr_workgroup_id_x 1
		.amdhsa_system_sgpr_workgroup_id_y 1
		.amdhsa_system_sgpr_workgroup_id_z 1
		.amdhsa_system_sgpr_workgroup_info 0
		.amdhsa_system_vgpr_workitem_id 1
		.amdhsa_next_free_vgpr 188
		.amdhsa_next_free_sgpr 32
		.amdhsa_reserve_vcc 1
		.amdhsa_reserve_flat_scratch 0
		.amdhsa_float_round_mode_32 0
		.amdhsa_float_round_mode_16_64 0
		.amdhsa_float_denorm_mode_32 3
		.amdhsa_float_denorm_mode_16_64 3
		.amdhsa_dx10_clamp 1
		.amdhsa_ieee_mode 1
		.amdhsa_fp16_overflow 0
		.amdhsa_workgroup_processor_mode 1
		.amdhsa_memory_ordered 1
		.amdhsa_forward_progress 1
		.amdhsa_shared_vgpr_count 0
		.amdhsa_exception_fp_ieee_invalid_op 0
		.amdhsa_exception_fp_denorm_src 0
		.amdhsa_exception_fp_ieee_div_zero 0
		.amdhsa_exception_fp_ieee_overflow 0
		.amdhsa_exception_fp_ieee_underflow 0
		.amdhsa_exception_fp_ieee_inexact 0
		.amdhsa_exception_int_div_zero 0
	.end_amdhsa_kernel
	.section	.text._ZN12_GLOBAL__N_127rocblas_gemm_batched_kernelI19rocblas_complex_numIfELi16ELi16ELi64ELi64ELi4ELi64ELi4ELi4ELi64ELc67ELc67EKS2_S3_S2_EEvlllT_PT11_llS6_llS4_PT12_llPT13_lli,"axG",@progbits,_ZN12_GLOBAL__N_127rocblas_gemm_batched_kernelI19rocblas_complex_numIfELi16ELi16ELi64ELi64ELi4ELi64ELi4ELi4ELi64ELc67ELc67EKS2_S3_S2_EEvlllT_PT11_llS6_llS4_PT12_llPT13_lli,comdat
.Lfunc_end93:
	.size	_ZN12_GLOBAL__N_127rocblas_gemm_batched_kernelI19rocblas_complex_numIfELi16ELi16ELi64ELi64ELi4ELi64ELi4ELi4ELi64ELc67ELc67EKS2_S3_S2_EEvlllT_PT11_llS6_llS4_PT12_llPT13_lli, .Lfunc_end93-_ZN12_GLOBAL__N_127rocblas_gemm_batched_kernelI19rocblas_complex_numIfELi16ELi16ELi64ELi64ELi4ELi64ELi4ELi4ELi64ELc67ELc67EKS2_S3_S2_EEvlllT_PT11_llS6_llS4_PT12_llPT13_lli
                                        ; -- End function
	.set _ZN12_GLOBAL__N_127rocblas_gemm_batched_kernelI19rocblas_complex_numIfELi16ELi16ELi64ELi64ELi4ELi64ELi4ELi4ELi64ELc67ELc67EKS2_S3_S2_EEvlllT_PT11_llS6_llS4_PT12_llPT13_lli.num_vgpr, 188
	.set _ZN12_GLOBAL__N_127rocblas_gemm_batched_kernelI19rocblas_complex_numIfELi16ELi16ELi64ELi64ELi4ELi64ELi4ELi4ELi64ELc67ELc67EKS2_S3_S2_EEvlllT_PT11_llS6_llS4_PT12_llPT13_lli.num_agpr, 0
	.set _ZN12_GLOBAL__N_127rocblas_gemm_batched_kernelI19rocblas_complex_numIfELi16ELi16ELi64ELi64ELi4ELi64ELi4ELi4ELi64ELc67ELc67EKS2_S3_S2_EEvlllT_PT11_llS6_llS4_PT12_llPT13_lli.numbered_sgpr, 32
	.set _ZN12_GLOBAL__N_127rocblas_gemm_batched_kernelI19rocblas_complex_numIfELi16ELi16ELi64ELi64ELi4ELi64ELi4ELi4ELi64ELc67ELc67EKS2_S3_S2_EEvlllT_PT11_llS6_llS4_PT12_llPT13_lli.num_named_barrier, 0
	.set _ZN12_GLOBAL__N_127rocblas_gemm_batched_kernelI19rocblas_complex_numIfELi16ELi16ELi64ELi64ELi4ELi64ELi4ELi4ELi64ELc67ELc67EKS2_S3_S2_EEvlllT_PT11_llS6_llS4_PT12_llPT13_lli.private_seg_size, 0
	.set _ZN12_GLOBAL__N_127rocblas_gemm_batched_kernelI19rocblas_complex_numIfELi16ELi16ELi64ELi64ELi4ELi64ELi4ELi4ELi64ELc67ELc67EKS2_S3_S2_EEvlllT_PT11_llS6_llS4_PT12_llPT13_lli.uses_vcc, 1
	.set _ZN12_GLOBAL__N_127rocblas_gemm_batched_kernelI19rocblas_complex_numIfELi16ELi16ELi64ELi64ELi4ELi64ELi4ELi4ELi64ELc67ELc67EKS2_S3_S2_EEvlllT_PT11_llS6_llS4_PT12_llPT13_lli.uses_flat_scratch, 0
	.set _ZN12_GLOBAL__N_127rocblas_gemm_batched_kernelI19rocblas_complex_numIfELi16ELi16ELi64ELi64ELi4ELi64ELi4ELi4ELi64ELc67ELc67EKS2_S3_S2_EEvlllT_PT11_llS6_llS4_PT12_llPT13_lli.has_dyn_sized_stack, 0
	.set _ZN12_GLOBAL__N_127rocblas_gemm_batched_kernelI19rocblas_complex_numIfELi16ELi16ELi64ELi64ELi4ELi64ELi4ELi4ELi64ELc67ELc67EKS2_S3_S2_EEvlllT_PT11_llS6_llS4_PT12_llPT13_lli.has_recursion, 0
	.set _ZN12_GLOBAL__N_127rocblas_gemm_batched_kernelI19rocblas_complex_numIfELi16ELi16ELi64ELi64ELi4ELi64ELi4ELi4ELi64ELc67ELc67EKS2_S3_S2_EEvlllT_PT11_llS6_llS4_PT12_llPT13_lli.has_indirect_call, 0
	.section	.AMDGPU.csdata,"",@progbits
; Kernel info:
; codeLenInByte = 4956
; TotalNumSgprs: 34
; NumVgprs: 188
; ScratchSize: 0
; MemoryBound: 0
; FloatMode: 240
; IeeeMode: 1
; LDSByteSize: 4096 bytes/workgroup (compile time only)
; SGPRBlocks: 0
; VGPRBlocks: 23
; NumSGPRsForWavesPerEU: 34
; NumVGPRsForWavesPerEU: 188
; Occupancy: 5
; WaveLimiterHint : 1
; COMPUTE_PGM_RSRC2:SCRATCH_EN: 0
; COMPUTE_PGM_RSRC2:USER_SGPR: 6
; COMPUTE_PGM_RSRC2:TRAP_HANDLER: 0
; COMPUTE_PGM_RSRC2:TGID_X_EN: 1
; COMPUTE_PGM_RSRC2:TGID_Y_EN: 1
; COMPUTE_PGM_RSRC2:TGID_Z_EN: 1
; COMPUTE_PGM_RSRC2:TIDIG_COMP_CNT: 1
	.section	.text._ZN12_GLOBAL__N_127rocblas_gemm_batched_kernelI19rocblas_complex_numIfELi16ELi16ELi64ELi64ELi4ELi64ELi4ELi4ELi64ELc67ELc78EKS2_S3_S2_EEvlllT_PT11_llS6_llS4_PT12_llPT13_lli,"axG",@progbits,_ZN12_GLOBAL__N_127rocblas_gemm_batched_kernelI19rocblas_complex_numIfELi16ELi16ELi64ELi64ELi4ELi64ELi4ELi4ELi64ELc67ELc78EKS2_S3_S2_EEvlllT_PT11_llS6_llS4_PT12_llPT13_lli,comdat
	.globl	_ZN12_GLOBAL__N_127rocblas_gemm_batched_kernelI19rocblas_complex_numIfELi16ELi16ELi64ELi64ELi4ELi64ELi4ELi4ELi64ELc67ELc78EKS2_S3_S2_EEvlllT_PT11_llS6_llS4_PT12_llPT13_lli ; -- Begin function _ZN12_GLOBAL__N_127rocblas_gemm_batched_kernelI19rocblas_complex_numIfELi16ELi16ELi64ELi64ELi4ELi64ELi4ELi4ELi64ELc67ELc78EKS2_S3_S2_EEvlllT_PT11_llS6_llS4_PT12_llPT13_lli
	.p2align	8
	.type	_ZN12_GLOBAL__N_127rocblas_gemm_batched_kernelI19rocblas_complex_numIfELi16ELi16ELi64ELi64ELi4ELi64ELi4ELi4ELi64ELc67ELc78EKS2_S3_S2_EEvlllT_PT11_llS6_llS4_PT12_llPT13_lli,@function
_ZN12_GLOBAL__N_127rocblas_gemm_batched_kernelI19rocblas_complex_numIfELi16ELi16ELi64ELi64ELi4ELi64ELi4ELi4ELi64ELc67ELc78EKS2_S3_S2_EEvlllT_PT11_llS6_llS4_PT12_llPT13_lli: ; @_ZN12_GLOBAL__N_127rocblas_gemm_batched_kernelI19rocblas_complex_numIfELi16ELi16ELi64ELi64ELi4ELi64ELi4ELi4ELi64ELc67ELc78EKS2_S3_S2_EEvlllT_PT11_llS6_llS4_PT12_llPT13_lli
; %bb.0:
	s_clause 0x1
	s_load_dwordx16 s[12:27], s[4:5], 0x10
	s_load_dwordx2 s[10:11], s[4:5], 0x50
	s_mov_b32 s0, s7
	v_mov_b32_e32 v40, 0
	v_mov_b32_e32 v41, 0
	;; [unrolled: 1-line block ×17, first 2 shown]
	s_waitcnt lgkmcnt(0)
	v_cmp_lt_i64_e64 s2, s[12:13], 1
	v_mov_b32_e32 v25, 0
	v_mov_b32_e32 v22, 0
	;; [unrolled: 1-line block ×15, first 2 shown]
	s_ashr_i32 s7, s6, 31
	s_ashr_i32 s1, s0, 31
	s_lshl_b64 s[28:29], s[6:7], 6
	s_and_b32 vcc_lo, exec_lo, s2
	s_lshl_b64 s[30:31], s[0:1], 6
	s_cbranch_vccnz .LBB94_3
; %bb.1:
	v_lshl_add_u32 v2, v1, 4, v0
	v_and_b32_e32 v3, 3, v0
	s_mul_hi_u32 s1, s20, s8
	v_mov_b32_e32 v10, 0
	v_lshlrev_b32_e32 v44, 3, v0
	v_and_b32_e32 v4, 63, v2
	v_lshlrev_b32_e32 v6, 3, v3
	v_lshrrev_b32_e32 v5, 2, v2
	v_lshrrev_b32_e32 v8, 6, v2
	v_lshl_add_u32 v45, v1, 5, 0x800
	v_add_co_u32 v3, s0, s28, v4
	v_add_co_ci_u32_e64 v7, null, s29, 0, s0
	v_lshl_or_b32 v9, v5, 5, v6
	v_mul_lo_u32 v11, s19, v3
	v_mad_u64_u32 v[2:3], null, s18, v3, 0
	v_mul_lo_u32 v7, s18, v7
	v_add_co_u32 v5, s0, v5, s30
	v_lshlrev_b32_e32 v4, 3, v4
	v_add_co_ci_u32_e64 v12, null, 0, s31, s0
	v_add_nc_u32_e32 v43, 0x800, v9
	s_mul_i32 s0, s21, s8
	v_lshl_or_b32 v42, v8, 9, v4
	v_add3_u32 v3, v3, v7, v11
	v_mul_lo_u32 v7, s25, v5
	v_mul_lo_u32 v9, s24, v12
	v_mad_u64_u32 v[4:5], null, s24, v5, 0
	v_lshlrev_b64 v[2:3], 3, v[2:3]
	s_add_i32 s1, s1, s0
	s_mul_i32 s0, s20, s8
	v_lshlrev_b32_e32 v8, 3, v8
	s_lshl_b64 s[0:1], s[0:1], 3
	v_mov_b32_e32 v11, 0
	v_add3_u32 v5, v5, v9, v7
	v_add_co_u32 v7, vcc_lo, v2, s0
	v_add_co_ci_u32_e64 v9, null, s1, v3, vcc_lo
	s_mul_i32 s0, s27, s8
	s_mul_hi_u32 s1, s26, s8
	v_lshlrev_b64 v[2:3], 3, v[4:5]
	s_add_i32 s1, s1, s0
	s_mul_i32 s0, s26, s8
	v_add_co_u32 v4, vcc_lo, v7, v8
	s_lshl_b64 s[0:1], s[0:1], 3
	v_add_co_ci_u32_e64 v5, null, 0, v9, vcc_lo
	v_add_co_u32 v2, vcc_lo, v2, s0
	v_add_co_ci_u32_e64 v3, null, s1, v3, vcc_lo
	v_add_co_u32 v4, vcc_lo, s16, v4
	;; [unrolled: 2-line block ×5, first 2 shown]
	v_add_co_ci_u32_e64 v5, null, s23, v7, vcc_lo
	v_mov_b32_e32 v13, 0
	v_mov_b32_e32 v12, 0
	;; [unrolled: 1-line block ×30, first 2 shown]
	s_mov_b64 s[0:1], 0
.LBB94_2:                               ; =>This Inner Loop Header: Depth=1
	global_load_dwordx2 v[6:7], v[2:3], off offset:-4
	global_load_dwordx2 v[8:9], v[4:5], off
	s_add_u32 s0, s0, 4
	s_addc_u32 s1, s1, 0
	v_add_co_u32 v2, vcc_lo, v2, 32
	v_cmp_lt_i64_e64 s2, s[0:1], s[12:13]
	v_add_co_ci_u32_e64 v3, null, 0, v3, vcc_lo
	v_add_co_u32 v4, vcc_lo, v4, 32
	v_add_co_ci_u32_e64 v5, null, 0, v5, vcc_lo
	s_and_b32 vcc_lo, exec_lo, s2
	s_waitcnt vmcnt(1)
	v_xor_b32_e32 v7, 0x80000000, v7
	s_waitcnt vmcnt(0)
	ds_write_b64 v43, v[8:9]
	ds_write_b64 v42, v[6:7]
	s_waitcnt lgkmcnt(0)
	s_barrier
	buffer_gl0_inv
	ds_read_b128 v[6:9], v45
	ds_read2_b64 v[46:49], v44 offset1:16
	ds_read_b128 v[50:53], v45 offset:512
	ds_read_b128 v[54:57], v45 offset:16
	;; [unrolled: 1-line block ×7, first 2 shown]
	ds_read2_b64 v[78:81], v44 offset0:32 offset1:48
	ds_read2_b64 v[82:85], v44 offset0:64 offset1:80
	;; [unrolled: 1-line block ×7, first 2 shown]
	s_waitcnt lgkmcnt(0)
	s_barrier
	buffer_gl0_inv
	v_mul_f32_e32 v106, v7, v47
	v_mul_f32_e32 v107, v6, v47
	;; [unrolled: 1-line block ×64, first 2 shown]
	v_fma_f32 v106, v6, v46, -v106
	v_fmac_f32_e32 v107, v7, v46
	v_fma_f32 v108, v6, v48, -v108
	v_fmac_f32_e32 v109, v7, v48
	;; [unrolled: 2-line block ×16, first 2 shown]
	v_mul_f32_e32 v162, v55, v91
	v_mul_f32_e32 v163, v54, v91
	;; [unrolled: 1-line block ×28, first 2 shown]
	v_fma_f32 v124, v8, v82, -v134
	v_fmac_f32_e32 v135, v9, v82
	v_fma_f32 v126, v8, v84, -v136
	v_fmac_f32_e32 v137, v9, v84
	;; [unrolled: 2-line block ×4, first 2 shown]
	v_mul_f32_e32 v9, v75, v95
	v_mul_f32_e32 v95, v74, v95
	;; [unrolled: 1-line block ×4, first 2 shown]
	v_fma_f32 v132, v52, v82, -v142
	v_fmac_f32_e32 v143, v53, v82
	v_fma_f32 v133, v52, v84, -v144
	v_fmac_f32_e32 v145, v53, v84
	;; [unrolled: 2-line block ×4, first 2 shown]
	v_mul_f32_e32 v136, v56, v99
	v_mul_f32_e32 v140, v56, v101
	v_fma_f32 v142, v64, v82, -v150
	v_fmac_f32_e32 v151, v65, v82
	v_fma_f32 v144, v64, v84, -v152
	v_fmac_f32_e32 v153, v65, v84
	;; [unrolled: 2-line block ×4, first 2 shown]
	v_mul_f32_e32 v148, v56, v103
	v_mul_f32_e32 v152, v56, v105
	v_fma_f32 v154, v72, v82, -v158
	v_fmac_f32_e32 v83, v73, v82
	v_fma_f32 v82, v72, v84, -v159
	v_fmac_f32_e32 v85, v73, v84
	v_fma_f32 v160, v72, v86, -v160
	v_fmac_f32_e32 v87, v73, v86
	v_fma_f32 v72, v72, v88, -v161
	v_fmac_f32_e32 v89, v73, v88
	v_add_f32_e32 v40, v40, v106
	v_add_f32_e32 v41, v41, v107
	v_add_f32_e32 v38, v38, v108
	v_add_f32_e32 v39, v39, v109
	v_add_f32_e32 v36, v36, v120
	v_add_f32_e32 v37, v37, v121
	v_add_f32_e32 v6, v34, v6
	v_add_f32_e32 v34, v35, v123
	v_add_f32_e32 v32, v32, v110
	v_add_f32_e32 v33, v33, v111
	v_add_f32_e32 v30, v30, v112
	v_add_f32_e32 v31, v31, v113
	v_add_f32_e32 v7, v28, v7
	v_add_f32_e32 v28, v29, v125
	v_add_f32_e32 v26, v26, v50
	v_add_f32_e32 v27, v27, v127
	v_add_f32_e32 v24, v24, v114
	v_add_f32_e32 v25, v25, v115
	v_add_f32_e32 v22, v22, v116
	v_add_f32_e32 v23, v23, v117
	v_add_f32_e32 v20, v20, v51
	v_add_f32_e32 v21, v21, v129
	v_add_f32_e32 v18, v18, v62
	v_add_f32_e32 v19, v19, v131
	v_add_f32_e32 v16, v16, v118
	v_add_f32_e32 v17, v17, v47
	v_add_f32_e32 v14, v14, v46
	v_add_f32_e32 v15, v15, v49
	v_add_f32_e32 v12, v12, v63
	v_add_f32_e32 v13, v13, v79
	v_add_f32_e32 v11, v11, v70
	v_add_f32_e32 v10, v10, v81
	v_mul_f32_e32 v53, v57, v99
	v_mul_f32_e32 v138, v57, v101
	;; [unrolled: 1-line block ×16, first 2 shown]
	v_fma_f32 v162, v54, v90, -v162
	v_fmac_f32_e32 v163, v55, v90
	v_fma_f32 v164, v54, v92, -v164
	v_fmac_f32_e32 v165, v55, v92
	v_fma_f32 v166, v58, v90, -v166
	v_fmac_f32_e32 v167, v59, v90
	v_fma_f32 v168, v58, v92, -v168
	v_fmac_f32_e32 v169, v59, v92
	v_fma_f32 v170, v66, v90, -v170
	v_fmac_f32_e32 v171, v67, v90
	v_fma_f32 v172, v66, v92, -v172
	v_fmac_f32_e32 v173, v67, v92
	v_fma_f32 v174, v74, v90, -v174
	v_fmac_f32_e32 v91, v75, v90
	v_fma_f32 v90, v74, v92, -v175
	v_fmac_f32_e32 v93, v75, v92
	v_mul_f32_e32 v92, v69, v103
	v_mul_f32_e32 v175, v68, v103
	;; [unrolled: 1-line block ×4, first 2 shown]
	v_fma_f32 v176, v54, v94, -v176
	v_fmac_f32_e32 v177, v55, v94
	v_fma_f32 v54, v54, v96, -v178
	v_fmac_f32_e32 v179, v55, v96
	;; [unrolled: 2-line block ×8, first 2 shown]
	v_mul_f32_e32 v67, v77, v99
	v_mul_f32_e32 v71, v76, v99
	;; [unrolled: 1-line block ×4, first 2 shown]
	v_fmac_f32_e32 v136, v57, v98
	v_fmac_f32_e32 v140, v57, v100
	v_fmac_f32_e32 v148, v57, v102
	v_fmac_f32_e32 v152, v57, v104
	v_mul_f32_e32 v57, v77, v103
	v_mul_f32_e32 v94, v76, v103
	v_mul_f32_e32 v96, v77, v105
	v_mul_f32_e32 v99, v76, v105
	v_add_f32_e32 v29, v40, v124
	v_add_f32_e32 v35, v41, v135
	;; [unrolled: 1-line block ×32, first 2 shown]
	v_fma_f32 v53, v56, v98, -v53
	v_fma_f32 v80, v56, v100, -v138
	;; [unrolled: 1-line block ×5, first 2 shown]
	v_fmac_f32_e32 v156, v61, v98
	v_fma_f32 v101, v60, v100, -v158
	v_fmac_f32_e32 v159, v61, v100
	v_fma_f32 v73, v60, v102, -v73
	;; [unrolled: 2-line block ×11, first 2 shown]
	v_fmac_f32_e32 v99, v77, v104
	v_add_f32_e32 v29, v29, v162
	v_add_f32_e32 v34, v35, v163
	v_add_f32_e32 v35, v38, v164
	v_add_f32_e32 v39, v39, v165
	v_add_f32_e32 v36, v36, v176
	v_add_f32_e32 v37, v37, v177
	v_add_f32_e32 v6, v6, v54
	v_add_f32_e32 v8, v8, v179
	v_add_f32_e32 v32, v32, v166
	v_add_f32_e32 v33, v33, v167
	v_add_f32_e32 v30, v30, v168
	v_add_f32_e32 v31, v31, v169
	v_add_f32_e32 v7, v7, v48
	v_add_f32_e32 v46, v28, v119
	v_add_f32_e32 v26, v26, v55
	v_add_f32_e32 v27, v27, v181
	v_add_f32_e32 v24, v24, v170
	v_add_f32_e32 v25, v25, v171
	v_add_f32_e32 v22, v22, v172
	v_add_f32_e32 v23, v23, v173
	v_add_f32_e32 v20, v20, v58
	v_add_f32_e32 v21, v21, v78
	v_add_f32_e32 v18, v18, v59
	v_add_f32_e32 v19, v19, v122
	v_add_f32_e32 v16, v16, v174
	v_add_f32_e32 v17, v17, v91
	v_add_f32_e32 v14, v14, v90
	v_add_f32_e32 v15, v15, v93
	v_add_f32_e32 v9, v12, v9
	v_add_f32_e32 v13, v13, v95
	v_add_f32_e32 v11, v11, v66
	v_add_f32_e32 v10, v10, v97
	v_add_f32_e32 v40, v29, v53
	v_add_f32_e32 v41, v34, v136
	v_add_f32_e32 v38, v35, v80
	v_add_f32_e32 v39, v39, v140
	v_add_f32_e32 v36, v36, v65
	v_add_f32_e32 v37, v37, v148
	v_add_f32_e32 v34, v6, v56
	v_add_f32_e32 v35, v8, v152
	v_add_f32_e32 v32, v32, v84
	v_add_f32_e32 v33, v33, v156
	v_add_f32_e32 v30, v30, v101
	v_add_f32_e32 v31, v31, v159
	v_add_f32_e32 v28, v7, v73
	v_add_f32_e32 v29, v46, v86
	v_add_f32_e32 v26, v26, v60
	v_add_f32_e32 v27, v27, v161
	v_add_f32_e32 v24, v24, v61
	v_add_f32_e32 v25, v25, v183
	v_add_f32_e32 v22, v22, v88
	v_add_f32_e32 v23, v23, v185
	v_add_f32_e32 v20, v20, v92
	v_add_f32_e32 v21, v21, v175
	v_add_f32_e32 v18, v18, v68
	v_add_f32_e32 v19, v19, v187
	v_add_f32_e32 v16, v16, v67
	v_add_f32_e32 v17, v17, v71
	v_add_f32_e32 v14, v14, v69
	v_add_f32_e32 v15, v15, v75
	v_add_f32_e32 v12, v9, v57
	v_add_f32_e32 v13, v13, v94
	v_add_f32_e32 v11, v11, v74
	v_add_f32_e32 v10, v10, v99
	s_cbranch_vccnz .LBB94_2
.LBB94_3:
	s_clause 0x1
	s_load_dwordx4 s[16:19], s[4:5], 0x78
	s_load_dwordx8 s[0:7], s[4:5], 0x58
	s_waitcnt lgkmcnt(0)
	s_mul_i32 s9, s19, s8
	s_mul_hi_u32 s13, s18, s8
	s_mul_i32 s12, s18, s8
	s_add_i32 s13, s13, s9
	s_lshl_b64 s[12:13], s[12:13], 3
	s_add_u32 s9, s6, s12
	s_addc_u32 s12, s7, s13
	v_add_co_u32 v4, s7, s30, v1
	v_add_co_ci_u32_e64 v5, null, s31, 0, s7
	v_add_co_u32 v0, s7, s28, v0
	s_or_b32 s6, s10, s11
	v_add_co_ci_u32_e64 v1, null, s29, 0, s7
	s_bitset0_b32 s6, 31
	s_mov_b32 s13, 0
	s_cmp_lg_u32 s6, 0
	s_cbranch_scc1 .LBB94_5
; %bb.4:
	v_mul_lo_u32 v6, v5, s16
	v_mul_lo_u32 v8, v4, s17
	v_mad_u64_u32 v[2:3], null, v4, s16, 0
	v_mul_f32_e32 v42, s15, v41
	v_mul_f32_e32 v7, s14, v41
	;; [unrolled: 1-line block ×6, first 2 shown]
	v_add3_u32 v3, v3, v8, v6
	v_lshlrev_b64 v[8:9], 3, v[0:1]
	v_mul_f32_e32 v48, s15, v35
	v_mul_f32_e32 v47, s14, v35
	v_fma_f32 v6, v40, s14, -v42
	v_lshlrev_b64 v[2:3], 3, v[2:3]
	v_fmac_f32_e32 v7, s15, v40
	v_fma_f32 v42, v38, s14, -v44
	v_fmac_f32_e32 v43, s15, v38
	s_lshl_b64 s[6:7], s[16:17], 7
	v_fma_f32 v44, v36, s14, -v46
	v_add_co_u32 v49, vcc_lo, s9, v2
	v_add_co_ci_u32_e64 v50, null, s12, v3, vcc_lo
	v_fmac_f32_e32 v45, s15, v36
	v_add_co_u32 v2, vcc_lo, v49, v8
	v_add_co_ci_u32_e64 v3, null, v50, v9, vcc_lo
	v_fma_f32 v46, v34, s14, -v48
	v_fmac_f32_e32 v47, s15, v34
	v_add_co_u32 v48, vcc_lo, v49, s6
	global_store_dwordx2 v[2:3], v[6:7], off
	global_store_dwordx2 v[2:3], v[42:43], off offset:128
	global_store_dwordx2 v[2:3], v[44:45], off offset:256
	;; [unrolled: 1-line block ×3, first 2 shown]
	v_mul_f32_e32 v2, s15, v33
	v_mul_f32_e32 v3, s14, v33
	v_add_co_ci_u32_e64 v49, null, s7, v50, vcc_lo
	v_mul_f32_e32 v6, s15, v31
	v_mul_f32_e32 v7, s14, v31
	;; [unrolled: 1-line block ×4, first 2 shown]
	v_add_co_u32 v44, vcc_lo, v48, v8
	v_fma_f32 v2, v32, s14, -v2
	v_fmac_f32_e32 v3, s15, v32
	v_add_co_ci_u32_e64 v45, null, v49, v9, vcc_lo
	v_fma_f32 v6, v30, s14, -v6
	v_fmac_f32_e32 v7, s15, v30
	v_fma_f32 v42, v28, s14, -v42
	v_fmac_f32_e32 v43, s15, v28
	v_add_co_u32 v52, vcc_lo, v48, s6
	v_mul_f32_e32 v46, s15, v27
	v_mul_f32_e32 v47, s14, v27
	global_store_dwordx2 v[44:45], v[2:3], off
	global_store_dwordx2 v[44:45], v[6:7], off offset:128
	global_store_dwordx2 v[44:45], v[42:43], off offset:256
	v_mul_f32_e32 v2, s15, v25
	v_mul_f32_e32 v3, s14, v25
	v_add_co_ci_u32_e64 v53, null, s7, v49, vcc_lo
	v_mul_f32_e32 v42, s15, v23
	v_mul_f32_e32 v43, s14, v23
	;; [unrolled: 1-line block ×4, first 2 shown]
	v_add_co_u32 v6, vcc_lo, v52, v8
	v_mul_f32_e32 v50, s15, v19
	v_mul_f32_e32 v51, s14, v19
	v_fma_f32 v46, v26, s14, -v46
	v_fmac_f32_e32 v47, s15, v26
	v_fma_f32 v2, v24, s14, -v2
	v_fmac_f32_e32 v3, s15, v24
	v_add_co_ci_u32_e64 v7, null, v53, v9, vcc_lo
	v_fma_f32 v42, v22, s14, -v42
	v_fmac_f32_e32 v43, s15, v22
	v_fma_f32 v48, v20, s14, -v48
	v_fmac_f32_e32 v49, s15, v20
	;; [unrolled: 2-line block ×3, first 2 shown]
	global_store_dwordx2 v[44:45], v[46:47], off offset:384
	global_store_dwordx2 v[6:7], v[2:3], off
	global_store_dwordx2 v[6:7], v[42:43], off offset:128
	global_store_dwordx2 v[6:7], v[48:49], off offset:256
	;; [unrolled: 1-line block ×3, first 2 shown]
	v_mul_f32_e32 v2, s15, v17
	v_add_co_u32 v3, vcc_lo, v52, s6
	v_add_co_ci_u32_e64 v6, null, s7, v53, vcc_lo
	v_fma_f32 v42, v16, s14, -v2
	v_mul_f32_e32 v2, s15, v15
	v_add_co_u32 v7, vcc_lo, v3, v8
	v_mul_f32_e32 v43, s14, v17
	v_add_co_ci_u32_e64 v8, null, v6, v9, vcc_lo
	v_fma_f32 v44, v14, s14, -v2
	v_mul_f32_e32 v2, s15, v13
	v_mul_f32_e32 v3, s15, v10
	;; [unrolled: 1-line block ×5, first 2 shown]
	v_fma_f32 v46, v12, s14, -v2
	v_add_co_u32 v2, vcc_lo, 0x180, v7
	v_fmac_f32_e32 v43, s15, v16
	v_fma_f32 v9, v11, s14, -v3
	v_fmac_f32_e32 v6, s15, v11
	v_add_co_ci_u32_e64 v3, null, 0, v8, vcc_lo
	v_fmac_f32_e32 v45, s15, v14
	v_fmac_f32_e32 v47, s15, v12
	global_store_dwordx2 v[7:8], v[42:43], off
	global_store_dwordx2 v[7:8], v[44:45], off offset:128
	global_store_dwordx2 v[7:8], v[46:47], off offset:256
	global_store_dword v[7:8], v9, off offset:384
	s_andn2_b32 vcc_lo, exec_lo, s13
	s_cbranch_vccz .LBB94_6
	s_branch .LBB94_7
.LBB94_5:
                                        ; implicit-def: $vgpr6
                                        ; implicit-def: $vgpr2_vgpr3
.LBB94_6:
	v_mul_lo_u32 v6, v5, s2
	v_mul_lo_u32 v7, v4, s3
	v_mad_u64_u32 v[2:3], null, v4, s2, 0
	s_mul_i32 s5, s5, s8
	s_mul_hi_u32 s6, s4, s8
	s_mul_i32 s4, s4, s8
	s_add_i32 s5, s6, s5
	v_lshlrev_b64 v[0:1], 3, v[0:1]
	s_lshl_b64 s[4:5], s[4:5], 3
	v_add3_u32 v3, v3, v7, v6
	s_add_u32 s0, s0, s4
	s_addc_u32 s1, s1, s5
	v_mul_lo_u32 v42, v5, s16
	v_mul_lo_u32 v43, v4, s17
	v_lshlrev_b64 v[2:3], 3, v[2:3]
	v_mad_u64_u32 v[4:5], null, v4, s16, 0
	v_add_co_u32 v8, vcc_lo, s0, v2
	v_add_co_ci_u32_e64 v9, null, s1, v3, vcc_lo
	v_add3_u32 v5, v5, v43, v42
	v_add_co_u32 v2, vcc_lo, v8, v0
	v_add_co_ci_u32_e64 v3, null, v9, v1, vcc_lo
	v_mul_f32_e32 v42, s15, v41
	v_mul_f32_e32 v41, s14, v41
	v_lshlrev_b64 v[4:5], 3, v[4:5]
	global_load_dwordx2 v[6:7], v[2:3], off
	s_lshl_b64 s[0:1], s[2:3], 7
	v_fma_f32 v42, v40, s14, -v42
	v_fmac_f32_e32 v41, s15, v40
	s_lshl_b64 s[2:3], s[16:17], 7
	v_add_co_u32 v43, vcc_lo, s9, v4
	v_add_co_ci_u32_e64 v44, null, s12, v5, vcc_lo
	v_add_co_u32 v4, vcc_lo, v43, v0
	v_add_co_ci_u32_e64 v5, null, v44, v1, vcc_lo
	;; [unrolled: 2-line block ×3, first 2 shown]
	s_waitcnt vmcnt(0)
	v_mul_f32_e32 v40, s11, v7
	v_mul_f32_e32 v7, s10, v7
	v_fma_f32 v40, v6, s10, -v40
	v_fmac_f32_e32 v7, s11, v6
	v_add_f32_e32 v6, v42, v40
	v_add_f32_e32 v7, v41, v7
	v_mul_f32_e32 v40, s15, v39
	v_mul_f32_e32 v39, s14, v39
	global_store_dwordx2 v[4:5], v[6:7], off
	global_load_dwordx2 v[6:7], v[2:3], off offset:128
	v_fma_f32 v40, v38, s14, -v40
	v_fmac_f32_e32 v39, s15, v38
	s_waitcnt vmcnt(0)
	v_mul_f32_e32 v41, s11, v7
	v_mul_f32_e32 v7, s10, v7
	v_fma_f32 v38, v6, s10, -v41
	v_fmac_f32_e32 v7, s11, v6
	v_add_f32_e32 v6, v40, v38
	v_add_f32_e32 v7, v39, v7
	v_mul_f32_e32 v38, s15, v37
	v_mul_f32_e32 v37, s14, v37
	global_store_dwordx2 v[4:5], v[6:7], off offset:128
	global_load_dwordx2 v[6:7], v[2:3], off offset:256
	v_fma_f32 v38, v36, s14, -v38
	v_fmac_f32_e32 v37, s15, v36
	s_waitcnt vmcnt(0)
	v_mul_f32_e32 v39, s11, v7
	v_mul_f32_e32 v7, s10, v7
	v_fma_f32 v36, v6, s10, -v39
	v_fmac_f32_e32 v7, s11, v6
	v_add_f32_e32 v6, v38, v36
	v_add_f32_e32 v7, v37, v7
	global_store_dwordx2 v[4:5], v[6:7], off offset:256
	global_load_dwordx2 v[2:3], v[2:3], off offset:384
	v_mul_f32_e32 v6, s15, v35
	v_mul_f32_e32 v7, s14, v35
	v_fma_f32 v6, v34, s14, -v6
	v_fmac_f32_e32 v7, s15, v34
	s_waitcnt vmcnt(0)
	v_mul_f32_e32 v35, s11, v3
	v_mul_f32_e32 v3, s10, v3
	v_fma_f32 v34, v2, s10, -v35
	v_fmac_f32_e32 v3, s11, v2
	v_add_f32_e32 v2, v6, v34
	v_add_co_u32 v6, vcc_lo, v8, v0
	v_add_f32_e32 v3, v7, v3
	v_add_co_ci_u32_e64 v7, null, v9, v1, vcc_lo
	v_add_co_u32 v34, vcc_lo, v43, s2
	global_store_dwordx2 v[4:5], v[2:3], off offset:384
	global_load_dwordx2 v[2:3], v[6:7], off
	v_mul_f32_e32 v4, s15, v33
	v_mul_f32_e32 v5, s14, v33
	v_add_co_ci_u32_e64 v35, null, s3, v44, vcc_lo
	v_fma_f32 v4, v32, s14, -v4
	v_fmac_f32_e32 v5, s15, v32
	s_waitcnt vmcnt(0)
	v_mul_f32_e32 v32, s11, v3
	v_mul_f32_e32 v33, s10, v3
	v_fma_f32 v32, v2, s10, -v32
	v_fmac_f32_e32 v33, s11, v2
	v_add_co_u32 v2, vcc_lo, v34, v0
	v_add_co_ci_u32_e64 v3, null, v35, v1, vcc_lo
	v_add_f32_e32 v4, v4, v32
	v_add_f32_e32 v5, v5, v33
	v_mul_f32_e32 v32, s15, v31
	v_mul_f32_e32 v31, s14, v31
	v_add_co_u32 v8, vcc_lo, v8, s0
	global_store_dwordx2 v[2:3], v[4:5], off
	global_load_dwordx2 v[4:5], v[6:7], off offset:128
	v_fma_f32 v32, v30, s14, -v32
	v_fmac_f32_e32 v31, s15, v30
	v_add_co_ci_u32_e64 v9, null, s1, v9, vcc_lo
	s_waitcnt vmcnt(0)
	v_mul_f32_e32 v33, s11, v5
	v_mul_f32_e32 v5, s10, v5
	v_fma_f32 v30, v4, s10, -v33
	v_fmac_f32_e32 v5, s11, v4
	v_add_f32_e32 v4, v32, v30
	v_add_f32_e32 v5, v31, v5
	v_mul_f32_e32 v30, s15, v29
	v_mul_f32_e32 v29, s14, v29
	global_store_dwordx2 v[2:3], v[4:5], off offset:128
	global_load_dwordx2 v[4:5], v[6:7], off offset:256
	v_fma_f32 v30, v28, s14, -v30
	v_fmac_f32_e32 v29, s15, v28
	s_waitcnt vmcnt(0)
	v_mul_f32_e32 v31, s11, v5
	v_mul_f32_e32 v5, s10, v5
	v_fma_f32 v28, v4, s10, -v31
	v_fmac_f32_e32 v5, s11, v4
	v_add_f32_e32 v4, v30, v28
	v_add_f32_e32 v5, v29, v5
	global_store_dwordx2 v[2:3], v[4:5], off offset:256
	global_load_dwordx2 v[4:5], v[6:7], off offset:384
	v_mul_f32_e32 v6, s15, v27
	v_mul_f32_e32 v7, s14, v27
	v_fma_f32 v6, v26, s14, -v6
	v_fmac_f32_e32 v7, s15, v26
	s_waitcnt vmcnt(0)
	v_mul_f32_e32 v27, s11, v5
	v_mul_f32_e32 v5, s10, v5
	v_fma_f32 v26, v4, s10, -v27
	v_fmac_f32_e32 v5, s11, v4
	v_add_f32_e32 v4, v6, v26
	v_add_co_u32 v6, vcc_lo, v8, v0
	v_add_f32_e32 v5, v7, v5
	v_add_co_ci_u32_e64 v7, null, v9, v1, vcc_lo
	v_add_co_u32 v26, vcc_lo, v34, s2
	global_store_dwordx2 v[2:3], v[4:5], off offset:384
	global_load_dwordx2 v[2:3], v[6:7], off
	v_mul_f32_e32 v4, s15, v25
	v_mul_f32_e32 v5, s14, v25
	v_add_co_ci_u32_e64 v27, null, s3, v35, vcc_lo
	v_fma_f32 v4, v24, s14, -v4
	v_fmac_f32_e32 v5, s15, v24
	s_waitcnt vmcnt(0)
	v_mul_f32_e32 v24, s11, v3
	v_mul_f32_e32 v25, s10, v3
	v_fma_f32 v24, v2, s10, -v24
	v_fmac_f32_e32 v25, s11, v2
	v_add_co_u32 v2, vcc_lo, v26, v0
	v_add_co_ci_u32_e64 v3, null, v27, v1, vcc_lo
	v_add_f32_e32 v4, v4, v24
	v_add_f32_e32 v5, v5, v25
	v_mul_f32_e32 v24, s15, v23
	v_mul_f32_e32 v23, s14, v23
	v_add_co_u32 v8, vcc_lo, v8, s0
	global_store_dwordx2 v[2:3], v[4:5], off
	global_load_dwordx2 v[4:5], v[6:7], off offset:128
	v_fma_f32 v24, v22, s14, -v24
	v_fmac_f32_e32 v23, s15, v22
	v_add_co_ci_u32_e64 v9, null, s1, v9, vcc_lo
	s_waitcnt vmcnt(0)
	v_mul_f32_e32 v25, s11, v5
	v_mul_f32_e32 v5, s10, v5
	v_fma_f32 v22, v4, s10, -v25
	v_fmac_f32_e32 v5, s11, v4
	v_add_f32_e32 v4, v24, v22
	v_add_f32_e32 v5, v23, v5
	v_mul_f32_e32 v22, s15, v21
	v_mul_f32_e32 v21, s14, v21
	global_store_dwordx2 v[2:3], v[4:5], off offset:128
	global_load_dwordx2 v[4:5], v[6:7], off offset:256
	v_fma_f32 v22, v20, s14, -v22
	v_fmac_f32_e32 v21, s15, v20
	s_waitcnt vmcnt(0)
	v_mul_f32_e32 v23, s11, v5
	v_mul_f32_e32 v5, s10, v5
	v_fma_f32 v20, v4, s10, -v23
	v_fmac_f32_e32 v5, s11, v4
	v_add_f32_e32 v4, v22, v20
	v_add_f32_e32 v5, v21, v5
	global_store_dwordx2 v[2:3], v[4:5], off offset:256
	global_load_dwordx2 v[4:5], v[6:7], off offset:384
	v_mul_f32_e32 v6, s15, v19
	v_mul_f32_e32 v7, s14, v19
	v_fma_f32 v6, v18, s14, -v6
	v_fmac_f32_e32 v7, s15, v18
	s_waitcnt vmcnt(0)
	v_mul_f32_e32 v19, s11, v5
	v_mul_f32_e32 v5, s10, v5
	v_fma_f32 v18, v4, s10, -v19
	v_fmac_f32_e32 v5, s11, v4
	v_add_f32_e32 v4, v6, v18
	v_add_co_u32 v6, vcc_lo, v8, v0
	v_add_f32_e32 v5, v7, v5
	v_add_co_ci_u32_e64 v7, null, v9, v1, vcc_lo
	v_add_co_u32 v9, vcc_lo, v26, s2
	global_store_dwordx2 v[2:3], v[4:5], off offset:384
	global_load_dwordx2 v[2:3], v[6:7], off
	v_mul_f32_e32 v4, s15, v17
	v_mul_f32_e32 v5, s14, v17
	v_fma_f32 v4, v16, s14, -v4
	v_fmac_f32_e32 v5, s15, v16
	v_add_co_ci_u32_e64 v16, null, s3, v27, vcc_lo
	v_add_co_u32 v0, vcc_lo, v9, v0
	v_add_co_ci_u32_e64 v1, null, v16, v1, vcc_lo
	s_waitcnt vmcnt(0)
	v_mul_f32_e32 v8, s11, v3
	v_mul_f32_e32 v3, s10, v3
	v_fma_f32 v8, v2, s10, -v8
	v_fmac_f32_e32 v3, s11, v2
	v_add_f32_e32 v2, v4, v8
	v_add_f32_e32 v3, v5, v3
	v_mul_f32_e32 v4, s15, v15
	v_mul_f32_e32 v5, s14, v15
	global_store_dwordx2 v[0:1], v[2:3], off
	global_load_dwordx2 v[2:3], v[6:7], off offset:128
	v_fma_f32 v4, v14, s14, -v4
	v_fmac_f32_e32 v5, s15, v14
	s_waitcnt vmcnt(0)
	v_mul_f32_e32 v8, s11, v3
	v_mul_f32_e32 v3, s10, v3
	v_fma_f32 v8, v2, s10, -v8
	v_fmac_f32_e32 v3, s11, v2
	v_add_f32_e32 v2, v4, v8
	v_add_f32_e32 v3, v5, v3
	v_mul_f32_e32 v4, s15, v13
	v_mul_f32_e32 v5, s14, v13
	global_store_dwordx2 v[0:1], v[2:3], off offset:128
	global_load_dwordx2 v[2:3], v[6:7], off offset:256
	v_fma_f32 v4, v12, s14, -v4
	v_fmac_f32_e32 v5, s15, v12
	s_waitcnt vmcnt(0)
	v_mul_f32_e32 v8, s11, v3
	v_mul_f32_e32 v3, s10, v3
	v_fma_f32 v8, v2, s10, -v8
	v_fmac_f32_e32 v3, s11, v2
	v_add_f32_e32 v2, v4, v8
	v_add_f32_e32 v3, v5, v3
	v_mul_f32_e32 v4, s15, v10
	v_mul_f32_e32 v5, s14, v10
	global_store_dwordx2 v[0:1], v[2:3], off offset:256
	global_load_dwordx2 v[2:3], v[6:7], off offset:384
	v_fma_f32 v4, v11, s14, -v4
	v_fmac_f32_e32 v5, s15, v11
	s_waitcnt vmcnt(0)
	v_mul_f32_e32 v6, s11, v3
	v_mul_f32_e32 v3, s10, v3
	v_fma_f32 v6, v2, s10, -v6
	v_fmac_f32_e32 v3, s11, v2
	v_add_co_u32 v2, vcc_lo, 0x180, v0
	v_add_f32_e32 v4, v4, v6
	v_add_f32_e32 v6, v5, v3
	v_add_co_ci_u32_e64 v3, null, 0, v1, vcc_lo
	global_store_dword v[0:1], v4, off offset:384
.LBB94_7:
	global_store_dword v[2:3], v6, off offset:4
	s_endpgm
	.section	.rodata,"a",@progbits
	.p2align	6, 0x0
	.amdhsa_kernel _ZN12_GLOBAL__N_127rocblas_gemm_batched_kernelI19rocblas_complex_numIfELi16ELi16ELi64ELi64ELi4ELi64ELi4ELi4ELi64ELc67ELc78EKS2_S3_S2_EEvlllT_PT11_llS6_llS4_PT12_llPT13_lli
		.amdhsa_group_segment_fixed_size 4096
		.amdhsa_private_segment_fixed_size 0
		.amdhsa_kernarg_size 140
		.amdhsa_user_sgpr_count 6
		.amdhsa_user_sgpr_private_segment_buffer 1
		.amdhsa_user_sgpr_dispatch_ptr 0
		.amdhsa_user_sgpr_queue_ptr 0
		.amdhsa_user_sgpr_kernarg_segment_ptr 1
		.amdhsa_user_sgpr_dispatch_id 0
		.amdhsa_user_sgpr_flat_scratch_init 0
		.amdhsa_user_sgpr_private_segment_size 0
		.amdhsa_wavefront_size32 1
		.amdhsa_uses_dynamic_stack 0
		.amdhsa_system_sgpr_private_segment_wavefront_offset 0
		.amdhsa_system_sgpr_workgroup_id_x 1
		.amdhsa_system_sgpr_workgroup_id_y 1
		.amdhsa_system_sgpr_workgroup_id_z 1
		.amdhsa_system_sgpr_workgroup_info 0
		.amdhsa_system_vgpr_workitem_id 1
		.amdhsa_next_free_vgpr 188
		.amdhsa_next_free_sgpr 32
		.amdhsa_reserve_vcc 1
		.amdhsa_reserve_flat_scratch 0
		.amdhsa_float_round_mode_32 0
		.amdhsa_float_round_mode_16_64 0
		.amdhsa_float_denorm_mode_32 3
		.amdhsa_float_denorm_mode_16_64 3
		.amdhsa_dx10_clamp 1
		.amdhsa_ieee_mode 1
		.amdhsa_fp16_overflow 0
		.amdhsa_workgroup_processor_mode 1
		.amdhsa_memory_ordered 1
		.amdhsa_forward_progress 1
		.amdhsa_shared_vgpr_count 0
		.amdhsa_exception_fp_ieee_invalid_op 0
		.amdhsa_exception_fp_denorm_src 0
		.amdhsa_exception_fp_ieee_div_zero 0
		.amdhsa_exception_fp_ieee_overflow 0
		.amdhsa_exception_fp_ieee_underflow 0
		.amdhsa_exception_fp_ieee_inexact 0
		.amdhsa_exception_int_div_zero 0
	.end_amdhsa_kernel
	.section	.text._ZN12_GLOBAL__N_127rocblas_gemm_batched_kernelI19rocblas_complex_numIfELi16ELi16ELi64ELi64ELi4ELi64ELi4ELi4ELi64ELc67ELc78EKS2_S3_S2_EEvlllT_PT11_llS6_llS4_PT12_llPT13_lli,"axG",@progbits,_ZN12_GLOBAL__N_127rocblas_gemm_batched_kernelI19rocblas_complex_numIfELi16ELi16ELi64ELi64ELi4ELi64ELi4ELi4ELi64ELc67ELc78EKS2_S3_S2_EEvlllT_PT11_llS6_llS4_PT12_llPT13_lli,comdat
.Lfunc_end94:
	.size	_ZN12_GLOBAL__N_127rocblas_gemm_batched_kernelI19rocblas_complex_numIfELi16ELi16ELi64ELi64ELi4ELi64ELi4ELi4ELi64ELc67ELc78EKS2_S3_S2_EEvlllT_PT11_llS6_llS4_PT12_llPT13_lli, .Lfunc_end94-_ZN12_GLOBAL__N_127rocblas_gemm_batched_kernelI19rocblas_complex_numIfELi16ELi16ELi64ELi64ELi4ELi64ELi4ELi4ELi64ELc67ELc78EKS2_S3_S2_EEvlllT_PT11_llS6_llS4_PT12_llPT13_lli
                                        ; -- End function
	.set _ZN12_GLOBAL__N_127rocblas_gemm_batched_kernelI19rocblas_complex_numIfELi16ELi16ELi64ELi64ELi4ELi64ELi4ELi4ELi64ELc67ELc78EKS2_S3_S2_EEvlllT_PT11_llS6_llS4_PT12_llPT13_lli.num_vgpr, 188
	.set _ZN12_GLOBAL__N_127rocblas_gemm_batched_kernelI19rocblas_complex_numIfELi16ELi16ELi64ELi64ELi4ELi64ELi4ELi4ELi64ELc67ELc78EKS2_S3_S2_EEvlllT_PT11_llS6_llS4_PT12_llPT13_lli.num_agpr, 0
	.set _ZN12_GLOBAL__N_127rocblas_gemm_batched_kernelI19rocblas_complex_numIfELi16ELi16ELi64ELi64ELi4ELi64ELi4ELi4ELi64ELc67ELc78EKS2_S3_S2_EEvlllT_PT11_llS6_llS4_PT12_llPT13_lli.numbered_sgpr, 32
	.set _ZN12_GLOBAL__N_127rocblas_gemm_batched_kernelI19rocblas_complex_numIfELi16ELi16ELi64ELi64ELi4ELi64ELi4ELi4ELi64ELc67ELc78EKS2_S3_S2_EEvlllT_PT11_llS6_llS4_PT12_llPT13_lli.num_named_barrier, 0
	.set _ZN12_GLOBAL__N_127rocblas_gemm_batched_kernelI19rocblas_complex_numIfELi16ELi16ELi64ELi64ELi4ELi64ELi4ELi4ELi64ELc67ELc78EKS2_S3_S2_EEvlllT_PT11_llS6_llS4_PT12_llPT13_lli.private_seg_size, 0
	.set _ZN12_GLOBAL__N_127rocblas_gemm_batched_kernelI19rocblas_complex_numIfELi16ELi16ELi64ELi64ELi4ELi64ELi4ELi4ELi64ELc67ELc78EKS2_S3_S2_EEvlllT_PT11_llS6_llS4_PT12_llPT13_lli.uses_vcc, 1
	.set _ZN12_GLOBAL__N_127rocblas_gemm_batched_kernelI19rocblas_complex_numIfELi16ELi16ELi64ELi64ELi4ELi64ELi4ELi4ELi64ELc67ELc78EKS2_S3_S2_EEvlllT_PT11_llS6_llS4_PT12_llPT13_lli.uses_flat_scratch, 0
	.set _ZN12_GLOBAL__N_127rocblas_gemm_batched_kernelI19rocblas_complex_numIfELi16ELi16ELi64ELi64ELi4ELi64ELi4ELi4ELi64ELc67ELc78EKS2_S3_S2_EEvlllT_PT11_llS6_llS4_PT12_llPT13_lli.has_dyn_sized_stack, 0
	.set _ZN12_GLOBAL__N_127rocblas_gemm_batched_kernelI19rocblas_complex_numIfELi16ELi16ELi64ELi64ELi4ELi64ELi4ELi4ELi64ELc67ELc78EKS2_S3_S2_EEvlllT_PT11_llS6_llS4_PT12_llPT13_lli.has_recursion, 0
	.set _ZN12_GLOBAL__N_127rocblas_gemm_batched_kernelI19rocblas_complex_numIfELi16ELi16ELi64ELi64ELi4ELi64ELi4ELi4ELi64ELc67ELc78EKS2_S3_S2_EEvlllT_PT11_llS6_llS4_PT12_llPT13_lli.has_indirect_call, 0
	.section	.AMDGPU.csdata,"",@progbits
; Kernel info:
; codeLenInByte = 4980
; TotalNumSgprs: 34
; NumVgprs: 188
; ScratchSize: 0
; MemoryBound: 0
; FloatMode: 240
; IeeeMode: 1
; LDSByteSize: 4096 bytes/workgroup (compile time only)
; SGPRBlocks: 0
; VGPRBlocks: 23
; NumSGPRsForWavesPerEU: 34
; NumVGPRsForWavesPerEU: 188
; Occupancy: 5
; WaveLimiterHint : 1
; COMPUTE_PGM_RSRC2:SCRATCH_EN: 0
; COMPUTE_PGM_RSRC2:USER_SGPR: 6
; COMPUTE_PGM_RSRC2:TRAP_HANDLER: 0
; COMPUTE_PGM_RSRC2:TGID_X_EN: 1
; COMPUTE_PGM_RSRC2:TGID_Y_EN: 1
; COMPUTE_PGM_RSRC2:TGID_Z_EN: 1
; COMPUTE_PGM_RSRC2:TIDIG_COMP_CNT: 1
	.section	.text._ZN12_GLOBAL__N_127rocblas_gemm_batched_kernelI19rocblas_complex_numIfELi16ELi16ELi64ELi64ELi4ELi64ELi4ELi4ELi64ELc67ELc84EKS2_S3_S2_EEvlllT_PT11_llS6_llS4_PT12_llPT13_lli,"axG",@progbits,_ZN12_GLOBAL__N_127rocblas_gemm_batched_kernelI19rocblas_complex_numIfELi16ELi16ELi64ELi64ELi4ELi64ELi4ELi4ELi64ELc67ELc84EKS2_S3_S2_EEvlllT_PT11_llS6_llS4_PT12_llPT13_lli,comdat
	.globl	_ZN12_GLOBAL__N_127rocblas_gemm_batched_kernelI19rocblas_complex_numIfELi16ELi16ELi64ELi64ELi4ELi64ELi4ELi4ELi64ELc67ELc84EKS2_S3_S2_EEvlllT_PT11_llS6_llS4_PT12_llPT13_lli ; -- Begin function _ZN12_GLOBAL__N_127rocblas_gemm_batched_kernelI19rocblas_complex_numIfELi16ELi16ELi64ELi64ELi4ELi64ELi4ELi4ELi64ELc67ELc84EKS2_S3_S2_EEvlllT_PT11_llS6_llS4_PT12_llPT13_lli
	.p2align	8
	.type	_ZN12_GLOBAL__N_127rocblas_gemm_batched_kernelI19rocblas_complex_numIfELi16ELi16ELi64ELi64ELi4ELi64ELi4ELi4ELi64ELc67ELc84EKS2_S3_S2_EEvlllT_PT11_llS6_llS4_PT12_llPT13_lli,@function
_ZN12_GLOBAL__N_127rocblas_gemm_batched_kernelI19rocblas_complex_numIfELi16ELi16ELi64ELi64ELi4ELi64ELi4ELi4ELi64ELc67ELc84EKS2_S3_S2_EEvlllT_PT11_llS6_llS4_PT12_llPT13_lli: ; @_ZN12_GLOBAL__N_127rocblas_gemm_batched_kernelI19rocblas_complex_numIfELi16ELi16ELi64ELi64ELi4ELi64ELi4ELi4ELi64ELc67ELc84EKS2_S3_S2_EEvlllT_PT11_llS6_llS4_PT12_llPT13_lli
; %bb.0:
	s_clause 0x1
	s_load_dwordx16 s[12:27], s[4:5], 0x10
	s_load_dwordx2 s[10:11], s[4:5], 0x50
	s_mov_b32 s0, s7
	v_mov_b32_e32 v40, 0
	v_mov_b32_e32 v41, 0
	;; [unrolled: 1-line block ×17, first 2 shown]
	s_waitcnt lgkmcnt(0)
	v_cmp_lt_i64_e64 s2, s[12:13], 1
	v_mov_b32_e32 v25, 0
	v_mov_b32_e32 v22, 0
	;; [unrolled: 1-line block ×15, first 2 shown]
	s_ashr_i32 s7, s6, 31
	s_ashr_i32 s1, s0, 31
	s_lshl_b64 s[28:29], s[6:7], 6
	s_and_b32 vcc_lo, exec_lo, s2
	s_lshl_b64 s[30:31], s[0:1], 6
	s_cbranch_vccnz .LBB95_3
; %bb.1:
	v_lshl_add_u32 v6, v1, 4, v0
	v_and_b32_e32 v7, 3, v0
	s_mul_i32 s1, s21, s8
	s_mul_hi_u32 s2, s20, s8
	v_mov_b32_e32 v10, 0
	v_lshrrev_b32_e32 v8, 2, v6
	v_and_b32_e32 v9, 63, v6
	v_lshlrev_b32_e32 v14, 3, v7
	v_lshrrev_b32_e32 v13, 6, v6
	s_add_i32 s1, s2, s1
	v_add_co_u32 v2, s0, v8, s30
	v_add_co_ci_u32_e64 v3, null, 0, s31, s0
	v_add_co_u32 v4, s0, s28, v9
	v_add_co_ci_u32_e64 v5, null, s29, 0, s0
	v_mad_u64_u32 v[2:3], null, s24, v7, v[2:3]
	v_mul_lo_u32 v11, s19, v4
	v_mul_lo_u32 v12, s18, v5
	v_mad_u64_u32 v[4:5], null, s18, v4, 0
	s_mul_i32 s0, s20, s8
	v_lshlrev_b32_e32 v9, 3, v9
	s_lshl_b64 s[0:1], s[0:1], 3
	v_lshlrev_b32_e32 v42, 3, v0
	v_lshl_add_u32 v43, v1, 5, 0x800
	v_mov_b32_e32 v15, 0
	v_add3_u32 v5, v5, v12, v11
	v_mad_u64_u32 v[6:7], null, s25, v7, v[3:4]
	v_lshl_or_b32 v3, v8, 5, v14
	v_lshl_or_b32 v44, v13, 9, v9
	v_lshlrev_b64 v[4:5], 3, v[4:5]
	v_mov_b32_e32 v11, 0
	v_mov_b32_e32 v12, 0
	v_add_nc_u32_e32 v45, 0x800, v3
	v_mov_b32_e32 v3, v6
	v_lshlrev_b32_e32 v6, 3, v13
	v_add_co_u32 v4, vcc_lo, v4, s0
	v_add_co_ci_u32_e64 v5, null, s1, v5, vcc_lo
	s_mul_i32 s0, s27, s8
	v_add_co_u32 v4, vcc_lo, v4, v6
	v_add_co_ci_u32_e64 v5, null, 0, v5, vcc_lo
	s_mul_hi_u32 s1, s26, s8
	v_add_co_u32 v6, vcc_lo, s16, v4
	s_add_i32 s1, s1, s0
	s_mul_i32 s0, s26, s8
	v_add_co_ci_u32_e64 v7, null, s17, v5, vcc_lo
	v_lshlrev_b64 v[4:5], 3, v[2:3]
	s_lshl_b64 s[0:1], s[0:1], 3
	v_add_co_u32 v2, vcc_lo, v6, 4
	s_add_u32 s0, s22, s0
	v_add_co_ci_u32_e64 v3, null, 0, v7, vcc_lo
	s_addc_u32 s1, s23, s1
	v_add_co_u32 v4, vcc_lo, s0, v4
	v_add_co_ci_u32_e64 v5, null, s1, v5, vcc_lo
	v_mov_b32_e32 v13, 0
	v_mov_b32_e32 v14, 0
	;; [unrolled: 1-line block ×28, first 2 shown]
	s_lshl_b64 s[0:1], s[24:25], 5
	s_mov_b64 s[2:3], 0
.LBB95_2:                               ; =>This Inner Loop Header: Depth=1
	global_load_dwordx2 v[6:7], v[2:3], off offset:-4
	global_load_dwordx2 v[8:9], v[4:5], off
	s_add_u32 s2, s2, 4
	s_addc_u32 s3, s3, 0
	v_add_co_u32 v2, vcc_lo, v2, 32
	v_cmp_lt_i64_e64 s6, s[2:3], s[12:13]
	v_add_co_ci_u32_e64 v3, null, 0, v3, vcc_lo
	v_add_co_u32 v4, vcc_lo, v4, s0
	v_add_co_ci_u32_e64 v5, null, s1, v5, vcc_lo
	s_and_b32 vcc_lo, exec_lo, s6
	s_waitcnt vmcnt(1)
	v_xor_b32_e32 v7, 0x80000000, v7
	s_waitcnt vmcnt(0)
	ds_write_b64 v45, v[8:9]
	ds_write_b64 v44, v[6:7]
	s_waitcnt lgkmcnt(0)
	s_barrier
	buffer_gl0_inv
	ds_read_b128 v[6:9], v43
	ds_read2_b64 v[46:49], v42 offset1:16
	ds_read_b128 v[50:53], v43 offset:512
	ds_read_b128 v[54:57], v43 offset:16
	;; [unrolled: 1-line block ×7, first 2 shown]
	ds_read2_b64 v[78:81], v42 offset0:32 offset1:48
	ds_read2_b64 v[82:85], v42 offset0:64 offset1:80
	;; [unrolled: 1-line block ×7, first 2 shown]
	s_waitcnt lgkmcnt(0)
	s_barrier
	buffer_gl0_inv
	v_mul_f32_e32 v106, v7, v47
	v_mul_f32_e32 v107, v6, v47
	;; [unrolled: 1-line block ×64, first 2 shown]
	v_fma_f32 v106, v6, v46, -v106
	v_fmac_f32_e32 v107, v7, v46
	v_fma_f32 v108, v6, v48, -v108
	v_fmac_f32_e32 v109, v7, v48
	;; [unrolled: 2-line block ×16, first 2 shown]
	v_mul_f32_e32 v162, v55, v91
	v_mul_f32_e32 v163, v54, v91
	;; [unrolled: 1-line block ×28, first 2 shown]
	v_fma_f32 v124, v8, v82, -v134
	v_fmac_f32_e32 v135, v9, v82
	v_fma_f32 v126, v8, v84, -v136
	v_fmac_f32_e32 v137, v9, v84
	;; [unrolled: 2-line block ×4, first 2 shown]
	v_mul_f32_e32 v9, v75, v95
	v_mul_f32_e32 v95, v74, v95
	;; [unrolled: 1-line block ×4, first 2 shown]
	v_fma_f32 v132, v52, v82, -v142
	v_fmac_f32_e32 v143, v53, v82
	v_fma_f32 v133, v52, v84, -v144
	v_fmac_f32_e32 v145, v53, v84
	;; [unrolled: 2-line block ×4, first 2 shown]
	v_mul_f32_e32 v136, v56, v99
	v_mul_f32_e32 v140, v56, v101
	v_fma_f32 v142, v64, v82, -v150
	v_fmac_f32_e32 v151, v65, v82
	v_fma_f32 v144, v64, v84, -v152
	v_fmac_f32_e32 v153, v65, v84
	;; [unrolled: 2-line block ×4, first 2 shown]
	v_mul_f32_e32 v148, v56, v103
	v_mul_f32_e32 v152, v56, v105
	v_fma_f32 v154, v72, v82, -v158
	v_fmac_f32_e32 v83, v73, v82
	v_fma_f32 v82, v72, v84, -v159
	v_fmac_f32_e32 v85, v73, v84
	;; [unrolled: 2-line block ×4, first 2 shown]
	v_add_f32_e32 v40, v40, v106
	v_add_f32_e32 v41, v41, v107
	;; [unrolled: 1-line block ×32, first 2 shown]
	v_mul_f32_e32 v53, v57, v99
	v_mul_f32_e32 v138, v57, v101
	;; [unrolled: 1-line block ×16, first 2 shown]
	v_fma_f32 v162, v54, v90, -v162
	v_fmac_f32_e32 v163, v55, v90
	v_fma_f32 v164, v54, v92, -v164
	v_fmac_f32_e32 v165, v55, v92
	;; [unrolled: 2-line block ×8, first 2 shown]
	v_mul_f32_e32 v92, v69, v103
	v_mul_f32_e32 v175, v68, v103
	;; [unrolled: 1-line block ×4, first 2 shown]
	v_fma_f32 v176, v54, v94, -v176
	v_fmac_f32_e32 v177, v55, v94
	v_fma_f32 v54, v54, v96, -v178
	v_fmac_f32_e32 v179, v55, v96
	;; [unrolled: 2-line block ×8, first 2 shown]
	v_mul_f32_e32 v67, v77, v99
	v_mul_f32_e32 v71, v76, v99
	;; [unrolled: 1-line block ×4, first 2 shown]
	v_fmac_f32_e32 v136, v57, v98
	v_fmac_f32_e32 v140, v57, v100
	;; [unrolled: 1-line block ×4, first 2 shown]
	v_mul_f32_e32 v57, v77, v103
	v_mul_f32_e32 v94, v76, v103
	;; [unrolled: 1-line block ×4, first 2 shown]
	v_add_f32_e32 v29, v40, v124
	v_add_f32_e32 v35, v41, v135
	;; [unrolled: 1-line block ×32, first 2 shown]
	v_fma_f32 v53, v56, v98, -v53
	v_fma_f32 v80, v56, v100, -v138
	;; [unrolled: 1-line block ×5, first 2 shown]
	v_fmac_f32_e32 v156, v61, v98
	v_fma_f32 v101, v60, v100, -v158
	v_fmac_f32_e32 v159, v61, v100
	v_fma_f32 v73, v60, v102, -v73
	;; [unrolled: 2-line block ×11, first 2 shown]
	v_fmac_f32_e32 v99, v77, v104
	v_add_f32_e32 v29, v29, v162
	v_add_f32_e32 v34, v35, v163
	;; [unrolled: 1-line block ×64, first 2 shown]
	s_cbranch_vccnz .LBB95_2
.LBB95_3:
	s_clause 0x1
	s_load_dwordx4 s[16:19], s[4:5], 0x78
	s_load_dwordx8 s[0:7], s[4:5], 0x58
	s_waitcnt lgkmcnt(0)
	s_mul_i32 s9, s19, s8
	s_mul_hi_u32 s13, s18, s8
	s_mul_i32 s12, s18, s8
	s_add_i32 s13, s13, s9
	s_lshl_b64 s[12:13], s[12:13], 3
	s_add_u32 s9, s6, s12
	s_addc_u32 s12, s7, s13
	v_add_co_u32 v4, s7, s30, v1
	v_add_co_ci_u32_e64 v5, null, s31, 0, s7
	v_add_co_u32 v0, s7, s28, v0
	s_or_b32 s6, s10, s11
	v_add_co_ci_u32_e64 v1, null, s29, 0, s7
	s_bitset0_b32 s6, 31
	s_mov_b32 s13, 0
	s_cmp_lg_u32 s6, 0
	s_cbranch_scc1 .LBB95_5
; %bb.4:
	v_mul_lo_u32 v6, v5, s16
	v_mul_lo_u32 v8, v4, s17
	v_mad_u64_u32 v[2:3], null, v4, s16, 0
	v_mul_f32_e32 v42, s15, v41
	v_mul_f32_e32 v7, s14, v41
	;; [unrolled: 1-line block ×6, first 2 shown]
	v_add3_u32 v3, v3, v8, v6
	v_lshlrev_b64 v[8:9], 3, v[0:1]
	v_mul_f32_e32 v48, s15, v35
	v_mul_f32_e32 v47, s14, v35
	v_fma_f32 v6, v40, s14, -v42
	v_lshlrev_b64 v[2:3], 3, v[2:3]
	v_fmac_f32_e32 v7, s15, v40
	v_fma_f32 v42, v38, s14, -v44
	v_fmac_f32_e32 v43, s15, v38
	s_lshl_b64 s[6:7], s[16:17], 7
	v_fma_f32 v44, v36, s14, -v46
	v_add_co_u32 v49, vcc_lo, s9, v2
	v_add_co_ci_u32_e64 v50, null, s12, v3, vcc_lo
	v_fmac_f32_e32 v45, s15, v36
	v_add_co_u32 v2, vcc_lo, v49, v8
	v_add_co_ci_u32_e64 v3, null, v50, v9, vcc_lo
	v_fma_f32 v46, v34, s14, -v48
	v_fmac_f32_e32 v47, s15, v34
	v_add_co_u32 v48, vcc_lo, v49, s6
	global_store_dwordx2 v[2:3], v[6:7], off
	global_store_dwordx2 v[2:3], v[42:43], off offset:128
	global_store_dwordx2 v[2:3], v[44:45], off offset:256
	;; [unrolled: 1-line block ×3, first 2 shown]
	v_mul_f32_e32 v2, s15, v33
	v_mul_f32_e32 v3, s14, v33
	v_add_co_ci_u32_e64 v49, null, s7, v50, vcc_lo
	v_mul_f32_e32 v6, s15, v31
	v_mul_f32_e32 v7, s14, v31
	;; [unrolled: 1-line block ×4, first 2 shown]
	v_add_co_u32 v44, vcc_lo, v48, v8
	v_fma_f32 v2, v32, s14, -v2
	v_fmac_f32_e32 v3, s15, v32
	v_add_co_ci_u32_e64 v45, null, v49, v9, vcc_lo
	v_fma_f32 v6, v30, s14, -v6
	v_fmac_f32_e32 v7, s15, v30
	v_fma_f32 v42, v28, s14, -v42
	v_fmac_f32_e32 v43, s15, v28
	v_add_co_u32 v52, vcc_lo, v48, s6
	v_mul_f32_e32 v46, s15, v27
	v_mul_f32_e32 v47, s14, v27
	global_store_dwordx2 v[44:45], v[2:3], off
	global_store_dwordx2 v[44:45], v[6:7], off offset:128
	global_store_dwordx2 v[44:45], v[42:43], off offset:256
	v_mul_f32_e32 v2, s15, v25
	v_mul_f32_e32 v3, s14, v25
	v_add_co_ci_u32_e64 v53, null, s7, v49, vcc_lo
	v_mul_f32_e32 v42, s15, v23
	v_mul_f32_e32 v43, s14, v23
	;; [unrolled: 1-line block ×4, first 2 shown]
	v_add_co_u32 v6, vcc_lo, v52, v8
	v_mul_f32_e32 v50, s15, v19
	v_mul_f32_e32 v51, s14, v19
	v_fma_f32 v46, v26, s14, -v46
	v_fmac_f32_e32 v47, s15, v26
	v_fma_f32 v2, v24, s14, -v2
	v_fmac_f32_e32 v3, s15, v24
	v_add_co_ci_u32_e64 v7, null, v53, v9, vcc_lo
	v_fma_f32 v42, v22, s14, -v42
	v_fmac_f32_e32 v43, s15, v22
	v_fma_f32 v48, v20, s14, -v48
	v_fmac_f32_e32 v49, s15, v20
	v_fma_f32 v50, v18, s14, -v50
	v_fmac_f32_e32 v51, s15, v18
	global_store_dwordx2 v[44:45], v[46:47], off offset:384
	global_store_dwordx2 v[6:7], v[2:3], off
	global_store_dwordx2 v[6:7], v[42:43], off offset:128
	global_store_dwordx2 v[6:7], v[48:49], off offset:256
	;; [unrolled: 1-line block ×3, first 2 shown]
	v_mul_f32_e32 v2, s15, v17
	v_add_co_u32 v3, vcc_lo, v52, s6
	v_add_co_ci_u32_e64 v6, null, s7, v53, vcc_lo
	v_fma_f32 v42, v16, s14, -v2
	v_mul_f32_e32 v2, s15, v15
	v_add_co_u32 v7, vcc_lo, v3, v8
	v_mul_f32_e32 v43, s14, v17
	v_add_co_ci_u32_e64 v8, null, v6, v9, vcc_lo
	v_fma_f32 v44, v14, s14, -v2
	v_mul_f32_e32 v2, s15, v13
	v_mul_f32_e32 v3, s15, v10
	;; [unrolled: 1-line block ×5, first 2 shown]
	v_fma_f32 v46, v12, s14, -v2
	v_add_co_u32 v2, vcc_lo, 0x180, v7
	v_fmac_f32_e32 v43, s15, v16
	v_fma_f32 v9, v11, s14, -v3
	v_fmac_f32_e32 v6, s15, v11
	v_add_co_ci_u32_e64 v3, null, 0, v8, vcc_lo
	v_fmac_f32_e32 v45, s15, v14
	v_fmac_f32_e32 v47, s15, v12
	global_store_dwordx2 v[7:8], v[42:43], off
	global_store_dwordx2 v[7:8], v[44:45], off offset:128
	global_store_dwordx2 v[7:8], v[46:47], off offset:256
	global_store_dword v[7:8], v9, off offset:384
	s_andn2_b32 vcc_lo, exec_lo, s13
	s_cbranch_vccz .LBB95_6
	s_branch .LBB95_7
.LBB95_5:
                                        ; implicit-def: $vgpr6
                                        ; implicit-def: $vgpr2_vgpr3
.LBB95_6:
	v_mul_lo_u32 v6, v5, s2
	v_mul_lo_u32 v7, v4, s3
	v_mad_u64_u32 v[2:3], null, v4, s2, 0
	s_mul_i32 s5, s5, s8
	s_mul_hi_u32 s6, s4, s8
	s_mul_i32 s4, s4, s8
	s_add_i32 s5, s6, s5
	v_lshlrev_b64 v[0:1], 3, v[0:1]
	s_lshl_b64 s[4:5], s[4:5], 3
	v_add3_u32 v3, v3, v7, v6
	s_add_u32 s0, s0, s4
	s_addc_u32 s1, s1, s5
	v_mul_lo_u32 v42, v5, s16
	v_mul_lo_u32 v43, v4, s17
	v_lshlrev_b64 v[2:3], 3, v[2:3]
	v_mad_u64_u32 v[4:5], null, v4, s16, 0
	v_add_co_u32 v8, vcc_lo, s0, v2
	v_add_co_ci_u32_e64 v9, null, s1, v3, vcc_lo
	v_add3_u32 v5, v5, v43, v42
	v_add_co_u32 v2, vcc_lo, v8, v0
	v_add_co_ci_u32_e64 v3, null, v9, v1, vcc_lo
	v_mul_f32_e32 v42, s15, v41
	v_mul_f32_e32 v41, s14, v41
	v_lshlrev_b64 v[4:5], 3, v[4:5]
	global_load_dwordx2 v[6:7], v[2:3], off
	s_lshl_b64 s[0:1], s[2:3], 7
	v_fma_f32 v42, v40, s14, -v42
	v_fmac_f32_e32 v41, s15, v40
	s_lshl_b64 s[2:3], s[16:17], 7
	v_add_co_u32 v43, vcc_lo, s9, v4
	v_add_co_ci_u32_e64 v44, null, s12, v5, vcc_lo
	v_add_co_u32 v4, vcc_lo, v43, v0
	v_add_co_ci_u32_e64 v5, null, v44, v1, vcc_lo
	;; [unrolled: 2-line block ×3, first 2 shown]
	s_waitcnt vmcnt(0)
	v_mul_f32_e32 v40, s11, v7
	v_mul_f32_e32 v7, s10, v7
	v_fma_f32 v40, v6, s10, -v40
	v_fmac_f32_e32 v7, s11, v6
	v_add_f32_e32 v6, v42, v40
	v_add_f32_e32 v7, v41, v7
	v_mul_f32_e32 v40, s15, v39
	v_mul_f32_e32 v39, s14, v39
	global_store_dwordx2 v[4:5], v[6:7], off
	global_load_dwordx2 v[6:7], v[2:3], off offset:128
	v_fma_f32 v40, v38, s14, -v40
	v_fmac_f32_e32 v39, s15, v38
	s_waitcnt vmcnt(0)
	v_mul_f32_e32 v41, s11, v7
	v_mul_f32_e32 v7, s10, v7
	v_fma_f32 v38, v6, s10, -v41
	v_fmac_f32_e32 v7, s11, v6
	v_add_f32_e32 v6, v40, v38
	v_add_f32_e32 v7, v39, v7
	v_mul_f32_e32 v38, s15, v37
	v_mul_f32_e32 v37, s14, v37
	global_store_dwordx2 v[4:5], v[6:7], off offset:128
	global_load_dwordx2 v[6:7], v[2:3], off offset:256
	v_fma_f32 v38, v36, s14, -v38
	v_fmac_f32_e32 v37, s15, v36
	s_waitcnt vmcnt(0)
	v_mul_f32_e32 v39, s11, v7
	v_mul_f32_e32 v7, s10, v7
	v_fma_f32 v36, v6, s10, -v39
	v_fmac_f32_e32 v7, s11, v6
	v_add_f32_e32 v6, v38, v36
	v_add_f32_e32 v7, v37, v7
	global_store_dwordx2 v[4:5], v[6:7], off offset:256
	global_load_dwordx2 v[2:3], v[2:3], off offset:384
	v_mul_f32_e32 v6, s15, v35
	v_mul_f32_e32 v7, s14, v35
	v_fma_f32 v6, v34, s14, -v6
	v_fmac_f32_e32 v7, s15, v34
	s_waitcnt vmcnt(0)
	v_mul_f32_e32 v35, s11, v3
	v_mul_f32_e32 v3, s10, v3
	v_fma_f32 v34, v2, s10, -v35
	v_fmac_f32_e32 v3, s11, v2
	v_add_f32_e32 v2, v6, v34
	v_add_co_u32 v6, vcc_lo, v8, v0
	v_add_f32_e32 v3, v7, v3
	v_add_co_ci_u32_e64 v7, null, v9, v1, vcc_lo
	v_add_co_u32 v34, vcc_lo, v43, s2
	global_store_dwordx2 v[4:5], v[2:3], off offset:384
	global_load_dwordx2 v[2:3], v[6:7], off
	v_mul_f32_e32 v4, s15, v33
	v_mul_f32_e32 v5, s14, v33
	v_add_co_ci_u32_e64 v35, null, s3, v44, vcc_lo
	v_fma_f32 v4, v32, s14, -v4
	v_fmac_f32_e32 v5, s15, v32
	s_waitcnt vmcnt(0)
	v_mul_f32_e32 v32, s11, v3
	v_mul_f32_e32 v33, s10, v3
	v_fma_f32 v32, v2, s10, -v32
	v_fmac_f32_e32 v33, s11, v2
	v_add_co_u32 v2, vcc_lo, v34, v0
	v_add_co_ci_u32_e64 v3, null, v35, v1, vcc_lo
	v_add_f32_e32 v4, v4, v32
	v_add_f32_e32 v5, v5, v33
	v_mul_f32_e32 v32, s15, v31
	v_mul_f32_e32 v31, s14, v31
	v_add_co_u32 v8, vcc_lo, v8, s0
	global_store_dwordx2 v[2:3], v[4:5], off
	global_load_dwordx2 v[4:5], v[6:7], off offset:128
	v_fma_f32 v32, v30, s14, -v32
	v_fmac_f32_e32 v31, s15, v30
	v_add_co_ci_u32_e64 v9, null, s1, v9, vcc_lo
	s_waitcnt vmcnt(0)
	v_mul_f32_e32 v33, s11, v5
	v_mul_f32_e32 v5, s10, v5
	v_fma_f32 v30, v4, s10, -v33
	v_fmac_f32_e32 v5, s11, v4
	v_add_f32_e32 v4, v32, v30
	v_add_f32_e32 v5, v31, v5
	v_mul_f32_e32 v30, s15, v29
	v_mul_f32_e32 v29, s14, v29
	global_store_dwordx2 v[2:3], v[4:5], off offset:128
	global_load_dwordx2 v[4:5], v[6:7], off offset:256
	v_fma_f32 v30, v28, s14, -v30
	v_fmac_f32_e32 v29, s15, v28
	s_waitcnt vmcnt(0)
	v_mul_f32_e32 v31, s11, v5
	v_mul_f32_e32 v5, s10, v5
	v_fma_f32 v28, v4, s10, -v31
	v_fmac_f32_e32 v5, s11, v4
	v_add_f32_e32 v4, v30, v28
	v_add_f32_e32 v5, v29, v5
	global_store_dwordx2 v[2:3], v[4:5], off offset:256
	global_load_dwordx2 v[4:5], v[6:7], off offset:384
	v_mul_f32_e32 v6, s15, v27
	v_mul_f32_e32 v7, s14, v27
	v_fma_f32 v6, v26, s14, -v6
	v_fmac_f32_e32 v7, s15, v26
	s_waitcnt vmcnt(0)
	v_mul_f32_e32 v27, s11, v5
	v_mul_f32_e32 v5, s10, v5
	v_fma_f32 v26, v4, s10, -v27
	v_fmac_f32_e32 v5, s11, v4
	v_add_f32_e32 v4, v6, v26
	v_add_co_u32 v6, vcc_lo, v8, v0
	v_add_f32_e32 v5, v7, v5
	v_add_co_ci_u32_e64 v7, null, v9, v1, vcc_lo
	v_add_co_u32 v26, vcc_lo, v34, s2
	global_store_dwordx2 v[2:3], v[4:5], off offset:384
	global_load_dwordx2 v[2:3], v[6:7], off
	v_mul_f32_e32 v4, s15, v25
	v_mul_f32_e32 v5, s14, v25
	v_add_co_ci_u32_e64 v27, null, s3, v35, vcc_lo
	v_fma_f32 v4, v24, s14, -v4
	v_fmac_f32_e32 v5, s15, v24
	s_waitcnt vmcnt(0)
	v_mul_f32_e32 v24, s11, v3
	v_mul_f32_e32 v25, s10, v3
	v_fma_f32 v24, v2, s10, -v24
	v_fmac_f32_e32 v25, s11, v2
	v_add_co_u32 v2, vcc_lo, v26, v0
	v_add_co_ci_u32_e64 v3, null, v27, v1, vcc_lo
	v_add_f32_e32 v4, v4, v24
	v_add_f32_e32 v5, v5, v25
	v_mul_f32_e32 v24, s15, v23
	v_mul_f32_e32 v23, s14, v23
	v_add_co_u32 v8, vcc_lo, v8, s0
	global_store_dwordx2 v[2:3], v[4:5], off
	global_load_dwordx2 v[4:5], v[6:7], off offset:128
	v_fma_f32 v24, v22, s14, -v24
	v_fmac_f32_e32 v23, s15, v22
	v_add_co_ci_u32_e64 v9, null, s1, v9, vcc_lo
	s_waitcnt vmcnt(0)
	v_mul_f32_e32 v25, s11, v5
	v_mul_f32_e32 v5, s10, v5
	v_fma_f32 v22, v4, s10, -v25
	v_fmac_f32_e32 v5, s11, v4
	v_add_f32_e32 v4, v24, v22
	v_add_f32_e32 v5, v23, v5
	v_mul_f32_e32 v22, s15, v21
	v_mul_f32_e32 v21, s14, v21
	global_store_dwordx2 v[2:3], v[4:5], off offset:128
	global_load_dwordx2 v[4:5], v[6:7], off offset:256
	v_fma_f32 v22, v20, s14, -v22
	v_fmac_f32_e32 v21, s15, v20
	s_waitcnt vmcnt(0)
	v_mul_f32_e32 v23, s11, v5
	v_mul_f32_e32 v5, s10, v5
	v_fma_f32 v20, v4, s10, -v23
	v_fmac_f32_e32 v5, s11, v4
	v_add_f32_e32 v4, v22, v20
	v_add_f32_e32 v5, v21, v5
	global_store_dwordx2 v[2:3], v[4:5], off offset:256
	global_load_dwordx2 v[4:5], v[6:7], off offset:384
	v_mul_f32_e32 v6, s15, v19
	v_mul_f32_e32 v7, s14, v19
	v_fma_f32 v6, v18, s14, -v6
	v_fmac_f32_e32 v7, s15, v18
	s_waitcnt vmcnt(0)
	v_mul_f32_e32 v19, s11, v5
	v_mul_f32_e32 v5, s10, v5
	v_fma_f32 v18, v4, s10, -v19
	v_fmac_f32_e32 v5, s11, v4
	v_add_f32_e32 v4, v6, v18
	v_add_co_u32 v6, vcc_lo, v8, v0
	v_add_f32_e32 v5, v7, v5
	v_add_co_ci_u32_e64 v7, null, v9, v1, vcc_lo
	v_add_co_u32 v9, vcc_lo, v26, s2
	global_store_dwordx2 v[2:3], v[4:5], off offset:384
	global_load_dwordx2 v[2:3], v[6:7], off
	v_mul_f32_e32 v4, s15, v17
	v_mul_f32_e32 v5, s14, v17
	v_fma_f32 v4, v16, s14, -v4
	v_fmac_f32_e32 v5, s15, v16
	v_add_co_ci_u32_e64 v16, null, s3, v27, vcc_lo
	v_add_co_u32 v0, vcc_lo, v9, v0
	v_add_co_ci_u32_e64 v1, null, v16, v1, vcc_lo
	s_waitcnt vmcnt(0)
	v_mul_f32_e32 v8, s11, v3
	v_mul_f32_e32 v3, s10, v3
	v_fma_f32 v8, v2, s10, -v8
	v_fmac_f32_e32 v3, s11, v2
	v_add_f32_e32 v2, v4, v8
	v_add_f32_e32 v3, v5, v3
	v_mul_f32_e32 v4, s15, v15
	v_mul_f32_e32 v5, s14, v15
	global_store_dwordx2 v[0:1], v[2:3], off
	global_load_dwordx2 v[2:3], v[6:7], off offset:128
	v_fma_f32 v4, v14, s14, -v4
	v_fmac_f32_e32 v5, s15, v14
	s_waitcnt vmcnt(0)
	v_mul_f32_e32 v8, s11, v3
	v_mul_f32_e32 v3, s10, v3
	v_fma_f32 v8, v2, s10, -v8
	v_fmac_f32_e32 v3, s11, v2
	v_add_f32_e32 v2, v4, v8
	v_add_f32_e32 v3, v5, v3
	v_mul_f32_e32 v4, s15, v13
	v_mul_f32_e32 v5, s14, v13
	global_store_dwordx2 v[0:1], v[2:3], off offset:128
	global_load_dwordx2 v[2:3], v[6:7], off offset:256
	v_fma_f32 v4, v12, s14, -v4
	v_fmac_f32_e32 v5, s15, v12
	s_waitcnt vmcnt(0)
	v_mul_f32_e32 v8, s11, v3
	v_mul_f32_e32 v3, s10, v3
	v_fma_f32 v8, v2, s10, -v8
	v_fmac_f32_e32 v3, s11, v2
	v_add_f32_e32 v2, v4, v8
	v_add_f32_e32 v3, v5, v3
	v_mul_f32_e32 v4, s15, v10
	v_mul_f32_e32 v5, s14, v10
	global_store_dwordx2 v[0:1], v[2:3], off offset:256
	global_load_dwordx2 v[2:3], v[6:7], off offset:384
	v_fma_f32 v4, v11, s14, -v4
	v_fmac_f32_e32 v5, s15, v11
	s_waitcnt vmcnt(0)
	v_mul_f32_e32 v6, s11, v3
	v_mul_f32_e32 v3, s10, v3
	v_fma_f32 v6, v2, s10, -v6
	v_fmac_f32_e32 v3, s11, v2
	v_add_co_u32 v2, vcc_lo, 0x180, v0
	v_add_f32_e32 v4, v4, v6
	v_add_f32_e32 v6, v5, v3
	v_add_co_ci_u32_e64 v3, null, 0, v1, vcc_lo
	global_store_dword v[0:1], v4, off offset:384
.LBB95_7:
	global_store_dword v[2:3], v6, off offset:4
	s_endpgm
	.section	.rodata,"a",@progbits
	.p2align	6, 0x0
	.amdhsa_kernel _ZN12_GLOBAL__N_127rocblas_gemm_batched_kernelI19rocblas_complex_numIfELi16ELi16ELi64ELi64ELi4ELi64ELi4ELi4ELi64ELc67ELc84EKS2_S3_S2_EEvlllT_PT11_llS6_llS4_PT12_llPT13_lli
		.amdhsa_group_segment_fixed_size 4096
		.amdhsa_private_segment_fixed_size 0
		.amdhsa_kernarg_size 140
		.amdhsa_user_sgpr_count 6
		.amdhsa_user_sgpr_private_segment_buffer 1
		.amdhsa_user_sgpr_dispatch_ptr 0
		.amdhsa_user_sgpr_queue_ptr 0
		.amdhsa_user_sgpr_kernarg_segment_ptr 1
		.amdhsa_user_sgpr_dispatch_id 0
		.amdhsa_user_sgpr_flat_scratch_init 0
		.amdhsa_user_sgpr_private_segment_size 0
		.amdhsa_wavefront_size32 1
		.amdhsa_uses_dynamic_stack 0
		.amdhsa_system_sgpr_private_segment_wavefront_offset 0
		.amdhsa_system_sgpr_workgroup_id_x 1
		.amdhsa_system_sgpr_workgroup_id_y 1
		.amdhsa_system_sgpr_workgroup_id_z 1
		.amdhsa_system_sgpr_workgroup_info 0
		.amdhsa_system_vgpr_workitem_id 1
		.amdhsa_next_free_vgpr 188
		.amdhsa_next_free_sgpr 32
		.amdhsa_reserve_vcc 1
		.amdhsa_reserve_flat_scratch 0
		.amdhsa_float_round_mode_32 0
		.amdhsa_float_round_mode_16_64 0
		.amdhsa_float_denorm_mode_32 3
		.amdhsa_float_denorm_mode_16_64 3
		.amdhsa_dx10_clamp 1
		.amdhsa_ieee_mode 1
		.amdhsa_fp16_overflow 0
		.amdhsa_workgroup_processor_mode 1
		.amdhsa_memory_ordered 1
		.amdhsa_forward_progress 1
		.amdhsa_shared_vgpr_count 0
		.amdhsa_exception_fp_ieee_invalid_op 0
		.amdhsa_exception_fp_denorm_src 0
		.amdhsa_exception_fp_ieee_div_zero 0
		.amdhsa_exception_fp_ieee_overflow 0
		.amdhsa_exception_fp_ieee_underflow 0
		.amdhsa_exception_fp_ieee_inexact 0
		.amdhsa_exception_int_div_zero 0
	.end_amdhsa_kernel
	.section	.text._ZN12_GLOBAL__N_127rocblas_gemm_batched_kernelI19rocblas_complex_numIfELi16ELi16ELi64ELi64ELi4ELi64ELi4ELi4ELi64ELc67ELc84EKS2_S3_S2_EEvlllT_PT11_llS6_llS4_PT12_llPT13_lli,"axG",@progbits,_ZN12_GLOBAL__N_127rocblas_gemm_batched_kernelI19rocblas_complex_numIfELi16ELi16ELi64ELi64ELi4ELi64ELi4ELi4ELi64ELc67ELc84EKS2_S3_S2_EEvlllT_PT11_llS6_llS4_PT12_llPT13_lli,comdat
.Lfunc_end95:
	.size	_ZN12_GLOBAL__N_127rocblas_gemm_batched_kernelI19rocblas_complex_numIfELi16ELi16ELi64ELi64ELi4ELi64ELi4ELi4ELi64ELc67ELc84EKS2_S3_S2_EEvlllT_PT11_llS6_llS4_PT12_llPT13_lli, .Lfunc_end95-_ZN12_GLOBAL__N_127rocblas_gemm_batched_kernelI19rocblas_complex_numIfELi16ELi16ELi64ELi64ELi4ELi64ELi4ELi4ELi64ELc67ELc84EKS2_S3_S2_EEvlllT_PT11_llS6_llS4_PT12_llPT13_lli
                                        ; -- End function
	.set _ZN12_GLOBAL__N_127rocblas_gemm_batched_kernelI19rocblas_complex_numIfELi16ELi16ELi64ELi64ELi4ELi64ELi4ELi4ELi64ELc67ELc84EKS2_S3_S2_EEvlllT_PT11_llS6_llS4_PT12_llPT13_lli.num_vgpr, 188
	.set _ZN12_GLOBAL__N_127rocblas_gemm_batched_kernelI19rocblas_complex_numIfELi16ELi16ELi64ELi64ELi4ELi64ELi4ELi4ELi64ELc67ELc84EKS2_S3_S2_EEvlllT_PT11_llS6_llS4_PT12_llPT13_lli.num_agpr, 0
	.set _ZN12_GLOBAL__N_127rocblas_gemm_batched_kernelI19rocblas_complex_numIfELi16ELi16ELi64ELi64ELi4ELi64ELi4ELi4ELi64ELc67ELc84EKS2_S3_S2_EEvlllT_PT11_llS6_llS4_PT12_llPT13_lli.numbered_sgpr, 32
	.set _ZN12_GLOBAL__N_127rocblas_gemm_batched_kernelI19rocblas_complex_numIfELi16ELi16ELi64ELi64ELi4ELi64ELi4ELi4ELi64ELc67ELc84EKS2_S3_S2_EEvlllT_PT11_llS6_llS4_PT12_llPT13_lli.num_named_barrier, 0
	.set _ZN12_GLOBAL__N_127rocblas_gemm_batched_kernelI19rocblas_complex_numIfELi16ELi16ELi64ELi64ELi4ELi64ELi4ELi4ELi64ELc67ELc84EKS2_S3_S2_EEvlllT_PT11_llS6_llS4_PT12_llPT13_lli.private_seg_size, 0
	.set _ZN12_GLOBAL__N_127rocblas_gemm_batched_kernelI19rocblas_complex_numIfELi16ELi16ELi64ELi64ELi4ELi64ELi4ELi4ELi64ELc67ELc84EKS2_S3_S2_EEvlllT_PT11_llS6_llS4_PT12_llPT13_lli.uses_vcc, 1
	.set _ZN12_GLOBAL__N_127rocblas_gemm_batched_kernelI19rocblas_complex_numIfELi16ELi16ELi64ELi64ELi4ELi64ELi4ELi4ELi64ELc67ELc84EKS2_S3_S2_EEvlllT_PT11_llS6_llS4_PT12_llPT13_lli.uses_flat_scratch, 0
	.set _ZN12_GLOBAL__N_127rocblas_gemm_batched_kernelI19rocblas_complex_numIfELi16ELi16ELi64ELi64ELi4ELi64ELi4ELi4ELi64ELc67ELc84EKS2_S3_S2_EEvlllT_PT11_llS6_llS4_PT12_llPT13_lli.has_dyn_sized_stack, 0
	.set _ZN12_GLOBAL__N_127rocblas_gemm_batched_kernelI19rocblas_complex_numIfELi16ELi16ELi64ELi64ELi4ELi64ELi4ELi4ELi64ELc67ELc84EKS2_S3_S2_EEvlllT_PT11_llS6_llS4_PT12_llPT13_lli.has_recursion, 0
	.set _ZN12_GLOBAL__N_127rocblas_gemm_batched_kernelI19rocblas_complex_numIfELi16ELi16ELi64ELi64ELi4ELi64ELi4ELi4ELi64ELc67ELc84EKS2_S3_S2_EEvlllT_PT11_llS6_llS4_PT12_llPT13_lli.has_indirect_call, 0
	.section	.AMDGPU.csdata,"",@progbits
; Kernel info:
; codeLenInByte = 4948
; TotalNumSgprs: 34
; NumVgprs: 188
; ScratchSize: 0
; MemoryBound: 0
; FloatMode: 240
; IeeeMode: 1
; LDSByteSize: 4096 bytes/workgroup (compile time only)
; SGPRBlocks: 0
; VGPRBlocks: 23
; NumSGPRsForWavesPerEU: 34
; NumVGPRsForWavesPerEU: 188
; Occupancy: 5
; WaveLimiterHint : 1
; COMPUTE_PGM_RSRC2:SCRATCH_EN: 0
; COMPUTE_PGM_RSRC2:USER_SGPR: 6
; COMPUTE_PGM_RSRC2:TRAP_HANDLER: 0
; COMPUTE_PGM_RSRC2:TGID_X_EN: 1
; COMPUTE_PGM_RSRC2:TGID_Y_EN: 1
; COMPUTE_PGM_RSRC2:TGID_Z_EN: 1
; COMPUTE_PGM_RSRC2:TIDIG_COMP_CNT: 1
	.section	.text._ZN12_GLOBAL__N_127rocblas_gemm_batched_kernelI19rocblas_complex_numIfELi16ELi16ELi64ELi64ELi4ELi64ELi4ELi4ELi64ELc78ELc67EKS2_S3_S2_EEvlllT_PT11_llS6_llS4_PT12_llPT13_lli,"axG",@progbits,_ZN12_GLOBAL__N_127rocblas_gemm_batched_kernelI19rocblas_complex_numIfELi16ELi16ELi64ELi64ELi4ELi64ELi4ELi4ELi64ELc78ELc67EKS2_S3_S2_EEvlllT_PT11_llS6_llS4_PT12_llPT13_lli,comdat
	.globl	_ZN12_GLOBAL__N_127rocblas_gemm_batched_kernelI19rocblas_complex_numIfELi16ELi16ELi64ELi64ELi4ELi64ELi4ELi4ELi64ELc78ELc67EKS2_S3_S2_EEvlllT_PT11_llS6_llS4_PT12_llPT13_lli ; -- Begin function _ZN12_GLOBAL__N_127rocblas_gemm_batched_kernelI19rocblas_complex_numIfELi16ELi16ELi64ELi64ELi4ELi64ELi4ELi4ELi64ELc78ELc67EKS2_S3_S2_EEvlllT_PT11_llS6_llS4_PT12_llPT13_lli
	.p2align	8
	.type	_ZN12_GLOBAL__N_127rocblas_gemm_batched_kernelI19rocblas_complex_numIfELi16ELi16ELi64ELi64ELi4ELi64ELi4ELi4ELi64ELc78ELc67EKS2_S3_S2_EEvlllT_PT11_llS6_llS4_PT12_llPT13_lli,@function
_ZN12_GLOBAL__N_127rocblas_gemm_batched_kernelI19rocblas_complex_numIfELi16ELi16ELi64ELi64ELi4ELi64ELi4ELi4ELi64ELc78ELc67EKS2_S3_S2_EEvlllT_PT11_llS6_llS4_PT12_llPT13_lli: ; @_ZN12_GLOBAL__N_127rocblas_gemm_batched_kernelI19rocblas_complex_numIfELi16ELi16ELi64ELi64ELi4ELi64ELi4ELi4ELi64ELc78ELc67EKS2_S3_S2_EEvlllT_PT11_llS6_llS4_PT12_llPT13_lli
; %bb.0:
	s_clause 0x1
	s_load_dwordx16 s[12:27], s[4:5], 0x10
	s_load_dwordx2 s[10:11], s[4:5], 0x50
	s_mov_b32 s0, s7
	v_mov_b32_e32 v40, 0
	v_mov_b32_e32 v41, 0
	;; [unrolled: 1-line block ×17, first 2 shown]
	s_waitcnt lgkmcnt(0)
	v_cmp_lt_i64_e64 s2, s[12:13], 1
	v_mov_b32_e32 v25, 0
	v_mov_b32_e32 v22, 0
	;; [unrolled: 1-line block ×15, first 2 shown]
	s_ashr_i32 s7, s6, 31
	s_ashr_i32 s1, s0, 31
	s_lshl_b64 s[28:29], s[6:7], 6
	s_and_b32 vcc_lo, exec_lo, s2
	s_lshl_b64 s[30:31], s[0:1], 6
	s_cbranch_vccnz .LBB96_3
; %bb.1:
	v_lshl_add_u32 v6, v1, 4, v0
	v_and_b32_e32 v8, 3, v0
	s_mul_i32 s1, s21, s8
	s_mul_hi_u32 s2, s20, s8
	v_mov_b32_e32 v10, 0
	v_lshrrev_b32_e32 v7, 2, v6
	v_lshrrev_b32_e32 v9, 6, v6
	v_lshlrev_b32_e32 v12, 3, v8
	v_and_b32_e32 v11, 63, v6
	s_add_i32 s1, s2, s1
	v_add_co_u32 v2, s0, v7, s30
	v_add_co_ci_u32_e64 v3, null, 0, s31, s0
	v_mad_u64_u32 v[4:5], null, s18, v9, s[28:29]
	v_lshl_or_b32 v12, v7, 5, v12
	v_mad_u64_u32 v[2:3], null, s24, v8, v[2:3]
	s_mul_i32 s0, s20, s8
	s_mul_hi_u32 s2, s26, s8
	s_lshl_b64 s[0:1], s[0:1], 3
	v_mad_u64_u32 v[5:6], null, s19, v9, v[5:6]
	s_add_u32 s6, s16, s0
	v_mad_u64_u32 v[6:7], null, s25, v8, v[3:4]
	v_add_co_u32 v4, vcc_lo, v4, v11
	s_mul_i32 s0, s27, s8
	v_add_co_ci_u32_e64 v5, null, 0, v5, vcc_lo
	s_addc_u32 s7, s17, s1
	v_mov_b32_e32 v3, v6
	s_add_i32 s1, s2, s0
	s_mul_i32 s0, s26, s8
	v_lshlrev_b64 v[4:5], 3, v[4:5]
	s_lshl_b64 s[2:3], s[0:1], 3
	v_lshlrev_b64 v[2:3], 3, v[2:3]
	s_lshl_b64 s[0:1], s[18:19], 5
	s_add_u32 s2, s22, s2
	s_addc_u32 s3, s23, s3
	v_lshlrev_b32_e32 v13, 3, v11
	v_lshlrev_b32_e32 v42, 3, v0
	v_add_co_u32 v6, vcc_lo, s2, v2
	v_add_co_ci_u32_e64 v7, null, s3, v3, vcc_lo
	v_add_co_u32 v2, vcc_lo, s6, v4
	v_add_co_ci_u32_e64 v3, null, s7, v5, vcc_lo
	v_add_co_u32 v4, vcc_lo, v6, 4
	v_lshl_add_u32 v43, v1, 5, 0x800
	v_lshl_or_b32 v44, v9, 9, v13
	v_add_nc_u32_e32 v45, 0x800, v12
	v_add_co_ci_u32_e64 v5, null, 0, v7, vcc_lo
	v_mov_b32_e32 v11, 0
	v_mov_b32_e32 v13, 0
	;; [unrolled: 1-line block ×31, first 2 shown]
	s_lshl_b64 s[2:3], s[24:25], 5
	s_mov_b64 s[6:7], 0
.LBB96_2:                               ; =>This Inner Loop Header: Depth=1
	global_load_dwordx2 v[6:7], v[4:5], off offset:-4
	global_load_dwordx2 v[8:9], v[2:3], off
	s_add_u32 s6, s6, 4
	s_addc_u32 s7, s7, 0
	v_add_co_u32 v2, vcc_lo, v2, s0
	v_cmp_lt_i64_e64 s9, s[6:7], s[12:13]
	v_add_co_ci_u32_e64 v3, null, s1, v3, vcc_lo
	v_add_co_u32 v4, vcc_lo, v4, s2
	v_add_co_ci_u32_e64 v5, null, s3, v5, vcc_lo
	s_and_b32 vcc_lo, exec_lo, s9
	s_waitcnt vmcnt(1)
	v_xor_b32_e32 v7, 0x80000000, v7
	s_waitcnt vmcnt(0)
	ds_write_b64 v44, v[8:9]
	ds_write_b64 v45, v[6:7]
	s_waitcnt lgkmcnt(0)
	s_barrier
	buffer_gl0_inv
	ds_read_b128 v[6:9], v43
	ds_read2_b64 v[46:49], v42 offset1:16
	ds_read_b128 v[50:53], v43 offset:512
	ds_read_b128 v[54:57], v43 offset:16
	;; [unrolled: 1-line block ×7, first 2 shown]
	ds_read2_b64 v[78:81], v42 offset0:32 offset1:48
	ds_read2_b64 v[82:85], v42 offset0:64 offset1:80
	;; [unrolled: 1-line block ×7, first 2 shown]
	s_waitcnt lgkmcnt(0)
	s_barrier
	buffer_gl0_inv
	v_mul_f32_e32 v106, v7, v47
	v_mul_f32_e32 v107, v6, v47
	v_mul_f32_e32 v108, v7, v49
	v_mul_f32_e32 v109, v6, v49
	v_mul_f32_e32 v110, v51, v47
	v_mul_f32_e32 v111, v50, v47
	v_mul_f32_e32 v112, v51, v49
	v_mul_f32_e32 v113, v50, v49
	v_mul_f32_e32 v114, v63, v47
	v_mul_f32_e32 v115, v62, v47
	v_mul_f32_e32 v116, v63, v49
	v_mul_f32_e32 v117, v62, v49
	v_mul_f32_e32 v118, v71, v47
	v_mul_f32_e32 v47, v70, v47
	v_mul_f32_e32 v119, v71, v49
	v_mul_f32_e32 v49, v70, v49
	v_mul_f32_e32 v120, v7, v79
	v_mul_f32_e32 v121, v6, v79
	v_mul_f32_e32 v122, v7, v81
	v_mul_f32_e32 v123, v6, v81
	v_mul_f32_e32 v124, v51, v79
	v_mul_f32_e32 v125, v50, v79
	v_mul_f32_e32 v126, v51, v81
	v_mul_f32_e32 v127, v50, v81
	v_mul_f32_e32 v128, v63, v79
	v_mul_f32_e32 v129, v62, v79
	v_mul_f32_e32 v130, v63, v81
	v_mul_f32_e32 v131, v62, v81
	v_mul_f32_e32 v132, v71, v79
	v_mul_f32_e32 v79, v70, v79
	v_mul_f32_e32 v133, v71, v81
	v_mul_f32_e32 v81, v70, v81
	v_mul_f32_e32 v134, v9, v83
	v_mul_f32_e32 v135, v8, v83
	v_mul_f32_e32 v136, v9, v85
	v_mul_f32_e32 v137, v8, v85
	v_mul_f32_e32 v138, v9, v87
	v_mul_f32_e32 v139, v8, v87
	v_mul_f32_e32 v140, v9, v89
	v_mul_f32_e32 v141, v8, v89
	v_mul_f32_e32 v142, v53, v83
	v_mul_f32_e32 v143, v52, v83
	v_mul_f32_e32 v144, v53, v85
	v_mul_f32_e32 v145, v52, v85
	v_mul_f32_e32 v146, v53, v87
	v_mul_f32_e32 v147, v52, v87
	v_mul_f32_e32 v148, v53, v89
	v_mul_f32_e32 v149, v52, v89
	v_mul_f32_e32 v150, v65, v83
	v_mul_f32_e32 v151, v64, v83
	v_mul_f32_e32 v152, v65, v85
	v_mul_f32_e32 v153, v64, v85
	v_mul_f32_e32 v154, v65, v87
	v_mul_f32_e32 v155, v64, v87
	v_mul_f32_e32 v156, v65, v89
	v_mul_f32_e32 v157, v64, v89
	v_mul_f32_e32 v158, v73, v83
	v_mul_f32_e32 v83, v72, v83
	v_mul_f32_e32 v159, v73, v85
	v_mul_f32_e32 v85, v72, v85
	v_mul_f32_e32 v160, v73, v87
	v_mul_f32_e32 v87, v72, v87
	v_mul_f32_e32 v161, v73, v89
	v_mul_f32_e32 v89, v72, v89
	v_fma_f32 v106, v6, v46, -v106
	v_fmac_f32_e32 v107, v7, v46
	v_fma_f32 v108, v6, v48, -v108
	v_fmac_f32_e32 v109, v7, v48
	;; [unrolled: 2-line block ×16, first 2 shown]
	v_mul_f32_e32 v162, v55, v91
	v_mul_f32_e32 v163, v54, v91
	;; [unrolled: 1-line block ×28, first 2 shown]
	v_fma_f32 v124, v8, v82, -v134
	v_fmac_f32_e32 v135, v9, v82
	v_fma_f32 v126, v8, v84, -v136
	v_fmac_f32_e32 v137, v9, v84
	;; [unrolled: 2-line block ×4, first 2 shown]
	v_mul_f32_e32 v9, v75, v95
	v_mul_f32_e32 v95, v74, v95
	;; [unrolled: 1-line block ×4, first 2 shown]
	v_fma_f32 v132, v52, v82, -v142
	v_fmac_f32_e32 v143, v53, v82
	v_fma_f32 v133, v52, v84, -v144
	v_fmac_f32_e32 v145, v53, v84
	;; [unrolled: 2-line block ×4, first 2 shown]
	v_mul_f32_e32 v136, v56, v99
	v_mul_f32_e32 v140, v56, v101
	v_fma_f32 v142, v64, v82, -v150
	v_fmac_f32_e32 v151, v65, v82
	v_fma_f32 v144, v64, v84, -v152
	v_fmac_f32_e32 v153, v65, v84
	;; [unrolled: 2-line block ×4, first 2 shown]
	v_mul_f32_e32 v148, v56, v103
	v_mul_f32_e32 v152, v56, v105
	v_fma_f32 v154, v72, v82, -v158
	v_fmac_f32_e32 v83, v73, v82
	v_fma_f32 v82, v72, v84, -v159
	v_fmac_f32_e32 v85, v73, v84
	;; [unrolled: 2-line block ×4, first 2 shown]
	v_add_f32_e32 v40, v40, v106
	v_add_f32_e32 v41, v41, v107
	;; [unrolled: 1-line block ×32, first 2 shown]
	v_mul_f32_e32 v53, v57, v99
	v_mul_f32_e32 v138, v57, v101
	;; [unrolled: 1-line block ×16, first 2 shown]
	v_fma_f32 v162, v54, v90, -v162
	v_fmac_f32_e32 v163, v55, v90
	v_fma_f32 v164, v54, v92, -v164
	v_fmac_f32_e32 v165, v55, v92
	;; [unrolled: 2-line block ×8, first 2 shown]
	v_mul_f32_e32 v92, v69, v103
	v_mul_f32_e32 v175, v68, v103
	v_mul_f32_e32 v186, v69, v105
	v_mul_f32_e32 v187, v68, v105
	v_fma_f32 v176, v54, v94, -v176
	v_fmac_f32_e32 v177, v55, v94
	v_fma_f32 v54, v54, v96, -v178
	v_fmac_f32_e32 v179, v55, v96
	;; [unrolled: 2-line block ×8, first 2 shown]
	v_mul_f32_e32 v67, v77, v99
	v_mul_f32_e32 v71, v76, v99
	;; [unrolled: 1-line block ×4, first 2 shown]
	v_fmac_f32_e32 v136, v57, v98
	v_fmac_f32_e32 v140, v57, v100
	;; [unrolled: 1-line block ×4, first 2 shown]
	v_mul_f32_e32 v57, v77, v103
	v_mul_f32_e32 v94, v76, v103
	;; [unrolled: 1-line block ×4, first 2 shown]
	v_add_f32_e32 v29, v40, v124
	v_add_f32_e32 v35, v41, v135
	;; [unrolled: 1-line block ×32, first 2 shown]
	v_fma_f32 v53, v56, v98, -v53
	v_fma_f32 v80, v56, v100, -v138
	v_fma_f32 v65, v56, v102, -v65
	v_fma_f32 v56, v56, v104, -v150
	v_fma_f32 v84, v60, v98, -v84
	v_fmac_f32_e32 v156, v61, v98
	v_fma_f32 v101, v60, v100, -v158
	v_fmac_f32_e32 v159, v61, v100
	v_fma_f32 v73, v60, v102, -v73
	;; [unrolled: 2-line block ×11, first 2 shown]
	v_fmac_f32_e32 v99, v77, v104
	v_add_f32_e32 v29, v29, v162
	v_add_f32_e32 v34, v35, v163
	;; [unrolled: 1-line block ×64, first 2 shown]
	s_cbranch_vccnz .LBB96_2
.LBB96_3:
	s_clause 0x1
	s_load_dwordx4 s[16:19], s[4:5], 0x78
	s_load_dwordx8 s[0:7], s[4:5], 0x58
	s_waitcnt lgkmcnt(0)
	s_mul_i32 s9, s19, s8
	s_mul_hi_u32 s13, s18, s8
	s_mul_i32 s12, s18, s8
	s_add_i32 s13, s13, s9
	s_lshl_b64 s[12:13], s[12:13], 3
	s_add_u32 s9, s6, s12
	s_addc_u32 s12, s7, s13
	v_add_co_u32 v4, s7, s30, v1
	v_add_co_ci_u32_e64 v5, null, s31, 0, s7
	v_add_co_u32 v0, s7, s28, v0
	s_or_b32 s6, s10, s11
	v_add_co_ci_u32_e64 v1, null, s29, 0, s7
	s_bitset0_b32 s6, 31
	s_mov_b32 s13, 0
	s_cmp_lg_u32 s6, 0
	s_cbranch_scc1 .LBB96_5
; %bb.4:
	v_mul_lo_u32 v6, v5, s16
	v_mul_lo_u32 v8, v4, s17
	v_mad_u64_u32 v[2:3], null, v4, s16, 0
	v_mul_f32_e32 v42, s15, v41
	v_mul_f32_e32 v7, s14, v41
	;; [unrolled: 1-line block ×6, first 2 shown]
	v_add3_u32 v3, v3, v8, v6
	v_lshlrev_b64 v[8:9], 3, v[0:1]
	v_mul_f32_e32 v48, s15, v35
	v_mul_f32_e32 v47, s14, v35
	v_fma_f32 v6, v40, s14, -v42
	v_lshlrev_b64 v[2:3], 3, v[2:3]
	v_fmac_f32_e32 v7, s15, v40
	v_fma_f32 v42, v38, s14, -v44
	v_fmac_f32_e32 v43, s15, v38
	s_lshl_b64 s[6:7], s[16:17], 7
	v_fma_f32 v44, v36, s14, -v46
	v_add_co_u32 v49, vcc_lo, s9, v2
	v_add_co_ci_u32_e64 v50, null, s12, v3, vcc_lo
	v_fmac_f32_e32 v45, s15, v36
	v_add_co_u32 v2, vcc_lo, v49, v8
	v_add_co_ci_u32_e64 v3, null, v50, v9, vcc_lo
	v_fma_f32 v46, v34, s14, -v48
	v_fmac_f32_e32 v47, s15, v34
	v_add_co_u32 v48, vcc_lo, v49, s6
	global_store_dwordx2 v[2:3], v[6:7], off
	global_store_dwordx2 v[2:3], v[42:43], off offset:128
	global_store_dwordx2 v[2:3], v[44:45], off offset:256
	;; [unrolled: 1-line block ×3, first 2 shown]
	v_mul_f32_e32 v2, s15, v33
	v_mul_f32_e32 v3, s14, v33
	v_add_co_ci_u32_e64 v49, null, s7, v50, vcc_lo
	v_mul_f32_e32 v6, s15, v31
	v_mul_f32_e32 v7, s14, v31
	;; [unrolled: 1-line block ×4, first 2 shown]
	v_add_co_u32 v44, vcc_lo, v48, v8
	v_fma_f32 v2, v32, s14, -v2
	v_fmac_f32_e32 v3, s15, v32
	v_add_co_ci_u32_e64 v45, null, v49, v9, vcc_lo
	v_fma_f32 v6, v30, s14, -v6
	v_fmac_f32_e32 v7, s15, v30
	v_fma_f32 v42, v28, s14, -v42
	v_fmac_f32_e32 v43, s15, v28
	v_add_co_u32 v52, vcc_lo, v48, s6
	v_mul_f32_e32 v46, s15, v27
	v_mul_f32_e32 v47, s14, v27
	global_store_dwordx2 v[44:45], v[2:3], off
	global_store_dwordx2 v[44:45], v[6:7], off offset:128
	global_store_dwordx2 v[44:45], v[42:43], off offset:256
	v_mul_f32_e32 v2, s15, v25
	v_mul_f32_e32 v3, s14, v25
	v_add_co_ci_u32_e64 v53, null, s7, v49, vcc_lo
	v_mul_f32_e32 v42, s15, v23
	v_mul_f32_e32 v43, s14, v23
	;; [unrolled: 1-line block ×4, first 2 shown]
	v_add_co_u32 v6, vcc_lo, v52, v8
	v_mul_f32_e32 v50, s15, v19
	v_mul_f32_e32 v51, s14, v19
	v_fma_f32 v46, v26, s14, -v46
	v_fmac_f32_e32 v47, s15, v26
	v_fma_f32 v2, v24, s14, -v2
	v_fmac_f32_e32 v3, s15, v24
	v_add_co_ci_u32_e64 v7, null, v53, v9, vcc_lo
	v_fma_f32 v42, v22, s14, -v42
	v_fmac_f32_e32 v43, s15, v22
	v_fma_f32 v48, v20, s14, -v48
	v_fmac_f32_e32 v49, s15, v20
	;; [unrolled: 2-line block ×3, first 2 shown]
	global_store_dwordx2 v[44:45], v[46:47], off offset:384
	global_store_dwordx2 v[6:7], v[2:3], off
	global_store_dwordx2 v[6:7], v[42:43], off offset:128
	global_store_dwordx2 v[6:7], v[48:49], off offset:256
	;; [unrolled: 1-line block ×3, first 2 shown]
	v_mul_f32_e32 v2, s15, v17
	v_add_co_u32 v3, vcc_lo, v52, s6
	v_add_co_ci_u32_e64 v6, null, s7, v53, vcc_lo
	v_fma_f32 v42, v16, s14, -v2
	v_mul_f32_e32 v2, s15, v15
	v_add_co_u32 v7, vcc_lo, v3, v8
	v_mul_f32_e32 v43, s14, v17
	v_add_co_ci_u32_e64 v8, null, v6, v9, vcc_lo
	v_fma_f32 v44, v14, s14, -v2
	v_mul_f32_e32 v2, s15, v13
	v_mul_f32_e32 v3, s15, v10
	;; [unrolled: 1-line block ×5, first 2 shown]
	v_fma_f32 v46, v12, s14, -v2
	v_add_co_u32 v2, vcc_lo, 0x180, v7
	v_fmac_f32_e32 v43, s15, v16
	v_fma_f32 v9, v11, s14, -v3
	v_fmac_f32_e32 v6, s15, v11
	v_add_co_ci_u32_e64 v3, null, 0, v8, vcc_lo
	v_fmac_f32_e32 v45, s15, v14
	v_fmac_f32_e32 v47, s15, v12
	global_store_dwordx2 v[7:8], v[42:43], off
	global_store_dwordx2 v[7:8], v[44:45], off offset:128
	global_store_dwordx2 v[7:8], v[46:47], off offset:256
	global_store_dword v[7:8], v9, off offset:384
	s_andn2_b32 vcc_lo, exec_lo, s13
	s_cbranch_vccz .LBB96_6
	s_branch .LBB96_7
.LBB96_5:
                                        ; implicit-def: $vgpr6
                                        ; implicit-def: $vgpr2_vgpr3
.LBB96_6:
	v_mul_lo_u32 v6, v5, s2
	v_mul_lo_u32 v7, v4, s3
	v_mad_u64_u32 v[2:3], null, v4, s2, 0
	s_mul_i32 s5, s5, s8
	s_mul_hi_u32 s6, s4, s8
	s_mul_i32 s4, s4, s8
	s_add_i32 s5, s6, s5
	v_lshlrev_b64 v[0:1], 3, v[0:1]
	s_lshl_b64 s[4:5], s[4:5], 3
	v_add3_u32 v3, v3, v7, v6
	s_add_u32 s0, s0, s4
	s_addc_u32 s1, s1, s5
	v_mul_lo_u32 v42, v5, s16
	v_mul_lo_u32 v43, v4, s17
	v_lshlrev_b64 v[2:3], 3, v[2:3]
	v_mad_u64_u32 v[4:5], null, v4, s16, 0
	v_add_co_u32 v8, vcc_lo, s0, v2
	v_add_co_ci_u32_e64 v9, null, s1, v3, vcc_lo
	v_add3_u32 v5, v5, v43, v42
	v_add_co_u32 v2, vcc_lo, v8, v0
	v_add_co_ci_u32_e64 v3, null, v9, v1, vcc_lo
	v_mul_f32_e32 v42, s15, v41
	v_mul_f32_e32 v41, s14, v41
	v_lshlrev_b64 v[4:5], 3, v[4:5]
	global_load_dwordx2 v[6:7], v[2:3], off
	s_lshl_b64 s[0:1], s[2:3], 7
	v_fma_f32 v42, v40, s14, -v42
	v_fmac_f32_e32 v41, s15, v40
	s_lshl_b64 s[2:3], s[16:17], 7
	v_add_co_u32 v43, vcc_lo, s9, v4
	v_add_co_ci_u32_e64 v44, null, s12, v5, vcc_lo
	v_add_co_u32 v4, vcc_lo, v43, v0
	v_add_co_ci_u32_e64 v5, null, v44, v1, vcc_lo
	;; [unrolled: 2-line block ×3, first 2 shown]
	s_waitcnt vmcnt(0)
	v_mul_f32_e32 v40, s11, v7
	v_mul_f32_e32 v7, s10, v7
	v_fma_f32 v40, v6, s10, -v40
	v_fmac_f32_e32 v7, s11, v6
	v_add_f32_e32 v6, v42, v40
	v_add_f32_e32 v7, v41, v7
	v_mul_f32_e32 v40, s15, v39
	v_mul_f32_e32 v39, s14, v39
	global_store_dwordx2 v[4:5], v[6:7], off
	global_load_dwordx2 v[6:7], v[2:3], off offset:128
	v_fma_f32 v40, v38, s14, -v40
	v_fmac_f32_e32 v39, s15, v38
	s_waitcnt vmcnt(0)
	v_mul_f32_e32 v41, s11, v7
	v_mul_f32_e32 v7, s10, v7
	v_fma_f32 v38, v6, s10, -v41
	v_fmac_f32_e32 v7, s11, v6
	v_add_f32_e32 v6, v40, v38
	v_add_f32_e32 v7, v39, v7
	v_mul_f32_e32 v38, s15, v37
	v_mul_f32_e32 v37, s14, v37
	global_store_dwordx2 v[4:5], v[6:7], off offset:128
	global_load_dwordx2 v[6:7], v[2:3], off offset:256
	v_fma_f32 v38, v36, s14, -v38
	v_fmac_f32_e32 v37, s15, v36
	s_waitcnt vmcnt(0)
	v_mul_f32_e32 v39, s11, v7
	v_mul_f32_e32 v7, s10, v7
	v_fma_f32 v36, v6, s10, -v39
	v_fmac_f32_e32 v7, s11, v6
	v_add_f32_e32 v6, v38, v36
	v_add_f32_e32 v7, v37, v7
	global_store_dwordx2 v[4:5], v[6:7], off offset:256
	global_load_dwordx2 v[2:3], v[2:3], off offset:384
	v_mul_f32_e32 v6, s15, v35
	v_mul_f32_e32 v7, s14, v35
	v_fma_f32 v6, v34, s14, -v6
	v_fmac_f32_e32 v7, s15, v34
	s_waitcnt vmcnt(0)
	v_mul_f32_e32 v35, s11, v3
	v_mul_f32_e32 v3, s10, v3
	v_fma_f32 v34, v2, s10, -v35
	v_fmac_f32_e32 v3, s11, v2
	v_add_f32_e32 v2, v6, v34
	v_add_co_u32 v6, vcc_lo, v8, v0
	v_add_f32_e32 v3, v7, v3
	v_add_co_ci_u32_e64 v7, null, v9, v1, vcc_lo
	v_add_co_u32 v34, vcc_lo, v43, s2
	global_store_dwordx2 v[4:5], v[2:3], off offset:384
	global_load_dwordx2 v[2:3], v[6:7], off
	v_mul_f32_e32 v4, s15, v33
	v_mul_f32_e32 v5, s14, v33
	v_add_co_ci_u32_e64 v35, null, s3, v44, vcc_lo
	v_fma_f32 v4, v32, s14, -v4
	v_fmac_f32_e32 v5, s15, v32
	s_waitcnt vmcnt(0)
	v_mul_f32_e32 v32, s11, v3
	v_mul_f32_e32 v33, s10, v3
	v_fma_f32 v32, v2, s10, -v32
	v_fmac_f32_e32 v33, s11, v2
	v_add_co_u32 v2, vcc_lo, v34, v0
	v_add_co_ci_u32_e64 v3, null, v35, v1, vcc_lo
	v_add_f32_e32 v4, v4, v32
	v_add_f32_e32 v5, v5, v33
	v_mul_f32_e32 v32, s15, v31
	v_mul_f32_e32 v31, s14, v31
	v_add_co_u32 v8, vcc_lo, v8, s0
	global_store_dwordx2 v[2:3], v[4:5], off
	global_load_dwordx2 v[4:5], v[6:7], off offset:128
	v_fma_f32 v32, v30, s14, -v32
	v_fmac_f32_e32 v31, s15, v30
	v_add_co_ci_u32_e64 v9, null, s1, v9, vcc_lo
	s_waitcnt vmcnt(0)
	v_mul_f32_e32 v33, s11, v5
	v_mul_f32_e32 v5, s10, v5
	v_fma_f32 v30, v4, s10, -v33
	v_fmac_f32_e32 v5, s11, v4
	v_add_f32_e32 v4, v32, v30
	v_add_f32_e32 v5, v31, v5
	v_mul_f32_e32 v30, s15, v29
	v_mul_f32_e32 v29, s14, v29
	global_store_dwordx2 v[2:3], v[4:5], off offset:128
	global_load_dwordx2 v[4:5], v[6:7], off offset:256
	v_fma_f32 v30, v28, s14, -v30
	v_fmac_f32_e32 v29, s15, v28
	s_waitcnt vmcnt(0)
	v_mul_f32_e32 v31, s11, v5
	v_mul_f32_e32 v5, s10, v5
	v_fma_f32 v28, v4, s10, -v31
	v_fmac_f32_e32 v5, s11, v4
	v_add_f32_e32 v4, v30, v28
	v_add_f32_e32 v5, v29, v5
	global_store_dwordx2 v[2:3], v[4:5], off offset:256
	global_load_dwordx2 v[4:5], v[6:7], off offset:384
	v_mul_f32_e32 v6, s15, v27
	v_mul_f32_e32 v7, s14, v27
	v_fma_f32 v6, v26, s14, -v6
	v_fmac_f32_e32 v7, s15, v26
	s_waitcnt vmcnt(0)
	v_mul_f32_e32 v27, s11, v5
	v_mul_f32_e32 v5, s10, v5
	v_fma_f32 v26, v4, s10, -v27
	v_fmac_f32_e32 v5, s11, v4
	v_add_f32_e32 v4, v6, v26
	v_add_co_u32 v6, vcc_lo, v8, v0
	v_add_f32_e32 v5, v7, v5
	v_add_co_ci_u32_e64 v7, null, v9, v1, vcc_lo
	v_add_co_u32 v26, vcc_lo, v34, s2
	global_store_dwordx2 v[2:3], v[4:5], off offset:384
	global_load_dwordx2 v[2:3], v[6:7], off
	v_mul_f32_e32 v4, s15, v25
	v_mul_f32_e32 v5, s14, v25
	v_add_co_ci_u32_e64 v27, null, s3, v35, vcc_lo
	v_fma_f32 v4, v24, s14, -v4
	v_fmac_f32_e32 v5, s15, v24
	s_waitcnt vmcnt(0)
	v_mul_f32_e32 v24, s11, v3
	v_mul_f32_e32 v25, s10, v3
	v_fma_f32 v24, v2, s10, -v24
	v_fmac_f32_e32 v25, s11, v2
	v_add_co_u32 v2, vcc_lo, v26, v0
	v_add_co_ci_u32_e64 v3, null, v27, v1, vcc_lo
	v_add_f32_e32 v4, v4, v24
	v_add_f32_e32 v5, v5, v25
	v_mul_f32_e32 v24, s15, v23
	v_mul_f32_e32 v23, s14, v23
	v_add_co_u32 v8, vcc_lo, v8, s0
	global_store_dwordx2 v[2:3], v[4:5], off
	global_load_dwordx2 v[4:5], v[6:7], off offset:128
	v_fma_f32 v24, v22, s14, -v24
	v_fmac_f32_e32 v23, s15, v22
	v_add_co_ci_u32_e64 v9, null, s1, v9, vcc_lo
	s_waitcnt vmcnt(0)
	v_mul_f32_e32 v25, s11, v5
	v_mul_f32_e32 v5, s10, v5
	v_fma_f32 v22, v4, s10, -v25
	v_fmac_f32_e32 v5, s11, v4
	v_add_f32_e32 v4, v24, v22
	v_add_f32_e32 v5, v23, v5
	v_mul_f32_e32 v22, s15, v21
	v_mul_f32_e32 v21, s14, v21
	global_store_dwordx2 v[2:3], v[4:5], off offset:128
	global_load_dwordx2 v[4:5], v[6:7], off offset:256
	v_fma_f32 v22, v20, s14, -v22
	v_fmac_f32_e32 v21, s15, v20
	s_waitcnt vmcnt(0)
	v_mul_f32_e32 v23, s11, v5
	v_mul_f32_e32 v5, s10, v5
	v_fma_f32 v20, v4, s10, -v23
	v_fmac_f32_e32 v5, s11, v4
	v_add_f32_e32 v4, v22, v20
	v_add_f32_e32 v5, v21, v5
	global_store_dwordx2 v[2:3], v[4:5], off offset:256
	global_load_dwordx2 v[4:5], v[6:7], off offset:384
	v_mul_f32_e32 v6, s15, v19
	v_mul_f32_e32 v7, s14, v19
	v_fma_f32 v6, v18, s14, -v6
	v_fmac_f32_e32 v7, s15, v18
	s_waitcnt vmcnt(0)
	v_mul_f32_e32 v19, s11, v5
	v_mul_f32_e32 v5, s10, v5
	v_fma_f32 v18, v4, s10, -v19
	v_fmac_f32_e32 v5, s11, v4
	v_add_f32_e32 v4, v6, v18
	v_add_co_u32 v6, vcc_lo, v8, v0
	v_add_f32_e32 v5, v7, v5
	v_add_co_ci_u32_e64 v7, null, v9, v1, vcc_lo
	v_add_co_u32 v9, vcc_lo, v26, s2
	global_store_dwordx2 v[2:3], v[4:5], off offset:384
	global_load_dwordx2 v[2:3], v[6:7], off
	v_mul_f32_e32 v4, s15, v17
	v_mul_f32_e32 v5, s14, v17
	v_fma_f32 v4, v16, s14, -v4
	v_fmac_f32_e32 v5, s15, v16
	v_add_co_ci_u32_e64 v16, null, s3, v27, vcc_lo
	v_add_co_u32 v0, vcc_lo, v9, v0
	v_add_co_ci_u32_e64 v1, null, v16, v1, vcc_lo
	s_waitcnt vmcnt(0)
	v_mul_f32_e32 v8, s11, v3
	v_mul_f32_e32 v3, s10, v3
	v_fma_f32 v8, v2, s10, -v8
	v_fmac_f32_e32 v3, s11, v2
	v_add_f32_e32 v2, v4, v8
	v_add_f32_e32 v3, v5, v3
	v_mul_f32_e32 v4, s15, v15
	v_mul_f32_e32 v5, s14, v15
	global_store_dwordx2 v[0:1], v[2:3], off
	global_load_dwordx2 v[2:3], v[6:7], off offset:128
	v_fma_f32 v4, v14, s14, -v4
	v_fmac_f32_e32 v5, s15, v14
	s_waitcnt vmcnt(0)
	v_mul_f32_e32 v8, s11, v3
	v_mul_f32_e32 v3, s10, v3
	v_fma_f32 v8, v2, s10, -v8
	v_fmac_f32_e32 v3, s11, v2
	v_add_f32_e32 v2, v4, v8
	v_add_f32_e32 v3, v5, v3
	v_mul_f32_e32 v4, s15, v13
	v_mul_f32_e32 v5, s14, v13
	global_store_dwordx2 v[0:1], v[2:3], off offset:128
	global_load_dwordx2 v[2:3], v[6:7], off offset:256
	v_fma_f32 v4, v12, s14, -v4
	v_fmac_f32_e32 v5, s15, v12
	s_waitcnt vmcnt(0)
	v_mul_f32_e32 v8, s11, v3
	v_mul_f32_e32 v3, s10, v3
	v_fma_f32 v8, v2, s10, -v8
	v_fmac_f32_e32 v3, s11, v2
	v_add_f32_e32 v2, v4, v8
	v_add_f32_e32 v3, v5, v3
	v_mul_f32_e32 v4, s15, v10
	v_mul_f32_e32 v5, s14, v10
	global_store_dwordx2 v[0:1], v[2:3], off offset:256
	global_load_dwordx2 v[2:3], v[6:7], off offset:384
	v_fma_f32 v4, v11, s14, -v4
	v_fmac_f32_e32 v5, s15, v11
	s_waitcnt vmcnt(0)
	v_mul_f32_e32 v6, s11, v3
	v_mul_f32_e32 v3, s10, v3
	v_fma_f32 v6, v2, s10, -v6
	v_fmac_f32_e32 v3, s11, v2
	v_add_co_u32 v2, vcc_lo, 0x180, v0
	v_add_f32_e32 v4, v4, v6
	v_add_f32_e32 v6, v5, v3
	v_add_co_ci_u32_e64 v3, null, 0, v1, vcc_lo
	global_store_dword v[0:1], v4, off offset:384
.LBB96_7:
	global_store_dword v[2:3], v6, off offset:4
	s_endpgm
	.section	.rodata,"a",@progbits
	.p2align	6, 0x0
	.amdhsa_kernel _ZN12_GLOBAL__N_127rocblas_gemm_batched_kernelI19rocblas_complex_numIfELi16ELi16ELi64ELi64ELi4ELi64ELi4ELi4ELi64ELc78ELc67EKS2_S3_S2_EEvlllT_PT11_llS6_llS4_PT12_llPT13_lli
		.amdhsa_group_segment_fixed_size 4096
		.amdhsa_private_segment_fixed_size 0
		.amdhsa_kernarg_size 140
		.amdhsa_user_sgpr_count 6
		.amdhsa_user_sgpr_private_segment_buffer 1
		.amdhsa_user_sgpr_dispatch_ptr 0
		.amdhsa_user_sgpr_queue_ptr 0
		.amdhsa_user_sgpr_kernarg_segment_ptr 1
		.amdhsa_user_sgpr_dispatch_id 0
		.amdhsa_user_sgpr_flat_scratch_init 0
		.amdhsa_user_sgpr_private_segment_size 0
		.amdhsa_wavefront_size32 1
		.amdhsa_uses_dynamic_stack 0
		.amdhsa_system_sgpr_private_segment_wavefront_offset 0
		.amdhsa_system_sgpr_workgroup_id_x 1
		.amdhsa_system_sgpr_workgroup_id_y 1
		.amdhsa_system_sgpr_workgroup_id_z 1
		.amdhsa_system_sgpr_workgroup_info 0
		.amdhsa_system_vgpr_workitem_id 1
		.amdhsa_next_free_vgpr 188
		.amdhsa_next_free_sgpr 32
		.amdhsa_reserve_vcc 1
		.amdhsa_reserve_flat_scratch 0
		.amdhsa_float_round_mode_32 0
		.amdhsa_float_round_mode_16_64 0
		.amdhsa_float_denorm_mode_32 3
		.amdhsa_float_denorm_mode_16_64 3
		.amdhsa_dx10_clamp 1
		.amdhsa_ieee_mode 1
		.amdhsa_fp16_overflow 0
		.amdhsa_workgroup_processor_mode 1
		.amdhsa_memory_ordered 1
		.amdhsa_forward_progress 1
		.amdhsa_shared_vgpr_count 0
		.amdhsa_exception_fp_ieee_invalid_op 0
		.amdhsa_exception_fp_denorm_src 0
		.amdhsa_exception_fp_ieee_div_zero 0
		.amdhsa_exception_fp_ieee_overflow 0
		.amdhsa_exception_fp_ieee_underflow 0
		.amdhsa_exception_fp_ieee_inexact 0
		.amdhsa_exception_int_div_zero 0
	.end_amdhsa_kernel
	.section	.text._ZN12_GLOBAL__N_127rocblas_gemm_batched_kernelI19rocblas_complex_numIfELi16ELi16ELi64ELi64ELi4ELi64ELi4ELi4ELi64ELc78ELc67EKS2_S3_S2_EEvlllT_PT11_llS6_llS4_PT12_llPT13_lli,"axG",@progbits,_ZN12_GLOBAL__N_127rocblas_gemm_batched_kernelI19rocblas_complex_numIfELi16ELi16ELi64ELi64ELi4ELi64ELi4ELi4ELi64ELc78ELc67EKS2_S3_S2_EEvlllT_PT11_llS6_llS4_PT12_llPT13_lli,comdat
.Lfunc_end96:
	.size	_ZN12_GLOBAL__N_127rocblas_gemm_batched_kernelI19rocblas_complex_numIfELi16ELi16ELi64ELi64ELi4ELi64ELi4ELi4ELi64ELc78ELc67EKS2_S3_S2_EEvlllT_PT11_llS6_llS4_PT12_llPT13_lli, .Lfunc_end96-_ZN12_GLOBAL__N_127rocblas_gemm_batched_kernelI19rocblas_complex_numIfELi16ELi16ELi64ELi64ELi4ELi64ELi4ELi4ELi64ELc78ELc67EKS2_S3_S2_EEvlllT_PT11_llS6_llS4_PT12_llPT13_lli
                                        ; -- End function
	.set _ZN12_GLOBAL__N_127rocblas_gemm_batched_kernelI19rocblas_complex_numIfELi16ELi16ELi64ELi64ELi4ELi64ELi4ELi4ELi64ELc78ELc67EKS2_S3_S2_EEvlllT_PT11_llS6_llS4_PT12_llPT13_lli.num_vgpr, 188
	.set _ZN12_GLOBAL__N_127rocblas_gemm_batched_kernelI19rocblas_complex_numIfELi16ELi16ELi64ELi64ELi4ELi64ELi4ELi4ELi64ELc78ELc67EKS2_S3_S2_EEvlllT_PT11_llS6_llS4_PT12_llPT13_lli.num_agpr, 0
	.set _ZN12_GLOBAL__N_127rocblas_gemm_batched_kernelI19rocblas_complex_numIfELi16ELi16ELi64ELi64ELi4ELi64ELi4ELi4ELi64ELc78ELc67EKS2_S3_S2_EEvlllT_PT11_llS6_llS4_PT12_llPT13_lli.numbered_sgpr, 32
	.set _ZN12_GLOBAL__N_127rocblas_gemm_batched_kernelI19rocblas_complex_numIfELi16ELi16ELi64ELi64ELi4ELi64ELi4ELi4ELi64ELc78ELc67EKS2_S3_S2_EEvlllT_PT11_llS6_llS4_PT12_llPT13_lli.num_named_barrier, 0
	.set _ZN12_GLOBAL__N_127rocblas_gemm_batched_kernelI19rocblas_complex_numIfELi16ELi16ELi64ELi64ELi4ELi64ELi4ELi4ELi64ELc78ELc67EKS2_S3_S2_EEvlllT_PT11_llS6_llS4_PT12_llPT13_lli.private_seg_size, 0
	.set _ZN12_GLOBAL__N_127rocblas_gemm_batched_kernelI19rocblas_complex_numIfELi16ELi16ELi64ELi64ELi4ELi64ELi4ELi4ELi64ELc78ELc67EKS2_S3_S2_EEvlllT_PT11_llS6_llS4_PT12_llPT13_lli.uses_vcc, 1
	.set _ZN12_GLOBAL__N_127rocblas_gemm_batched_kernelI19rocblas_complex_numIfELi16ELi16ELi64ELi64ELi4ELi64ELi4ELi4ELi64ELc78ELc67EKS2_S3_S2_EEvlllT_PT11_llS6_llS4_PT12_llPT13_lli.uses_flat_scratch, 0
	.set _ZN12_GLOBAL__N_127rocblas_gemm_batched_kernelI19rocblas_complex_numIfELi16ELi16ELi64ELi64ELi4ELi64ELi4ELi4ELi64ELc78ELc67EKS2_S3_S2_EEvlllT_PT11_llS6_llS4_PT12_llPT13_lli.has_dyn_sized_stack, 0
	.set _ZN12_GLOBAL__N_127rocblas_gemm_batched_kernelI19rocblas_complex_numIfELi16ELi16ELi64ELi64ELi4ELi64ELi4ELi4ELi64ELc78ELc67EKS2_S3_S2_EEvlllT_PT11_llS6_llS4_PT12_llPT13_lli.has_recursion, 0
	.set _ZN12_GLOBAL__N_127rocblas_gemm_batched_kernelI19rocblas_complex_numIfELi16ELi16ELi64ELi64ELi4ELi64ELi4ELi4ELi64ELc78ELc67EKS2_S3_S2_EEvlllT_PT11_llS6_llS4_PT12_llPT13_lli.has_indirect_call, 0
	.section	.AMDGPU.csdata,"",@progbits
; Kernel info:
; codeLenInByte = 4908
; TotalNumSgprs: 34
; NumVgprs: 188
; ScratchSize: 0
; MemoryBound: 0
; FloatMode: 240
; IeeeMode: 1
; LDSByteSize: 4096 bytes/workgroup (compile time only)
; SGPRBlocks: 0
; VGPRBlocks: 23
; NumSGPRsForWavesPerEU: 34
; NumVGPRsForWavesPerEU: 188
; Occupancy: 5
; WaveLimiterHint : 1
; COMPUTE_PGM_RSRC2:SCRATCH_EN: 0
; COMPUTE_PGM_RSRC2:USER_SGPR: 6
; COMPUTE_PGM_RSRC2:TRAP_HANDLER: 0
; COMPUTE_PGM_RSRC2:TGID_X_EN: 1
; COMPUTE_PGM_RSRC2:TGID_Y_EN: 1
; COMPUTE_PGM_RSRC2:TGID_Z_EN: 1
; COMPUTE_PGM_RSRC2:TIDIG_COMP_CNT: 1
	.section	.text._ZN12_GLOBAL__N_127rocblas_gemm_batched_kernelI19rocblas_complex_numIfELi16ELi16ELi64ELi64ELi4ELi64ELi4ELi4ELi64ELc84ELc67EKS2_S3_S2_EEvlllT_PT11_llS6_llS4_PT12_llPT13_lli,"axG",@progbits,_ZN12_GLOBAL__N_127rocblas_gemm_batched_kernelI19rocblas_complex_numIfELi16ELi16ELi64ELi64ELi4ELi64ELi4ELi4ELi64ELc84ELc67EKS2_S3_S2_EEvlllT_PT11_llS6_llS4_PT12_llPT13_lli,comdat
	.globl	_ZN12_GLOBAL__N_127rocblas_gemm_batched_kernelI19rocblas_complex_numIfELi16ELi16ELi64ELi64ELi4ELi64ELi4ELi4ELi64ELc84ELc67EKS2_S3_S2_EEvlllT_PT11_llS6_llS4_PT12_llPT13_lli ; -- Begin function _ZN12_GLOBAL__N_127rocblas_gemm_batched_kernelI19rocblas_complex_numIfELi16ELi16ELi64ELi64ELi4ELi64ELi4ELi4ELi64ELc84ELc67EKS2_S3_S2_EEvlllT_PT11_llS6_llS4_PT12_llPT13_lli
	.p2align	8
	.type	_ZN12_GLOBAL__N_127rocblas_gemm_batched_kernelI19rocblas_complex_numIfELi16ELi16ELi64ELi64ELi4ELi64ELi4ELi4ELi64ELc84ELc67EKS2_S3_S2_EEvlllT_PT11_llS6_llS4_PT12_llPT13_lli,@function
_ZN12_GLOBAL__N_127rocblas_gemm_batched_kernelI19rocblas_complex_numIfELi16ELi16ELi64ELi64ELi4ELi64ELi4ELi4ELi64ELc84ELc67EKS2_S3_S2_EEvlllT_PT11_llS6_llS4_PT12_llPT13_lli: ; @_ZN12_GLOBAL__N_127rocblas_gemm_batched_kernelI19rocblas_complex_numIfELi16ELi16ELi64ELi64ELi4ELi64ELi4ELi4ELi64ELc84ELc67EKS2_S3_S2_EEvlllT_PT11_llS6_llS4_PT12_llPT13_lli
; %bb.0:
	s_clause 0x1
	s_load_dwordx16 s[12:27], s[4:5], 0x10
	s_load_dwordx2 s[10:11], s[4:5], 0x50
	s_mov_b32 s0, s7
	v_mov_b32_e32 v40, 0
	v_mov_b32_e32 v41, 0
	;; [unrolled: 1-line block ×17, first 2 shown]
	s_waitcnt lgkmcnt(0)
	v_cmp_lt_i64_e64 s2, s[12:13], 1
	v_mov_b32_e32 v25, 0
	v_mov_b32_e32 v22, 0
	;; [unrolled: 1-line block ×15, first 2 shown]
	s_ashr_i32 s7, s6, 31
	s_ashr_i32 s1, s0, 31
	s_lshl_b64 s[28:29], s[6:7], 6
	s_and_b32 vcc_lo, exec_lo, s2
	s_lshl_b64 s[30:31], s[0:1], 6
	s_cbranch_vccnz .LBB97_3
; %bb.1:
	v_lshl_add_u32 v6, v1, 4, v0
	v_and_b32_e32 v7, 3, v0
	s_mul_i32 s1, s21, s8
	s_mul_hi_u32 s2, s20, s8
	s_mul_hi_u32 s3, s26, s8
	v_lshrrev_b32_e32 v8, 2, v6
	v_and_b32_e32 v9, 63, v6
	v_lshlrev_b32_e32 v13, 3, v7
	v_lshrrev_b32_e32 v14, 6, v6
	s_add_i32 s1, s2, s1
	v_add_co_u32 v2, s0, v8, s30
	v_add_co_ci_u32_e64 v3, null, 0, s31, s0
	v_add_co_u32 v4, s0, s28, v9
	v_add_co_ci_u32_e64 v5, null, s29, 0, s0
	v_mad_u64_u32 v[2:3], null, s24, v7, v[2:3]
	v_mul_lo_u32 v11, s19, v4
	v_mul_lo_u32 v12, s18, v5
	v_mad_u64_u32 v[4:5], null, s18, v4, 0
	s_mul_i32 s0, s20, s8
	s_mul_i32 s2, s27, s8
	s_lshl_b64 s[0:1], s[0:1], 3
	s_add_i32 s3, s3, s2
	s_mul_i32 s2, s26, s8
	v_lshlrev_b32_e32 v9, 3, v9
	v_mad_u64_u32 v[6:7], null, s25, v7, v[3:4]
	v_add3_u32 v5, v5, v12, v11
	v_lshl_or_b32 v3, v8, 5, v13
	v_mov_b32_e32 v10, 0
	v_lshlrev_b32_e32 v42, 3, v0
	v_lshl_add_u32 v43, v1, 5, 0x800
	v_lshlrev_b64 v[4:5], 3, v[4:5]
	v_add_nc_u32_e32 v45, 0x800, v3
	v_mov_b32_e32 v3, v6
	v_lshlrev_b32_e32 v6, 3, v14
	v_lshl_or_b32 v44, v14, 9, v9
	v_mov_b32_e32 v11, 0
	v_add_co_u32 v4, vcc_lo, v4, s0
	v_lshlrev_b64 v[2:3], 3, v[2:3]
	v_add_co_ci_u32_e64 v5, null, s1, v5, vcc_lo
	s_lshl_b64 s[0:1], s[2:3], 3
	v_add_co_u32 v4, vcc_lo, v4, v6
	s_add_u32 s0, s22, s0
	v_add_co_ci_u32_e64 v5, null, 0, v5, vcc_lo
	s_addc_u32 s1, s23, s1
	v_add_co_u32 v6, vcc_lo, s0, v2
	v_add_co_ci_u32_e64 v7, null, s1, v3, vcc_lo
	v_add_co_u32 v2, vcc_lo, s16, v4
	v_add_co_ci_u32_e64 v3, null, s17, v5, vcc_lo
	;; [unrolled: 2-line block ×3, first 2 shown]
	v_mov_b32_e32 v13, 0
	v_mov_b32_e32 v12, 0
	;; [unrolled: 1-line block ×30, first 2 shown]
	s_lshl_b64 s[0:1], s[24:25], 5
	s_mov_b64 s[2:3], 0
.LBB97_2:                               ; =>This Inner Loop Header: Depth=1
	global_load_dwordx2 v[6:7], v[4:5], off offset:-4
	global_load_dwordx2 v[8:9], v[2:3], off
	s_add_u32 s2, s2, 4
	s_addc_u32 s3, s3, 0
	v_add_co_u32 v2, vcc_lo, v2, 32
	v_cmp_lt_i64_e64 s6, s[2:3], s[12:13]
	v_add_co_ci_u32_e64 v3, null, 0, v3, vcc_lo
	v_add_co_u32 v4, vcc_lo, v4, s0
	v_add_co_ci_u32_e64 v5, null, s1, v5, vcc_lo
	s_and_b32 vcc_lo, exec_lo, s6
	s_waitcnt vmcnt(1)
	v_xor_b32_e32 v7, 0x80000000, v7
	s_waitcnt vmcnt(0)
	ds_write_b64 v44, v[8:9]
	ds_write_b64 v45, v[6:7]
	s_waitcnt lgkmcnt(0)
	s_barrier
	buffer_gl0_inv
	ds_read_b128 v[6:9], v43
	ds_read2_b64 v[46:49], v42 offset1:16
	ds_read_b128 v[50:53], v43 offset:512
	ds_read_b128 v[54:57], v43 offset:16
	;; [unrolled: 1-line block ×7, first 2 shown]
	ds_read2_b64 v[78:81], v42 offset0:32 offset1:48
	ds_read2_b64 v[82:85], v42 offset0:64 offset1:80
	;; [unrolled: 1-line block ×7, first 2 shown]
	s_waitcnt lgkmcnt(0)
	s_barrier
	buffer_gl0_inv
	v_mul_f32_e32 v106, v7, v47
	v_mul_f32_e32 v107, v6, v47
	;; [unrolled: 1-line block ×64, first 2 shown]
	v_fma_f32 v106, v6, v46, -v106
	v_fmac_f32_e32 v107, v7, v46
	v_fma_f32 v108, v6, v48, -v108
	v_fmac_f32_e32 v109, v7, v48
	;; [unrolled: 2-line block ×16, first 2 shown]
	v_mul_f32_e32 v162, v55, v91
	v_mul_f32_e32 v163, v54, v91
	;; [unrolled: 1-line block ×28, first 2 shown]
	v_fma_f32 v124, v8, v82, -v134
	v_fmac_f32_e32 v135, v9, v82
	v_fma_f32 v126, v8, v84, -v136
	v_fmac_f32_e32 v137, v9, v84
	v_fma_f32 v128, v8, v86, -v138
	v_fmac_f32_e32 v139, v9, v86
	v_fma_f32 v8, v8, v88, -v140
	v_fmac_f32_e32 v141, v9, v88
	v_mul_f32_e32 v9, v75, v95
	v_mul_f32_e32 v95, v74, v95
	;; [unrolled: 1-line block ×4, first 2 shown]
	v_fma_f32 v132, v52, v82, -v142
	v_fmac_f32_e32 v143, v53, v82
	v_fma_f32 v133, v52, v84, -v144
	v_fmac_f32_e32 v145, v53, v84
	;; [unrolled: 2-line block ×4, first 2 shown]
	v_mul_f32_e32 v136, v56, v99
	v_mul_f32_e32 v140, v56, v101
	v_fma_f32 v142, v64, v82, -v150
	v_fmac_f32_e32 v151, v65, v82
	v_fma_f32 v144, v64, v84, -v152
	v_fmac_f32_e32 v153, v65, v84
	;; [unrolled: 2-line block ×4, first 2 shown]
	v_mul_f32_e32 v148, v56, v103
	v_mul_f32_e32 v152, v56, v105
	v_fma_f32 v154, v72, v82, -v158
	v_fmac_f32_e32 v83, v73, v82
	v_fma_f32 v82, v72, v84, -v159
	v_fmac_f32_e32 v85, v73, v84
	;; [unrolled: 2-line block ×4, first 2 shown]
	v_add_f32_e32 v40, v40, v106
	v_add_f32_e32 v41, v41, v107
	;; [unrolled: 1-line block ×32, first 2 shown]
	v_mul_f32_e32 v53, v57, v99
	v_mul_f32_e32 v138, v57, v101
	;; [unrolled: 1-line block ×16, first 2 shown]
	v_fma_f32 v162, v54, v90, -v162
	v_fmac_f32_e32 v163, v55, v90
	v_fma_f32 v164, v54, v92, -v164
	v_fmac_f32_e32 v165, v55, v92
	;; [unrolled: 2-line block ×8, first 2 shown]
	v_mul_f32_e32 v92, v69, v103
	v_mul_f32_e32 v175, v68, v103
	v_mul_f32_e32 v186, v69, v105
	v_mul_f32_e32 v187, v68, v105
	v_fma_f32 v176, v54, v94, -v176
	v_fmac_f32_e32 v177, v55, v94
	v_fma_f32 v54, v54, v96, -v178
	v_fmac_f32_e32 v179, v55, v96
	;; [unrolled: 2-line block ×8, first 2 shown]
	v_mul_f32_e32 v67, v77, v99
	v_mul_f32_e32 v71, v76, v99
	;; [unrolled: 1-line block ×4, first 2 shown]
	v_fmac_f32_e32 v136, v57, v98
	v_fmac_f32_e32 v140, v57, v100
	;; [unrolled: 1-line block ×4, first 2 shown]
	v_mul_f32_e32 v57, v77, v103
	v_mul_f32_e32 v94, v76, v103
	;; [unrolled: 1-line block ×4, first 2 shown]
	v_add_f32_e32 v29, v40, v124
	v_add_f32_e32 v35, v41, v135
	;; [unrolled: 1-line block ×32, first 2 shown]
	v_fma_f32 v53, v56, v98, -v53
	v_fma_f32 v80, v56, v100, -v138
	;; [unrolled: 1-line block ×5, first 2 shown]
	v_fmac_f32_e32 v156, v61, v98
	v_fma_f32 v101, v60, v100, -v158
	v_fmac_f32_e32 v159, v61, v100
	v_fma_f32 v73, v60, v102, -v73
	;; [unrolled: 2-line block ×11, first 2 shown]
	v_fmac_f32_e32 v99, v77, v104
	v_add_f32_e32 v29, v29, v162
	v_add_f32_e32 v34, v35, v163
	;; [unrolled: 1-line block ×64, first 2 shown]
	s_cbranch_vccnz .LBB97_2
.LBB97_3:
	s_clause 0x1
	s_load_dwordx4 s[16:19], s[4:5], 0x78
	s_load_dwordx8 s[0:7], s[4:5], 0x58
	s_waitcnt lgkmcnt(0)
	s_mul_i32 s9, s19, s8
	s_mul_hi_u32 s13, s18, s8
	s_mul_i32 s12, s18, s8
	s_add_i32 s13, s13, s9
	s_lshl_b64 s[12:13], s[12:13], 3
	s_add_u32 s9, s6, s12
	s_addc_u32 s12, s7, s13
	v_add_co_u32 v4, s7, s30, v1
	v_add_co_ci_u32_e64 v5, null, s31, 0, s7
	v_add_co_u32 v0, s7, s28, v0
	s_or_b32 s6, s10, s11
	v_add_co_ci_u32_e64 v1, null, s29, 0, s7
	s_bitset0_b32 s6, 31
	s_mov_b32 s13, 0
	s_cmp_lg_u32 s6, 0
	s_cbranch_scc1 .LBB97_5
; %bb.4:
	v_mul_lo_u32 v6, v5, s16
	v_mul_lo_u32 v8, v4, s17
	v_mad_u64_u32 v[2:3], null, v4, s16, 0
	v_mul_f32_e32 v42, s15, v41
	v_mul_f32_e32 v7, s14, v41
	;; [unrolled: 1-line block ×6, first 2 shown]
	v_add3_u32 v3, v3, v8, v6
	v_lshlrev_b64 v[8:9], 3, v[0:1]
	v_mul_f32_e32 v48, s15, v35
	v_mul_f32_e32 v47, s14, v35
	v_fma_f32 v6, v40, s14, -v42
	v_lshlrev_b64 v[2:3], 3, v[2:3]
	v_fmac_f32_e32 v7, s15, v40
	v_fma_f32 v42, v38, s14, -v44
	v_fmac_f32_e32 v43, s15, v38
	s_lshl_b64 s[6:7], s[16:17], 7
	v_fma_f32 v44, v36, s14, -v46
	v_add_co_u32 v49, vcc_lo, s9, v2
	v_add_co_ci_u32_e64 v50, null, s12, v3, vcc_lo
	v_fmac_f32_e32 v45, s15, v36
	v_add_co_u32 v2, vcc_lo, v49, v8
	v_add_co_ci_u32_e64 v3, null, v50, v9, vcc_lo
	v_fma_f32 v46, v34, s14, -v48
	v_fmac_f32_e32 v47, s15, v34
	v_add_co_u32 v48, vcc_lo, v49, s6
	global_store_dwordx2 v[2:3], v[6:7], off
	global_store_dwordx2 v[2:3], v[42:43], off offset:128
	global_store_dwordx2 v[2:3], v[44:45], off offset:256
	;; [unrolled: 1-line block ×3, first 2 shown]
	v_mul_f32_e32 v2, s15, v33
	v_mul_f32_e32 v3, s14, v33
	v_add_co_ci_u32_e64 v49, null, s7, v50, vcc_lo
	v_mul_f32_e32 v6, s15, v31
	v_mul_f32_e32 v7, s14, v31
	;; [unrolled: 1-line block ×4, first 2 shown]
	v_add_co_u32 v44, vcc_lo, v48, v8
	v_fma_f32 v2, v32, s14, -v2
	v_fmac_f32_e32 v3, s15, v32
	v_add_co_ci_u32_e64 v45, null, v49, v9, vcc_lo
	v_fma_f32 v6, v30, s14, -v6
	v_fmac_f32_e32 v7, s15, v30
	v_fma_f32 v42, v28, s14, -v42
	v_fmac_f32_e32 v43, s15, v28
	v_add_co_u32 v52, vcc_lo, v48, s6
	v_mul_f32_e32 v46, s15, v27
	v_mul_f32_e32 v47, s14, v27
	global_store_dwordx2 v[44:45], v[2:3], off
	global_store_dwordx2 v[44:45], v[6:7], off offset:128
	global_store_dwordx2 v[44:45], v[42:43], off offset:256
	v_mul_f32_e32 v2, s15, v25
	v_mul_f32_e32 v3, s14, v25
	v_add_co_ci_u32_e64 v53, null, s7, v49, vcc_lo
	v_mul_f32_e32 v42, s15, v23
	v_mul_f32_e32 v43, s14, v23
	;; [unrolled: 1-line block ×4, first 2 shown]
	v_add_co_u32 v6, vcc_lo, v52, v8
	v_mul_f32_e32 v50, s15, v19
	v_mul_f32_e32 v51, s14, v19
	v_fma_f32 v46, v26, s14, -v46
	v_fmac_f32_e32 v47, s15, v26
	v_fma_f32 v2, v24, s14, -v2
	v_fmac_f32_e32 v3, s15, v24
	v_add_co_ci_u32_e64 v7, null, v53, v9, vcc_lo
	v_fma_f32 v42, v22, s14, -v42
	v_fmac_f32_e32 v43, s15, v22
	v_fma_f32 v48, v20, s14, -v48
	v_fmac_f32_e32 v49, s15, v20
	v_fma_f32 v50, v18, s14, -v50
	v_fmac_f32_e32 v51, s15, v18
	global_store_dwordx2 v[44:45], v[46:47], off offset:384
	global_store_dwordx2 v[6:7], v[2:3], off
	global_store_dwordx2 v[6:7], v[42:43], off offset:128
	global_store_dwordx2 v[6:7], v[48:49], off offset:256
	;; [unrolled: 1-line block ×3, first 2 shown]
	v_mul_f32_e32 v2, s15, v17
	v_add_co_u32 v3, vcc_lo, v52, s6
	v_add_co_ci_u32_e64 v6, null, s7, v53, vcc_lo
	v_fma_f32 v42, v16, s14, -v2
	v_mul_f32_e32 v2, s15, v15
	v_add_co_u32 v7, vcc_lo, v3, v8
	v_mul_f32_e32 v43, s14, v17
	v_add_co_ci_u32_e64 v8, null, v6, v9, vcc_lo
	v_fma_f32 v44, v14, s14, -v2
	v_mul_f32_e32 v2, s15, v13
	v_mul_f32_e32 v3, s15, v10
	v_mul_f32_e32 v6, s14, v10
	v_mul_f32_e32 v45, s14, v15
	v_mul_f32_e32 v47, s14, v13
	v_fma_f32 v46, v12, s14, -v2
	v_add_co_u32 v2, vcc_lo, 0x180, v7
	v_fmac_f32_e32 v43, s15, v16
	v_fma_f32 v9, v11, s14, -v3
	v_fmac_f32_e32 v6, s15, v11
	v_add_co_ci_u32_e64 v3, null, 0, v8, vcc_lo
	v_fmac_f32_e32 v45, s15, v14
	v_fmac_f32_e32 v47, s15, v12
	global_store_dwordx2 v[7:8], v[42:43], off
	global_store_dwordx2 v[7:8], v[44:45], off offset:128
	global_store_dwordx2 v[7:8], v[46:47], off offset:256
	global_store_dword v[7:8], v9, off offset:384
	s_andn2_b32 vcc_lo, exec_lo, s13
	s_cbranch_vccz .LBB97_6
	s_branch .LBB97_7
.LBB97_5:
                                        ; implicit-def: $vgpr6
                                        ; implicit-def: $vgpr2_vgpr3
.LBB97_6:
	v_mul_lo_u32 v6, v5, s2
	v_mul_lo_u32 v7, v4, s3
	v_mad_u64_u32 v[2:3], null, v4, s2, 0
	s_mul_i32 s5, s5, s8
	s_mul_hi_u32 s6, s4, s8
	s_mul_i32 s4, s4, s8
	s_add_i32 s5, s6, s5
	v_lshlrev_b64 v[0:1], 3, v[0:1]
	s_lshl_b64 s[4:5], s[4:5], 3
	v_add3_u32 v3, v3, v7, v6
	s_add_u32 s0, s0, s4
	s_addc_u32 s1, s1, s5
	v_mul_lo_u32 v42, v5, s16
	v_mul_lo_u32 v43, v4, s17
	v_lshlrev_b64 v[2:3], 3, v[2:3]
	v_mad_u64_u32 v[4:5], null, v4, s16, 0
	v_add_co_u32 v8, vcc_lo, s0, v2
	v_add_co_ci_u32_e64 v9, null, s1, v3, vcc_lo
	v_add3_u32 v5, v5, v43, v42
	v_add_co_u32 v2, vcc_lo, v8, v0
	v_add_co_ci_u32_e64 v3, null, v9, v1, vcc_lo
	v_mul_f32_e32 v42, s15, v41
	v_mul_f32_e32 v41, s14, v41
	v_lshlrev_b64 v[4:5], 3, v[4:5]
	global_load_dwordx2 v[6:7], v[2:3], off
	s_lshl_b64 s[0:1], s[2:3], 7
	v_fma_f32 v42, v40, s14, -v42
	v_fmac_f32_e32 v41, s15, v40
	s_lshl_b64 s[2:3], s[16:17], 7
	v_add_co_u32 v43, vcc_lo, s9, v4
	v_add_co_ci_u32_e64 v44, null, s12, v5, vcc_lo
	v_add_co_u32 v4, vcc_lo, v43, v0
	v_add_co_ci_u32_e64 v5, null, v44, v1, vcc_lo
	;; [unrolled: 2-line block ×3, first 2 shown]
	s_waitcnt vmcnt(0)
	v_mul_f32_e32 v40, s11, v7
	v_mul_f32_e32 v7, s10, v7
	v_fma_f32 v40, v6, s10, -v40
	v_fmac_f32_e32 v7, s11, v6
	v_add_f32_e32 v6, v42, v40
	v_add_f32_e32 v7, v41, v7
	v_mul_f32_e32 v40, s15, v39
	v_mul_f32_e32 v39, s14, v39
	global_store_dwordx2 v[4:5], v[6:7], off
	global_load_dwordx2 v[6:7], v[2:3], off offset:128
	v_fma_f32 v40, v38, s14, -v40
	v_fmac_f32_e32 v39, s15, v38
	s_waitcnt vmcnt(0)
	v_mul_f32_e32 v41, s11, v7
	v_mul_f32_e32 v7, s10, v7
	v_fma_f32 v38, v6, s10, -v41
	v_fmac_f32_e32 v7, s11, v6
	v_add_f32_e32 v6, v40, v38
	v_add_f32_e32 v7, v39, v7
	v_mul_f32_e32 v38, s15, v37
	v_mul_f32_e32 v37, s14, v37
	global_store_dwordx2 v[4:5], v[6:7], off offset:128
	global_load_dwordx2 v[6:7], v[2:3], off offset:256
	v_fma_f32 v38, v36, s14, -v38
	v_fmac_f32_e32 v37, s15, v36
	s_waitcnt vmcnt(0)
	v_mul_f32_e32 v39, s11, v7
	v_mul_f32_e32 v7, s10, v7
	v_fma_f32 v36, v6, s10, -v39
	v_fmac_f32_e32 v7, s11, v6
	v_add_f32_e32 v6, v38, v36
	v_add_f32_e32 v7, v37, v7
	global_store_dwordx2 v[4:5], v[6:7], off offset:256
	global_load_dwordx2 v[2:3], v[2:3], off offset:384
	v_mul_f32_e32 v6, s15, v35
	v_mul_f32_e32 v7, s14, v35
	v_fma_f32 v6, v34, s14, -v6
	v_fmac_f32_e32 v7, s15, v34
	s_waitcnt vmcnt(0)
	v_mul_f32_e32 v35, s11, v3
	v_mul_f32_e32 v3, s10, v3
	v_fma_f32 v34, v2, s10, -v35
	v_fmac_f32_e32 v3, s11, v2
	v_add_f32_e32 v2, v6, v34
	v_add_co_u32 v6, vcc_lo, v8, v0
	v_add_f32_e32 v3, v7, v3
	v_add_co_ci_u32_e64 v7, null, v9, v1, vcc_lo
	v_add_co_u32 v34, vcc_lo, v43, s2
	global_store_dwordx2 v[4:5], v[2:3], off offset:384
	global_load_dwordx2 v[2:3], v[6:7], off
	v_mul_f32_e32 v4, s15, v33
	v_mul_f32_e32 v5, s14, v33
	v_add_co_ci_u32_e64 v35, null, s3, v44, vcc_lo
	v_fma_f32 v4, v32, s14, -v4
	v_fmac_f32_e32 v5, s15, v32
	s_waitcnt vmcnt(0)
	v_mul_f32_e32 v32, s11, v3
	v_mul_f32_e32 v33, s10, v3
	v_fma_f32 v32, v2, s10, -v32
	v_fmac_f32_e32 v33, s11, v2
	v_add_co_u32 v2, vcc_lo, v34, v0
	v_add_co_ci_u32_e64 v3, null, v35, v1, vcc_lo
	v_add_f32_e32 v4, v4, v32
	v_add_f32_e32 v5, v5, v33
	v_mul_f32_e32 v32, s15, v31
	v_mul_f32_e32 v31, s14, v31
	v_add_co_u32 v8, vcc_lo, v8, s0
	global_store_dwordx2 v[2:3], v[4:5], off
	global_load_dwordx2 v[4:5], v[6:7], off offset:128
	v_fma_f32 v32, v30, s14, -v32
	v_fmac_f32_e32 v31, s15, v30
	v_add_co_ci_u32_e64 v9, null, s1, v9, vcc_lo
	s_waitcnt vmcnt(0)
	v_mul_f32_e32 v33, s11, v5
	v_mul_f32_e32 v5, s10, v5
	v_fma_f32 v30, v4, s10, -v33
	v_fmac_f32_e32 v5, s11, v4
	v_add_f32_e32 v4, v32, v30
	v_add_f32_e32 v5, v31, v5
	v_mul_f32_e32 v30, s15, v29
	v_mul_f32_e32 v29, s14, v29
	global_store_dwordx2 v[2:3], v[4:5], off offset:128
	global_load_dwordx2 v[4:5], v[6:7], off offset:256
	v_fma_f32 v30, v28, s14, -v30
	v_fmac_f32_e32 v29, s15, v28
	s_waitcnt vmcnt(0)
	v_mul_f32_e32 v31, s11, v5
	v_mul_f32_e32 v5, s10, v5
	v_fma_f32 v28, v4, s10, -v31
	v_fmac_f32_e32 v5, s11, v4
	v_add_f32_e32 v4, v30, v28
	v_add_f32_e32 v5, v29, v5
	global_store_dwordx2 v[2:3], v[4:5], off offset:256
	global_load_dwordx2 v[4:5], v[6:7], off offset:384
	v_mul_f32_e32 v6, s15, v27
	v_mul_f32_e32 v7, s14, v27
	v_fma_f32 v6, v26, s14, -v6
	v_fmac_f32_e32 v7, s15, v26
	s_waitcnt vmcnt(0)
	v_mul_f32_e32 v27, s11, v5
	v_mul_f32_e32 v5, s10, v5
	v_fma_f32 v26, v4, s10, -v27
	v_fmac_f32_e32 v5, s11, v4
	v_add_f32_e32 v4, v6, v26
	v_add_co_u32 v6, vcc_lo, v8, v0
	v_add_f32_e32 v5, v7, v5
	v_add_co_ci_u32_e64 v7, null, v9, v1, vcc_lo
	v_add_co_u32 v26, vcc_lo, v34, s2
	global_store_dwordx2 v[2:3], v[4:5], off offset:384
	global_load_dwordx2 v[2:3], v[6:7], off
	v_mul_f32_e32 v4, s15, v25
	v_mul_f32_e32 v5, s14, v25
	v_add_co_ci_u32_e64 v27, null, s3, v35, vcc_lo
	v_fma_f32 v4, v24, s14, -v4
	v_fmac_f32_e32 v5, s15, v24
	s_waitcnt vmcnt(0)
	v_mul_f32_e32 v24, s11, v3
	v_mul_f32_e32 v25, s10, v3
	v_fma_f32 v24, v2, s10, -v24
	v_fmac_f32_e32 v25, s11, v2
	v_add_co_u32 v2, vcc_lo, v26, v0
	v_add_co_ci_u32_e64 v3, null, v27, v1, vcc_lo
	v_add_f32_e32 v4, v4, v24
	v_add_f32_e32 v5, v5, v25
	v_mul_f32_e32 v24, s15, v23
	v_mul_f32_e32 v23, s14, v23
	v_add_co_u32 v8, vcc_lo, v8, s0
	global_store_dwordx2 v[2:3], v[4:5], off
	global_load_dwordx2 v[4:5], v[6:7], off offset:128
	v_fma_f32 v24, v22, s14, -v24
	v_fmac_f32_e32 v23, s15, v22
	v_add_co_ci_u32_e64 v9, null, s1, v9, vcc_lo
	s_waitcnt vmcnt(0)
	v_mul_f32_e32 v25, s11, v5
	v_mul_f32_e32 v5, s10, v5
	v_fma_f32 v22, v4, s10, -v25
	v_fmac_f32_e32 v5, s11, v4
	v_add_f32_e32 v4, v24, v22
	v_add_f32_e32 v5, v23, v5
	v_mul_f32_e32 v22, s15, v21
	v_mul_f32_e32 v21, s14, v21
	global_store_dwordx2 v[2:3], v[4:5], off offset:128
	global_load_dwordx2 v[4:5], v[6:7], off offset:256
	v_fma_f32 v22, v20, s14, -v22
	v_fmac_f32_e32 v21, s15, v20
	s_waitcnt vmcnt(0)
	v_mul_f32_e32 v23, s11, v5
	v_mul_f32_e32 v5, s10, v5
	v_fma_f32 v20, v4, s10, -v23
	v_fmac_f32_e32 v5, s11, v4
	v_add_f32_e32 v4, v22, v20
	v_add_f32_e32 v5, v21, v5
	global_store_dwordx2 v[2:3], v[4:5], off offset:256
	global_load_dwordx2 v[4:5], v[6:7], off offset:384
	v_mul_f32_e32 v6, s15, v19
	v_mul_f32_e32 v7, s14, v19
	v_fma_f32 v6, v18, s14, -v6
	v_fmac_f32_e32 v7, s15, v18
	s_waitcnt vmcnt(0)
	v_mul_f32_e32 v19, s11, v5
	v_mul_f32_e32 v5, s10, v5
	v_fma_f32 v18, v4, s10, -v19
	v_fmac_f32_e32 v5, s11, v4
	v_add_f32_e32 v4, v6, v18
	v_add_co_u32 v6, vcc_lo, v8, v0
	v_add_f32_e32 v5, v7, v5
	v_add_co_ci_u32_e64 v7, null, v9, v1, vcc_lo
	v_add_co_u32 v9, vcc_lo, v26, s2
	global_store_dwordx2 v[2:3], v[4:5], off offset:384
	global_load_dwordx2 v[2:3], v[6:7], off
	v_mul_f32_e32 v4, s15, v17
	v_mul_f32_e32 v5, s14, v17
	v_fma_f32 v4, v16, s14, -v4
	v_fmac_f32_e32 v5, s15, v16
	v_add_co_ci_u32_e64 v16, null, s3, v27, vcc_lo
	v_add_co_u32 v0, vcc_lo, v9, v0
	v_add_co_ci_u32_e64 v1, null, v16, v1, vcc_lo
	s_waitcnt vmcnt(0)
	v_mul_f32_e32 v8, s11, v3
	v_mul_f32_e32 v3, s10, v3
	v_fma_f32 v8, v2, s10, -v8
	v_fmac_f32_e32 v3, s11, v2
	v_add_f32_e32 v2, v4, v8
	v_add_f32_e32 v3, v5, v3
	v_mul_f32_e32 v4, s15, v15
	v_mul_f32_e32 v5, s14, v15
	global_store_dwordx2 v[0:1], v[2:3], off
	global_load_dwordx2 v[2:3], v[6:7], off offset:128
	v_fma_f32 v4, v14, s14, -v4
	v_fmac_f32_e32 v5, s15, v14
	s_waitcnt vmcnt(0)
	v_mul_f32_e32 v8, s11, v3
	v_mul_f32_e32 v3, s10, v3
	v_fma_f32 v8, v2, s10, -v8
	v_fmac_f32_e32 v3, s11, v2
	v_add_f32_e32 v2, v4, v8
	v_add_f32_e32 v3, v5, v3
	v_mul_f32_e32 v4, s15, v13
	v_mul_f32_e32 v5, s14, v13
	global_store_dwordx2 v[0:1], v[2:3], off offset:128
	global_load_dwordx2 v[2:3], v[6:7], off offset:256
	v_fma_f32 v4, v12, s14, -v4
	v_fmac_f32_e32 v5, s15, v12
	s_waitcnt vmcnt(0)
	v_mul_f32_e32 v8, s11, v3
	v_mul_f32_e32 v3, s10, v3
	v_fma_f32 v8, v2, s10, -v8
	v_fmac_f32_e32 v3, s11, v2
	v_add_f32_e32 v2, v4, v8
	v_add_f32_e32 v3, v5, v3
	v_mul_f32_e32 v4, s15, v10
	v_mul_f32_e32 v5, s14, v10
	global_store_dwordx2 v[0:1], v[2:3], off offset:256
	global_load_dwordx2 v[2:3], v[6:7], off offset:384
	v_fma_f32 v4, v11, s14, -v4
	v_fmac_f32_e32 v5, s15, v11
	s_waitcnt vmcnt(0)
	v_mul_f32_e32 v6, s11, v3
	v_mul_f32_e32 v3, s10, v3
	v_fma_f32 v6, v2, s10, -v6
	v_fmac_f32_e32 v3, s11, v2
	v_add_co_u32 v2, vcc_lo, 0x180, v0
	v_add_f32_e32 v4, v4, v6
	v_add_f32_e32 v6, v5, v3
	v_add_co_ci_u32_e64 v3, null, 0, v1, vcc_lo
	global_store_dword v[0:1], v4, off offset:384
.LBB97_7:
	global_store_dword v[2:3], v6, off offset:4
	s_endpgm
	.section	.rodata,"a",@progbits
	.p2align	6, 0x0
	.amdhsa_kernel _ZN12_GLOBAL__N_127rocblas_gemm_batched_kernelI19rocblas_complex_numIfELi16ELi16ELi64ELi64ELi4ELi64ELi4ELi4ELi64ELc84ELc67EKS2_S3_S2_EEvlllT_PT11_llS6_llS4_PT12_llPT13_lli
		.amdhsa_group_segment_fixed_size 4096
		.amdhsa_private_segment_fixed_size 0
		.amdhsa_kernarg_size 140
		.amdhsa_user_sgpr_count 6
		.amdhsa_user_sgpr_private_segment_buffer 1
		.amdhsa_user_sgpr_dispatch_ptr 0
		.amdhsa_user_sgpr_queue_ptr 0
		.amdhsa_user_sgpr_kernarg_segment_ptr 1
		.amdhsa_user_sgpr_dispatch_id 0
		.amdhsa_user_sgpr_flat_scratch_init 0
		.amdhsa_user_sgpr_private_segment_size 0
		.amdhsa_wavefront_size32 1
		.amdhsa_uses_dynamic_stack 0
		.amdhsa_system_sgpr_private_segment_wavefront_offset 0
		.amdhsa_system_sgpr_workgroup_id_x 1
		.amdhsa_system_sgpr_workgroup_id_y 1
		.amdhsa_system_sgpr_workgroup_id_z 1
		.amdhsa_system_sgpr_workgroup_info 0
		.amdhsa_system_vgpr_workitem_id 1
		.amdhsa_next_free_vgpr 188
		.amdhsa_next_free_sgpr 32
		.amdhsa_reserve_vcc 1
		.amdhsa_reserve_flat_scratch 0
		.amdhsa_float_round_mode_32 0
		.amdhsa_float_round_mode_16_64 0
		.amdhsa_float_denorm_mode_32 3
		.amdhsa_float_denorm_mode_16_64 3
		.amdhsa_dx10_clamp 1
		.amdhsa_ieee_mode 1
		.amdhsa_fp16_overflow 0
		.amdhsa_workgroup_processor_mode 1
		.amdhsa_memory_ordered 1
		.amdhsa_forward_progress 1
		.amdhsa_shared_vgpr_count 0
		.amdhsa_exception_fp_ieee_invalid_op 0
		.amdhsa_exception_fp_denorm_src 0
		.amdhsa_exception_fp_ieee_div_zero 0
		.amdhsa_exception_fp_ieee_overflow 0
		.amdhsa_exception_fp_ieee_underflow 0
		.amdhsa_exception_fp_ieee_inexact 0
		.amdhsa_exception_int_div_zero 0
	.end_amdhsa_kernel
	.section	.text._ZN12_GLOBAL__N_127rocblas_gemm_batched_kernelI19rocblas_complex_numIfELi16ELi16ELi64ELi64ELi4ELi64ELi4ELi4ELi64ELc84ELc67EKS2_S3_S2_EEvlllT_PT11_llS6_llS4_PT12_llPT13_lli,"axG",@progbits,_ZN12_GLOBAL__N_127rocblas_gemm_batched_kernelI19rocblas_complex_numIfELi16ELi16ELi64ELi64ELi4ELi64ELi4ELi4ELi64ELc84ELc67EKS2_S3_S2_EEvlllT_PT11_llS6_llS4_PT12_llPT13_lli,comdat
.Lfunc_end97:
	.size	_ZN12_GLOBAL__N_127rocblas_gemm_batched_kernelI19rocblas_complex_numIfELi16ELi16ELi64ELi64ELi4ELi64ELi4ELi4ELi64ELc84ELc67EKS2_S3_S2_EEvlllT_PT11_llS6_llS4_PT12_llPT13_lli, .Lfunc_end97-_ZN12_GLOBAL__N_127rocblas_gemm_batched_kernelI19rocblas_complex_numIfELi16ELi16ELi64ELi64ELi4ELi64ELi4ELi4ELi64ELc84ELc67EKS2_S3_S2_EEvlllT_PT11_llS6_llS4_PT12_llPT13_lli
                                        ; -- End function
	.set _ZN12_GLOBAL__N_127rocblas_gemm_batched_kernelI19rocblas_complex_numIfELi16ELi16ELi64ELi64ELi4ELi64ELi4ELi4ELi64ELc84ELc67EKS2_S3_S2_EEvlllT_PT11_llS6_llS4_PT12_llPT13_lli.num_vgpr, 188
	.set _ZN12_GLOBAL__N_127rocblas_gemm_batched_kernelI19rocblas_complex_numIfELi16ELi16ELi64ELi64ELi4ELi64ELi4ELi4ELi64ELc84ELc67EKS2_S3_S2_EEvlllT_PT11_llS6_llS4_PT12_llPT13_lli.num_agpr, 0
	.set _ZN12_GLOBAL__N_127rocblas_gemm_batched_kernelI19rocblas_complex_numIfELi16ELi16ELi64ELi64ELi4ELi64ELi4ELi4ELi64ELc84ELc67EKS2_S3_S2_EEvlllT_PT11_llS6_llS4_PT12_llPT13_lli.numbered_sgpr, 32
	.set _ZN12_GLOBAL__N_127rocblas_gemm_batched_kernelI19rocblas_complex_numIfELi16ELi16ELi64ELi64ELi4ELi64ELi4ELi4ELi64ELc84ELc67EKS2_S3_S2_EEvlllT_PT11_llS6_llS4_PT12_llPT13_lli.num_named_barrier, 0
	.set _ZN12_GLOBAL__N_127rocblas_gemm_batched_kernelI19rocblas_complex_numIfELi16ELi16ELi64ELi64ELi4ELi64ELi4ELi4ELi64ELc84ELc67EKS2_S3_S2_EEvlllT_PT11_llS6_llS4_PT12_llPT13_lli.private_seg_size, 0
	.set _ZN12_GLOBAL__N_127rocblas_gemm_batched_kernelI19rocblas_complex_numIfELi16ELi16ELi64ELi64ELi4ELi64ELi4ELi4ELi64ELc84ELc67EKS2_S3_S2_EEvlllT_PT11_llS6_llS4_PT12_llPT13_lli.uses_vcc, 1
	.set _ZN12_GLOBAL__N_127rocblas_gemm_batched_kernelI19rocblas_complex_numIfELi16ELi16ELi64ELi64ELi4ELi64ELi4ELi4ELi64ELc84ELc67EKS2_S3_S2_EEvlllT_PT11_llS6_llS4_PT12_llPT13_lli.uses_flat_scratch, 0
	.set _ZN12_GLOBAL__N_127rocblas_gemm_batched_kernelI19rocblas_complex_numIfELi16ELi16ELi64ELi64ELi4ELi64ELi4ELi4ELi64ELc84ELc67EKS2_S3_S2_EEvlllT_PT11_llS6_llS4_PT12_llPT13_lli.has_dyn_sized_stack, 0
	.set _ZN12_GLOBAL__N_127rocblas_gemm_batched_kernelI19rocblas_complex_numIfELi16ELi16ELi64ELi64ELi4ELi64ELi4ELi4ELi64ELc84ELc67EKS2_S3_S2_EEvlllT_PT11_llS6_llS4_PT12_llPT13_lli.has_recursion, 0
	.set _ZN12_GLOBAL__N_127rocblas_gemm_batched_kernelI19rocblas_complex_numIfELi16ELi16ELi64ELi64ELi4ELi64ELi4ELi4ELi64ELc84ELc67EKS2_S3_S2_EEvlllT_PT11_llS6_llS4_PT12_llPT13_lli.has_indirect_call, 0
	.section	.AMDGPU.csdata,"",@progbits
; Kernel info:
; codeLenInByte = 4948
; TotalNumSgprs: 34
; NumVgprs: 188
; ScratchSize: 0
; MemoryBound: 0
; FloatMode: 240
; IeeeMode: 1
; LDSByteSize: 4096 bytes/workgroup (compile time only)
; SGPRBlocks: 0
; VGPRBlocks: 23
; NumSGPRsForWavesPerEU: 34
; NumVGPRsForWavesPerEU: 188
; Occupancy: 5
; WaveLimiterHint : 1
; COMPUTE_PGM_RSRC2:SCRATCH_EN: 0
; COMPUTE_PGM_RSRC2:USER_SGPR: 6
; COMPUTE_PGM_RSRC2:TRAP_HANDLER: 0
; COMPUTE_PGM_RSRC2:TGID_X_EN: 1
; COMPUTE_PGM_RSRC2:TGID_Y_EN: 1
; COMPUTE_PGM_RSRC2:TGID_Z_EN: 1
; COMPUTE_PGM_RSRC2:TIDIG_COMP_CNT: 1
	.section	.text._ZN12_GLOBAL__N_127rocblas_gemm_batched_kernelI19rocblas_complex_numIfELi16ELi16ELi32ELi32ELi8ELi32ELi8ELi8ELi32ELc78ELc78EKS2_S3_S2_EEvlllT_PT11_llS6_llS4_PT12_llPT13_lli,"axG",@progbits,_ZN12_GLOBAL__N_127rocblas_gemm_batched_kernelI19rocblas_complex_numIfELi16ELi16ELi32ELi32ELi8ELi32ELi8ELi8ELi32ELc78ELc78EKS2_S3_S2_EEvlllT_PT11_llS6_llS4_PT12_llPT13_lli,comdat
	.globl	_ZN12_GLOBAL__N_127rocblas_gemm_batched_kernelI19rocblas_complex_numIfELi16ELi16ELi32ELi32ELi8ELi32ELi8ELi8ELi32ELc78ELc78EKS2_S3_S2_EEvlllT_PT11_llS6_llS4_PT12_llPT13_lli ; -- Begin function _ZN12_GLOBAL__N_127rocblas_gemm_batched_kernelI19rocblas_complex_numIfELi16ELi16ELi32ELi32ELi8ELi32ELi8ELi8ELi32ELc78ELc78EKS2_S3_S2_EEvlllT_PT11_llS6_llS4_PT12_llPT13_lli
	.p2align	8
	.type	_ZN12_GLOBAL__N_127rocblas_gemm_batched_kernelI19rocblas_complex_numIfELi16ELi16ELi32ELi32ELi8ELi32ELi8ELi8ELi32ELc78ELc78EKS2_S3_S2_EEvlllT_PT11_llS6_llS4_PT12_llPT13_lli,@function
_ZN12_GLOBAL__N_127rocblas_gemm_batched_kernelI19rocblas_complex_numIfELi16ELi16ELi32ELi32ELi8ELi32ELi8ELi8ELi32ELc78ELc78EKS2_S3_S2_EEvlllT_PT11_llS6_llS4_PT12_llPT13_lli: ; @_ZN12_GLOBAL__N_127rocblas_gemm_batched_kernelI19rocblas_complex_numIfELi16ELi16ELi32ELi32ELi8ELi32ELi8ELi8ELi32ELc78ELc78EKS2_S3_S2_EEvlllT_PT11_llS6_llS4_PT12_llPT13_lli
; %bb.0:
	s_clause 0x1
	s_load_dwordx16 s[12:27], s[4:5], 0x10
	s_load_dwordx2 s[10:11], s[4:5], 0x50
	s_mov_b32 s0, s7
	v_mov_b32_e32 v12, 0
	v_mov_b32_e32 v13, 0
	;; [unrolled: 1-line block ×8, first 2 shown]
	s_ashr_i32 s7, s6, 31
	s_ashr_i32 s1, s0, 31
	s_lshl_b64 s[28:29], s[6:7], 5
	s_lshl_b64 s[30:31], s[0:1], 5
	s_waitcnt lgkmcnt(0)
	v_cmp_lt_i64_e64 s2, s[12:13], 1
	s_and_b32 vcc_lo, exec_lo, s2
	s_cbranch_vccnz .LBB98_3
; %bb.1:
	v_lshl_add_u32 v2, v1, 4, v0
	v_and_b32_e32 v3, 7, v0
	s_mul_hi_u32 s1, s20, s8
	v_mov_b32_e32 v6, 0
	v_lshlrev_b32_e32 v14, 3, v0
	v_lshrrev_b32_e32 v4, 3, v2
	v_lshlrev_b32_e32 v10, 3, v3
	v_and_b32_e32 v9, 31, v2
	v_lshrrev_b32_e32 v7, 5, v2
	v_lshl_add_u32 v17, v1, 6, 0x800
	v_mov_b32_e32 v13, 0
	v_lshl_or_b32 v3, v4, 6, v10
	v_add_co_u32 v4, s0, v4, s30
	v_lshlrev_b32_e32 v2, 3, v9
	v_add_co_ci_u32_e64 v5, null, 0, s31, s0
	v_add_nc_u32_e32 v16, 0x800, v3
	v_mul_lo_u32 v11, s25, v4
	v_lshl_or_b32 v15, v7, 8, v2
	v_mad_u64_u32 v[2:3], null, s18, v7, s[28:29]
	v_mul_lo_u32 v12, s24, v5
	v_mad_u64_u32 v[4:5], null, s24, v4, 0
	s_mul_i32 s0, s21, s8
	s_add_i32 s1, s1, s0
	s_mul_i32 s0, s20, s8
	s_lshl_b64 s[0:1], s[0:1], 3
	v_mad_u64_u32 v[7:8], null, s19, v7, v[3:4]
	v_add3_u32 v5, v5, v12, v11
	s_add_u32 s2, s16, s0
	s_addc_u32 s3, s17, s1
	s_mul_i32 s0, s27, s8
	s_mul_hi_u32 s1, s26, s8
	v_lshlrev_b64 v[3:4], 3, v[4:5]
	v_add_co_u32 v8, vcc_lo, v2, v9
	s_add_i32 s1, s1, s0
	s_mul_i32 s0, s26, s8
	v_add_co_ci_u32_e64 v9, null, 0, v7, vcc_lo
	s_lshl_b64 s[0:1], s[0:1], 3
	v_mov_b32_e32 v11, 0
	v_add_co_u32 v5, vcc_lo, v3, s0
	v_add_co_ci_u32_e64 v4, null, s1, v4, vcc_lo
	v_lshlrev_b64 v[2:3], 3, v[8:9]
	v_add_co_u32 v5, vcc_lo, v5, v10
	v_add_co_ci_u32_e64 v7, null, 0, v4, vcc_lo
	v_mov_b32_e32 v9, 0
	v_add_co_u32 v2, vcc_lo, s2, v2
	v_add_co_ci_u32_e64 v3, null, s3, v3, vcc_lo
	v_add_co_u32 v4, vcc_lo, s22, v5
	v_add_co_ci_u32_e64 v5, null, s23, v7, vcc_lo
	v_mov_b32_e32 v7, 0
	v_mov_b32_e32 v8, 0
	;; [unrolled: 1-line block ×4, first 2 shown]
	s_lshl_b64 s[0:1], s[18:19], 6
	s_mov_b64 s[2:3], 0
.LBB98_2:                               ; =>This Inner Loop Header: Depth=1
	global_load_dwordx2 v[18:19], v[2:3], off
	global_load_dwordx2 v[20:21], v[4:5], off
	s_add_u32 s2, s2, 8
	s_addc_u32 s3, s3, 0
	v_add_co_u32 v2, vcc_lo, v2, s0
	v_cmp_lt_i64_e64 s6, s[2:3], s[12:13]
	v_add_co_ci_u32_e64 v3, null, s1, v3, vcc_lo
	v_add_co_u32 v4, vcc_lo, v4, 64
	v_add_co_ci_u32_e64 v5, null, 0, v5, vcc_lo
	s_and_b32 vcc_lo, exec_lo, s6
	s_waitcnt vmcnt(1)
	ds_write_b64 v15, v[18:19]
	s_waitcnt vmcnt(0)
	ds_write_b64 v16, v[20:21]
	s_waitcnt lgkmcnt(0)
	s_barrier
	buffer_gl0_inv
	ds_read_b128 v[18:21], v17
	ds_read2_b64 v[22:25], v14 offset1:16
	ds_read_b128 v[26:29], v17 offset:1024
	ds_read2_b64 v[30:33], v14 offset0:32 offset1:48
	ds_read_b128 v[34:37], v17 offset:16
	ds_read2_b64 v[38:41], v14 offset0:64 offset1:80
	;; [unrolled: 2-line block ×3, first 2 shown]
	ds_read2_b64 v[50:53], v14 offset0:128 offset1:144
	ds_read2_b64 v[54:57], v14 offset0:160 offset1:176
	ds_read_b128 v[58:61], v17 offset:32
	ds_read_b128 v[62:65], v17 offset:48
	ds_read2_b64 v[66:69], v14 offset0:192 offset1:208
	ds_read_b128 v[70:73], v17 offset:1056
	ds_read_b128 v[74:77], v17 offset:1072
	ds_read2_b64 v[78:81], v14 offset0:224 offset1:240
	s_waitcnt lgkmcnt(0)
	s_barrier
	buffer_gl0_inv
	v_mul_f32_e32 v82, v19, v23
	v_mul_f32_e32 v83, v18, v23
	;; [unrolled: 1-line block ×12, first 2 shown]
	v_fma_f32 v82, v18, v22, -v82
	v_fmac_f32_e32 v83, v19, v22
	v_fma_f32 v18, v18, v24, -v84
	v_fmac_f32_e32 v85, v19, v24
	;; [unrolled: 2-line block ×4, first 2 shown]
	v_mul_f32_e32 v24, v29, v31
	v_mul_f32_e32 v26, v28, v31
	;; [unrolled: 1-line block ×4, first 2 shown]
	v_fma_f32 v33, v20, v30, -v88
	v_fmac_f32_e32 v89, v21, v30
	v_fma_f32 v20, v20, v32, -v90
	v_fmac_f32_e32 v91, v21, v32
	v_mul_f32_e32 v21, v35, v39
	v_mul_f32_e32 v84, v34, v39
	v_mul_f32_e32 v86, v35, v41
	v_mul_f32_e32 v87, v34, v41
	v_fma_f32 v24, v28, v30, -v24
	v_fmac_f32_e32 v26, v29, v30
	v_fma_f32 v27, v28, v32, -v27
	v_fmac_f32_e32 v31, v29, v32
	v_mul_f32_e32 v28, v43, v39
	v_mul_f32_e32 v29, v42, v39
	v_mul_f32_e32 v30, v43, v41
	v_mul_f32_e32 v32, v42, v41
	v_add_f32_e32 v12, v12, v82
	v_add_f32_e32 v13, v13, v83
	v_add_f32_e32 v10, v10, v18
	v_add_f32_e32 v11, v11, v85
	v_add_f32_e32 v8, v8, v19
	v_add_f32_e32 v9, v9, v23
	v_add_f32_e32 v7, v7, v22
	v_add_f32_e32 v6, v6, v25
	v_mul_f32_e32 v39, v37, v47
	v_mul_f32_e32 v41, v36, v47
	v_mul_f32_e32 v88, v37, v49
	v_mul_f32_e32 v90, v36, v49
	v_fma_f32 v21, v34, v38, -v21
	v_fmac_f32_e32 v84, v35, v38
	v_fma_f32 v34, v34, v40, -v86
	v_fmac_f32_e32 v87, v35, v40
	v_fma_f32 v28, v42, v38, -v28
	v_fmac_f32_e32 v29, v43, v38
	v_fma_f32 v30, v42, v40, -v30
	v_fmac_f32_e32 v32, v43, v40
	v_mul_f32_e32 v35, v45, v47
	v_mul_f32_e32 v38, v44, v47
	v_mul_f32_e32 v40, v45, v49
	v_mul_f32_e32 v42, v44, v49
	v_add_f32_e32 v12, v12, v33
	v_add_f32_e32 v13, v13, v89
	v_add_f32_e32 v10, v10, v20
	v_add_f32_e32 v11, v11, v91
	v_add_f32_e32 v8, v8, v24
	v_add_f32_e32 v9, v9, v26
	v_add_f32_e32 v7, v7, v27
	v_add_f32_e32 v6, v6, v31
	v_fma_f32 v39, v36, v46, -v39
	v_fmac_f32_e32 v41, v37, v46
	v_fma_f32 v36, v36, v48, -v88
	v_fmac_f32_e32 v90, v37, v48
	v_mul_f32_e32 v37, v59, v51
	v_mul_f32_e32 v43, v58, v51
	v_mul_f32_e32 v47, v59, v53
	v_mul_f32_e32 v49, v58, v53
	v_fma_f32 v35, v44, v46, -v35
	v_fmac_f32_e32 v38, v45, v46
	v_fma_f32 v40, v44, v48, -v40
	v_fmac_f32_e32 v42, v45, v48
	v_mul_f32_e32 v44, v71, v51
	v_mul_f32_e32 v45, v70, v51
	v_mul_f32_e32 v46, v71, v53
	v_mul_f32_e32 v48, v70, v53
	v_add_f32_e32 v12, v12, v21
	v_add_f32_e32 v13, v13, v84
	v_add_f32_e32 v10, v10, v34
	v_add_f32_e32 v11, v11, v87
	v_add_f32_e32 v8, v8, v28
	v_add_f32_e32 v9, v9, v29
	v_add_f32_e32 v7, v7, v30
	v_add_f32_e32 v6, v6, v32
	v_mul_f32_e32 v51, v61, v55
	v_mul_f32_e32 v53, v60, v55
	v_mul_f32_e32 v86, v61, v57
	v_mul_f32_e32 v88, v60, v57
	v_fma_f32 v37, v58, v50, -v37
	v_fmac_f32_e32 v43, v59, v50
	v_fma_f32 v47, v58, v52, -v47
	v_fmac_f32_e32 v49, v59, v52
	v_fma_f32 v44, v70, v50, -v44
	v_fmac_f32_e32 v45, v71, v50
	v_fma_f32 v46, v70, v52, -v46
	v_fmac_f32_e32 v48, v71, v52
	v_mul_f32_e32 v50, v73, v55
	v_mul_f32_e32 v52, v72, v55
	v_mul_f32_e32 v55, v73, v57
	v_mul_f32_e32 v57, v72, v57
	v_add_f32_e32 v12, v12, v39
	v_add_f32_e32 v13, v13, v41
	v_add_f32_e32 v10, v10, v36
	v_add_f32_e32 v11, v11, v90
	v_add_f32_e32 v8, v8, v35
	v_add_f32_e32 v9, v9, v38
	v_add_f32_e32 v7, v7, v40
	v_add_f32_e32 v6, v6, v42
	;; [unrolled: 48-line block ×3, first 2 shown]
	v_fma_f32 v71, v64, v78, -v71
	v_fmac_f32_e32 v72, v65, v78
	v_fma_f32 v64, v64, v80, -v73
	v_fmac_f32_e32 v86, v65, v80
	;; [unrolled: 2-line block ×4, first 2 shown]
	v_add_f32_e32 v12, v12, v59
	v_add_f32_e32 v13, v13, v60
	;; [unrolled: 1-line block ×16, first 2 shown]
	s_cbranch_vccnz .LBB98_2
.LBB98_3:
	s_clause 0x1
	s_load_dwordx4 s[16:19], s[4:5], 0x78
	s_load_dwordx8 s[0:7], s[4:5], 0x58
	s_waitcnt lgkmcnt(0)
	s_mul_i32 s9, s19, s8
	s_mul_hi_u32 s13, s18, s8
	s_mul_i32 s12, s18, s8
	s_add_i32 s13, s13, s9
	s_lshl_b64 s[12:13], s[12:13], 3
	s_add_u32 s6, s6, s12
	v_add_co_u32 v4, s12, s30, v1
	v_add_co_ci_u32_e64 v5, null, s31, 0, s12
	v_add_co_u32 v0, s12, s28, v0
	s_addc_u32 s7, s7, s13
	s_or_b32 s9, s10, s11
	v_add_co_ci_u32_e64 v1, null, s29, 0, s12
	s_bitset0_b32 s9, 31
	s_cmp_lg_u32 s9, 0
	s_mov_b32 s9, 0
	s_cbranch_scc1 .LBB98_5
; %bb.4:
	v_mul_lo_u32 v14, v5, s16
	v_mul_lo_u32 v15, v4, s17
	v_mad_u64_u32 v[2:3], null, v4, s16, 0
	v_lshlrev_b64 v[17:18], 3, v[0:1]
	s_lshl_b64 s[12:13], s[16:17], 7
	v_mul_f32_e32 v19, s15, v13
	v_mul_f32_e32 v16, s14, v13
	;; [unrolled: 1-line block ×4, first 2 shown]
	v_add3_u32 v3, v3, v15, v14
	v_mul_f32_e32 v14, s15, v11
	v_fma_f32 v15, v12, s14, -v19
	v_mul_f32_e32 v24, s14, v9
	v_mul_f32_e32 v25, s15, v6
	v_lshlrev_b64 v[2:3], 3, v[2:3]
	v_fma_f32 v19, v10, s14, -v14
	v_mul_f32_e32 v14, s14, v6
	v_fmac_f32_e32 v16, s15, v12
	v_fmac_f32_e32 v20, s15, v10
	v_fma_f32 v23, v8, s14, -v23
	v_add_co_u32 v2, vcc_lo, s6, v2
	v_add_co_ci_u32_e64 v3, null, s7, v3, vcc_lo
	v_fmac_f32_e32 v14, s15, v7
	v_add_co_u32 v21, vcc_lo, v2, v17
	v_add_co_ci_u32_e64 v22, null, v3, v18, vcc_lo
	v_add_co_u32 v2, vcc_lo, v2, s12
	v_add_co_ci_u32_e64 v3, null, s13, v3, vcc_lo
	v_fmac_f32_e32 v24, s15, v8
	v_add_co_u32 v17, vcc_lo, v2, v17
	v_add_co_ci_u32_e64 v18, null, v3, v18, vcc_lo
	v_fma_f32 v25, v7, s14, -v25
	v_add_co_u32 v2, vcc_lo, 0x80, v17
	v_add_co_ci_u32_e64 v3, null, 0, v18, vcc_lo
	global_store_dwordx2 v[21:22], v[15:16], off
	global_store_dwordx2 v[21:22], v[19:20], off offset:128
	global_store_dwordx2 v[17:18], v[23:24], off
	global_store_dword v[17:18], v25, off offset:128
	s_andn2_b32 vcc_lo, exec_lo, s9
	s_cbranch_vccz .LBB98_6
	s_branch .LBB98_7
.LBB98_5:
                                        ; implicit-def: $vgpr14
                                        ; implicit-def: $vgpr2_vgpr3
.LBB98_6:
	v_mul_lo_u32 v14, v5, s2
	v_mul_lo_u32 v15, v4, s3
	v_mad_u64_u32 v[2:3], null, v4, s2, 0
	s_mul_i32 s5, s5, s8
	s_mul_hi_u32 s9, s4, s8
	s_mul_i32 s4, s4, s8
	s_add_i32 s5, s9, s5
	v_lshlrev_b64 v[0:1], 3, v[0:1]
	s_lshl_b64 s[4:5], s[4:5], 3
	v_add3_u32 v3, v3, v15, v14
	s_add_u32 s0, s0, s4
	s_addc_u32 s1, s1, s5
	v_mul_lo_u32 v18, v5, s16
	v_mul_lo_u32 v19, v4, s17
	v_lshlrev_b64 v[2:3], 3, v[2:3]
	v_mad_u64_u32 v[4:5], null, v4, s16, 0
	v_add_co_u32 v16, vcc_lo, s0, v2
	v_add_co_ci_u32_e64 v17, null, s1, v3, vcc_lo
	v_add3_u32 v5, v5, v19, v18
	v_add_co_u32 v2, vcc_lo, v16, v0
	v_add_co_ci_u32_e64 v3, null, v17, v1, vcc_lo
	v_mul_f32_e32 v18, s15, v13
	v_mul_f32_e32 v13, s14, v13
	v_lshlrev_b64 v[4:5], 3, v[4:5]
	global_load_dwordx2 v[14:15], v[2:3], off
	s_lshl_b64 s[0:1], s[2:3], 7
	v_fma_f32 v18, v12, s14, -v18
	v_fmac_f32_e32 v13, s15, v12
	v_add_co_u32 v19, vcc_lo, s6, v4
	v_add_co_ci_u32_e64 v20, null, s7, v5, vcc_lo
	v_add_co_u32 v4, vcc_lo, v19, v0
	v_add_co_ci_u32_e64 v5, null, v20, v1, vcc_lo
	s_waitcnt vmcnt(0)
	v_mul_f32_e32 v12, s11, v15
	v_mul_f32_e32 v15, s10, v15
	v_fma_f32 v12, v14, s10, -v12
	v_fmac_f32_e32 v15, s11, v14
	v_add_f32_e32 v12, v18, v12
	v_add_f32_e32 v13, v13, v15
	global_store_dwordx2 v[4:5], v[12:13], off
	global_load_dwordx2 v[2:3], v[2:3], off offset:128
	v_mul_f32_e32 v12, s15, v11
	v_mul_f32_e32 v11, s14, v11
	v_fma_f32 v12, v10, s14, -v12
	v_fmac_f32_e32 v11, s15, v10
	s_waitcnt vmcnt(0)
	v_mul_f32_e32 v13, s11, v3
	v_mul_f32_e32 v3, s10, v3
	v_fma_f32 v10, v2, s10, -v13
	v_add_co_u32 v13, vcc_lo, v16, s0
	v_fmac_f32_e32 v3, s11, v2
	v_add_co_ci_u32_e64 v14, null, s1, v17, vcc_lo
	v_add_f32_e32 v2, v12, v10
	v_add_co_u32 v10, vcc_lo, v13, v0
	v_add_f32_e32 v3, v11, v3
	v_add_co_ci_u32_e64 v11, null, v14, v1, vcc_lo
	s_lshl_b64 s[0:1], s[16:17], 7
	global_store_dwordx2 v[4:5], v[2:3], off offset:128
	global_load_dwordx2 v[2:3], v[10:11], off
	v_mul_f32_e32 v4, s15, v9
	v_mul_f32_e32 v5, s14, v9
	v_add_co_u32 v9, vcc_lo, v19, s0
	v_add_co_ci_u32_e64 v12, null, s1, v20, vcc_lo
	v_fma_f32 v4, v8, s14, -v4
	v_fmac_f32_e32 v5, s15, v8
	v_add_co_u32 v0, vcc_lo, v9, v0
	v_add_co_ci_u32_e64 v1, null, v12, v1, vcc_lo
	s_waitcnt vmcnt(0)
	v_mul_f32_e32 v8, s11, v3
	v_mul_f32_e32 v3, s10, v3
	v_fma_f32 v8, v2, s10, -v8
	v_fmac_f32_e32 v3, s11, v2
	v_add_f32_e32 v2, v4, v8
	v_add_f32_e32 v3, v5, v3
	v_mul_f32_e32 v4, s15, v6
	v_mul_f32_e32 v5, s14, v6
	global_store_dwordx2 v[0:1], v[2:3], off
	global_load_dwordx2 v[2:3], v[10:11], off offset:128
	v_fma_f32 v4, v7, s14, -v4
	v_fmac_f32_e32 v5, s15, v7
	s_waitcnt vmcnt(0)
	v_mul_f32_e32 v6, s11, v3
	v_mul_f32_e32 v3, s10, v3
	v_fma_f32 v6, v2, s10, -v6
	v_fmac_f32_e32 v3, s11, v2
	v_add_co_u32 v2, vcc_lo, 0x80, v0
	v_add_f32_e32 v4, v4, v6
	v_add_f32_e32 v14, v5, v3
	v_add_co_ci_u32_e64 v3, null, 0, v1, vcc_lo
	global_store_dword v[0:1], v4, off offset:128
.LBB98_7:
	global_store_dword v[2:3], v14, off offset:4
	s_endpgm
	.section	.rodata,"a",@progbits
	.p2align	6, 0x0
	.amdhsa_kernel _ZN12_GLOBAL__N_127rocblas_gemm_batched_kernelI19rocblas_complex_numIfELi16ELi16ELi32ELi32ELi8ELi32ELi8ELi8ELi32ELc78ELc78EKS2_S3_S2_EEvlllT_PT11_llS6_llS4_PT12_llPT13_lli
		.amdhsa_group_segment_fixed_size 4096
		.amdhsa_private_segment_fixed_size 0
		.amdhsa_kernarg_size 140
		.amdhsa_user_sgpr_count 6
		.amdhsa_user_sgpr_private_segment_buffer 1
		.amdhsa_user_sgpr_dispatch_ptr 0
		.amdhsa_user_sgpr_queue_ptr 0
		.amdhsa_user_sgpr_kernarg_segment_ptr 1
		.amdhsa_user_sgpr_dispatch_id 0
		.amdhsa_user_sgpr_flat_scratch_init 0
		.amdhsa_user_sgpr_private_segment_size 0
		.amdhsa_wavefront_size32 1
		.amdhsa_uses_dynamic_stack 0
		.amdhsa_system_sgpr_private_segment_wavefront_offset 0
		.amdhsa_system_sgpr_workgroup_id_x 1
		.amdhsa_system_sgpr_workgroup_id_y 1
		.amdhsa_system_sgpr_workgroup_id_z 1
		.amdhsa_system_sgpr_workgroup_info 0
		.amdhsa_system_vgpr_workitem_id 1
		.amdhsa_next_free_vgpr 92
		.amdhsa_next_free_sgpr 32
		.amdhsa_reserve_vcc 1
		.amdhsa_reserve_flat_scratch 0
		.amdhsa_float_round_mode_32 0
		.amdhsa_float_round_mode_16_64 0
		.amdhsa_float_denorm_mode_32 3
		.amdhsa_float_denorm_mode_16_64 3
		.amdhsa_dx10_clamp 1
		.amdhsa_ieee_mode 1
		.amdhsa_fp16_overflow 0
		.amdhsa_workgroup_processor_mode 1
		.amdhsa_memory_ordered 1
		.amdhsa_forward_progress 1
		.amdhsa_shared_vgpr_count 0
		.amdhsa_exception_fp_ieee_invalid_op 0
		.amdhsa_exception_fp_denorm_src 0
		.amdhsa_exception_fp_ieee_div_zero 0
		.amdhsa_exception_fp_ieee_overflow 0
		.amdhsa_exception_fp_ieee_underflow 0
		.amdhsa_exception_fp_ieee_inexact 0
		.amdhsa_exception_int_div_zero 0
	.end_amdhsa_kernel
	.section	.text._ZN12_GLOBAL__N_127rocblas_gemm_batched_kernelI19rocblas_complex_numIfELi16ELi16ELi32ELi32ELi8ELi32ELi8ELi8ELi32ELc78ELc78EKS2_S3_S2_EEvlllT_PT11_llS6_llS4_PT12_llPT13_lli,"axG",@progbits,_ZN12_GLOBAL__N_127rocblas_gemm_batched_kernelI19rocblas_complex_numIfELi16ELi16ELi32ELi32ELi8ELi32ELi8ELi8ELi32ELc78ELc78EKS2_S3_S2_EEvlllT_PT11_llS6_llS4_PT12_llPT13_lli,comdat
.Lfunc_end98:
	.size	_ZN12_GLOBAL__N_127rocblas_gemm_batched_kernelI19rocblas_complex_numIfELi16ELi16ELi32ELi32ELi8ELi32ELi8ELi8ELi32ELc78ELc78EKS2_S3_S2_EEvlllT_PT11_llS6_llS4_PT12_llPT13_lli, .Lfunc_end98-_ZN12_GLOBAL__N_127rocblas_gemm_batched_kernelI19rocblas_complex_numIfELi16ELi16ELi32ELi32ELi8ELi32ELi8ELi8ELi32ELc78ELc78EKS2_S3_S2_EEvlllT_PT11_llS6_llS4_PT12_llPT13_lli
                                        ; -- End function
	.set _ZN12_GLOBAL__N_127rocblas_gemm_batched_kernelI19rocblas_complex_numIfELi16ELi16ELi32ELi32ELi8ELi32ELi8ELi8ELi32ELc78ELc78EKS2_S3_S2_EEvlllT_PT11_llS6_llS4_PT12_llPT13_lli.num_vgpr, 92
	.set _ZN12_GLOBAL__N_127rocblas_gemm_batched_kernelI19rocblas_complex_numIfELi16ELi16ELi32ELi32ELi8ELi32ELi8ELi8ELi32ELc78ELc78EKS2_S3_S2_EEvlllT_PT11_llS6_llS4_PT12_llPT13_lli.num_agpr, 0
	.set _ZN12_GLOBAL__N_127rocblas_gemm_batched_kernelI19rocblas_complex_numIfELi16ELi16ELi32ELi32ELi8ELi32ELi8ELi8ELi32ELc78ELc78EKS2_S3_S2_EEvlllT_PT11_llS6_llS4_PT12_llPT13_lli.numbered_sgpr, 32
	.set _ZN12_GLOBAL__N_127rocblas_gemm_batched_kernelI19rocblas_complex_numIfELi16ELi16ELi32ELi32ELi8ELi32ELi8ELi8ELi32ELc78ELc78EKS2_S3_S2_EEvlllT_PT11_llS6_llS4_PT12_llPT13_lli.num_named_barrier, 0
	.set _ZN12_GLOBAL__N_127rocblas_gemm_batched_kernelI19rocblas_complex_numIfELi16ELi16ELi32ELi32ELi8ELi32ELi8ELi8ELi32ELc78ELc78EKS2_S3_S2_EEvlllT_PT11_llS6_llS4_PT12_llPT13_lli.private_seg_size, 0
	.set _ZN12_GLOBAL__N_127rocblas_gemm_batched_kernelI19rocblas_complex_numIfELi16ELi16ELi32ELi32ELi8ELi32ELi8ELi8ELi32ELc78ELc78EKS2_S3_S2_EEvlllT_PT11_llS6_llS4_PT12_llPT13_lli.uses_vcc, 1
	.set _ZN12_GLOBAL__N_127rocblas_gemm_batched_kernelI19rocblas_complex_numIfELi16ELi16ELi32ELi32ELi8ELi32ELi8ELi8ELi32ELc78ELc78EKS2_S3_S2_EEvlllT_PT11_llS6_llS4_PT12_llPT13_lli.uses_flat_scratch, 0
	.set _ZN12_GLOBAL__N_127rocblas_gemm_batched_kernelI19rocblas_complex_numIfELi16ELi16ELi32ELi32ELi8ELi32ELi8ELi8ELi32ELc78ELc78EKS2_S3_S2_EEvlllT_PT11_llS6_llS4_PT12_llPT13_lli.has_dyn_sized_stack, 0
	.set _ZN12_GLOBAL__N_127rocblas_gemm_batched_kernelI19rocblas_complex_numIfELi16ELi16ELi32ELi32ELi8ELi32ELi8ELi8ELi32ELc78ELc78EKS2_S3_S2_EEvlllT_PT11_llS6_llS4_PT12_llPT13_lli.has_recursion, 0
	.set _ZN12_GLOBAL__N_127rocblas_gemm_batched_kernelI19rocblas_complex_numIfELi16ELi16ELi32ELi32ELi8ELi32ELi8ELi8ELi32ELc78ELc78EKS2_S3_S2_EEvlllT_PT11_llS6_llS4_PT12_llPT13_lli.has_indirect_call, 0
	.section	.AMDGPU.csdata,"",@progbits
; Kernel info:
; codeLenInByte = 2484
; TotalNumSgprs: 34
; NumVgprs: 92
; ScratchSize: 0
; MemoryBound: 0
; FloatMode: 240
; IeeeMode: 1
; LDSByteSize: 4096 bytes/workgroup (compile time only)
; SGPRBlocks: 0
; VGPRBlocks: 11
; NumSGPRsForWavesPerEU: 34
; NumVGPRsForWavesPerEU: 92
; Occupancy: 10
; WaveLimiterHint : 1
; COMPUTE_PGM_RSRC2:SCRATCH_EN: 0
; COMPUTE_PGM_RSRC2:USER_SGPR: 6
; COMPUTE_PGM_RSRC2:TRAP_HANDLER: 0
; COMPUTE_PGM_RSRC2:TGID_X_EN: 1
; COMPUTE_PGM_RSRC2:TGID_Y_EN: 1
; COMPUTE_PGM_RSRC2:TGID_Z_EN: 1
; COMPUTE_PGM_RSRC2:TIDIG_COMP_CNT: 1
	.section	.text._ZN12_GLOBAL__N_127rocblas_gemm_batched_kernelI19rocblas_complex_numIfELi16ELi16ELi32ELi32ELi8ELi32ELi8ELi8ELi32ELc84ELc78EKS2_S3_S2_EEvlllT_PT11_llS6_llS4_PT12_llPT13_lli,"axG",@progbits,_ZN12_GLOBAL__N_127rocblas_gemm_batched_kernelI19rocblas_complex_numIfELi16ELi16ELi32ELi32ELi8ELi32ELi8ELi8ELi32ELc84ELc78EKS2_S3_S2_EEvlllT_PT11_llS6_llS4_PT12_llPT13_lli,comdat
	.globl	_ZN12_GLOBAL__N_127rocblas_gemm_batched_kernelI19rocblas_complex_numIfELi16ELi16ELi32ELi32ELi8ELi32ELi8ELi8ELi32ELc84ELc78EKS2_S3_S2_EEvlllT_PT11_llS6_llS4_PT12_llPT13_lli ; -- Begin function _ZN12_GLOBAL__N_127rocblas_gemm_batched_kernelI19rocblas_complex_numIfELi16ELi16ELi32ELi32ELi8ELi32ELi8ELi8ELi32ELc84ELc78EKS2_S3_S2_EEvlllT_PT11_llS6_llS4_PT12_llPT13_lli
	.p2align	8
	.type	_ZN12_GLOBAL__N_127rocblas_gemm_batched_kernelI19rocblas_complex_numIfELi16ELi16ELi32ELi32ELi8ELi32ELi8ELi8ELi32ELc84ELc78EKS2_S3_S2_EEvlllT_PT11_llS6_llS4_PT12_llPT13_lli,@function
_ZN12_GLOBAL__N_127rocblas_gemm_batched_kernelI19rocblas_complex_numIfELi16ELi16ELi32ELi32ELi8ELi32ELi8ELi8ELi32ELc84ELc78EKS2_S3_S2_EEvlllT_PT11_llS6_llS4_PT12_llPT13_lli: ; @_ZN12_GLOBAL__N_127rocblas_gemm_batched_kernelI19rocblas_complex_numIfELi16ELi16ELi32ELi32ELi8ELi32ELi8ELi8ELi32ELc84ELc78EKS2_S3_S2_EEvlllT_PT11_llS6_llS4_PT12_llPT13_lli
; %bb.0:
	s_clause 0x1
	s_load_dwordx16 s[12:27], s[4:5], 0x10
	s_load_dwordx2 s[10:11], s[4:5], 0x50
	s_mov_b32 s0, s7
	v_mov_b32_e32 v12, 0
	v_mov_b32_e32 v13, 0
	;; [unrolled: 1-line block ×8, first 2 shown]
	s_ashr_i32 s7, s6, 31
	s_ashr_i32 s1, s0, 31
	s_lshl_b64 s[28:29], s[6:7], 5
	s_lshl_b64 s[30:31], s[0:1], 5
	s_waitcnt lgkmcnt(0)
	v_cmp_lt_i64_e64 s2, s[12:13], 1
	s_and_b32 vcc_lo, exec_lo, s2
	s_cbranch_vccnz .LBB99_3
; %bb.1:
	v_lshl_add_u32 v2, v1, 4, v0
	v_and_b32_e32 v3, 7, v0
	s_mul_hi_u32 s1, s20, s8
	v_mov_b32_e32 v6, 0
	v_lshlrev_b32_e32 v16, 3, v0
	v_and_b32_e32 v4, 31, v2
	v_lshlrev_b32_e32 v7, 3, v3
	v_lshrrev_b32_e32 v5, 3, v2
	v_lshrrev_b32_e32 v9, 5, v2
	v_lshl_add_u32 v17, v1, 6, 0x800
	v_add_co_u32 v3, s0, s28, v4
	v_add_co_ci_u32_e64 v8, null, s29, 0, s0
	v_lshl_or_b32 v10, v5, 6, v7
	v_mul_lo_u32 v11, s19, v3
	v_mad_u64_u32 v[2:3], null, s18, v3, 0
	v_mul_lo_u32 v8, s18, v8
	v_add_co_u32 v5, s0, v5, s30
	v_lshlrev_b32_e32 v4, 3, v4
	v_add_co_ci_u32_e64 v12, null, 0, s31, s0
	v_add_nc_u32_e32 v15, 0x800, v10
	s_mul_i32 s0, s21, s8
	v_lshl_or_b32 v14, v9, 8, v4
	v_add3_u32 v3, v3, v8, v11
	v_mul_lo_u32 v8, s25, v5
	v_mul_lo_u32 v10, s24, v12
	v_mad_u64_u32 v[4:5], null, s24, v5, 0
	v_lshlrev_b64 v[2:3], 3, v[2:3]
	s_add_i32 s1, s1, s0
	s_mul_i32 s0, s20, s8
	v_mov_b32_e32 v11, 0
	s_lshl_b64 s[0:1], s[0:1], 3
	v_mov_b32_e32 v13, 0
	v_add3_u32 v5, v5, v10, v8
	v_add_co_u32 v8, vcc_lo, v2, s0
	v_add_co_ci_u32_e64 v10, null, s1, v3, vcc_lo
	s_mul_i32 s0, s27, s8
	s_mul_hi_u32 s1, s26, s8
	v_lshlrev_b64 v[2:3], 3, v[4:5]
	s_add_i32 s1, s1, s0
	s_mul_i32 s0, s26, s8
	v_lshlrev_b32_e32 v4, 3, v9
	s_lshl_b64 s[0:1], s[0:1], 3
	v_mov_b32_e32 v9, 0
	v_add_co_u32 v2, vcc_lo, v2, s0
	v_add_co_ci_u32_e64 v3, null, s1, v3, vcc_lo
	v_add_co_u32 v4, vcc_lo, v8, v4
	v_add_co_ci_u32_e64 v5, null, 0, v10, vcc_lo
	v_add_co_u32 v7, vcc_lo, v2, v7
	v_add_co_ci_u32_e64 v8, null, 0, v3, vcc_lo
	v_add_co_u32 v2, vcc_lo, s16, v4
	v_add_co_ci_u32_e64 v3, null, s17, v5, vcc_lo
	v_add_co_u32 v4, vcc_lo, s22, v7
	v_add_co_ci_u32_e64 v5, null, s23, v8, vcc_lo
	v_mov_b32_e32 v7, 0
	v_mov_b32_e32 v8, 0
	;; [unrolled: 1-line block ×4, first 2 shown]
	s_mov_b64 s[0:1], 0
.LBB99_2:                               ; =>This Inner Loop Header: Depth=1
	global_load_dwordx2 v[18:19], v[2:3], off
	global_load_dwordx2 v[20:21], v[4:5], off
	s_add_u32 s0, s0, 8
	s_addc_u32 s1, s1, 0
	v_add_co_u32 v2, vcc_lo, v2, 64
	v_cmp_lt_i64_e64 s2, s[0:1], s[12:13]
	v_add_co_ci_u32_e64 v3, null, 0, v3, vcc_lo
	v_add_co_u32 v4, vcc_lo, v4, 64
	v_add_co_ci_u32_e64 v5, null, 0, v5, vcc_lo
	s_and_b32 vcc_lo, exec_lo, s2
	s_waitcnt vmcnt(1)
	ds_write_b64 v14, v[18:19]
	s_waitcnt vmcnt(0)
	ds_write_b64 v15, v[20:21]
	s_waitcnt lgkmcnt(0)
	s_barrier
	buffer_gl0_inv
	ds_read_b128 v[18:21], v17
	ds_read2_b64 v[22:25], v16 offset1:16
	ds_read_b128 v[26:29], v17 offset:1024
	ds_read2_b64 v[30:33], v16 offset0:32 offset1:48
	ds_read_b128 v[34:37], v17 offset:16
	ds_read2_b64 v[38:41], v16 offset0:64 offset1:80
	;; [unrolled: 2-line block ×3, first 2 shown]
	ds_read2_b64 v[50:53], v16 offset0:128 offset1:144
	ds_read2_b64 v[54:57], v16 offset0:160 offset1:176
	ds_read_b128 v[58:61], v17 offset:32
	ds_read_b128 v[62:65], v17 offset:48
	ds_read2_b64 v[66:69], v16 offset0:192 offset1:208
	ds_read_b128 v[70:73], v17 offset:1056
	ds_read_b128 v[74:77], v17 offset:1072
	ds_read2_b64 v[78:81], v16 offset0:224 offset1:240
	s_waitcnt lgkmcnt(0)
	s_barrier
	buffer_gl0_inv
	v_mul_f32_e32 v82, v19, v23
	v_mul_f32_e32 v83, v18, v23
	;; [unrolled: 1-line block ×12, first 2 shown]
	v_fma_f32 v82, v18, v22, -v82
	v_fmac_f32_e32 v83, v19, v22
	v_fma_f32 v18, v18, v24, -v84
	v_fmac_f32_e32 v85, v19, v24
	;; [unrolled: 2-line block ×4, first 2 shown]
	v_mul_f32_e32 v24, v29, v31
	v_mul_f32_e32 v26, v28, v31
	;; [unrolled: 1-line block ×4, first 2 shown]
	v_fma_f32 v33, v20, v30, -v88
	v_fmac_f32_e32 v89, v21, v30
	v_fma_f32 v20, v20, v32, -v90
	v_fmac_f32_e32 v91, v21, v32
	v_mul_f32_e32 v21, v35, v39
	v_mul_f32_e32 v84, v34, v39
	v_mul_f32_e32 v86, v35, v41
	v_mul_f32_e32 v87, v34, v41
	v_fma_f32 v24, v28, v30, -v24
	v_fmac_f32_e32 v26, v29, v30
	v_fma_f32 v27, v28, v32, -v27
	v_fmac_f32_e32 v31, v29, v32
	v_mul_f32_e32 v28, v43, v39
	v_mul_f32_e32 v29, v42, v39
	v_mul_f32_e32 v30, v43, v41
	v_mul_f32_e32 v32, v42, v41
	v_add_f32_e32 v12, v12, v82
	v_add_f32_e32 v13, v13, v83
	v_add_f32_e32 v10, v10, v18
	v_add_f32_e32 v11, v11, v85
	v_add_f32_e32 v8, v8, v19
	v_add_f32_e32 v9, v9, v23
	v_add_f32_e32 v7, v7, v22
	v_add_f32_e32 v6, v6, v25
	v_mul_f32_e32 v39, v37, v47
	v_mul_f32_e32 v41, v36, v47
	v_mul_f32_e32 v88, v37, v49
	v_mul_f32_e32 v90, v36, v49
	v_fma_f32 v21, v34, v38, -v21
	v_fmac_f32_e32 v84, v35, v38
	v_fma_f32 v34, v34, v40, -v86
	v_fmac_f32_e32 v87, v35, v40
	v_fma_f32 v28, v42, v38, -v28
	v_fmac_f32_e32 v29, v43, v38
	v_fma_f32 v30, v42, v40, -v30
	v_fmac_f32_e32 v32, v43, v40
	v_mul_f32_e32 v35, v45, v47
	v_mul_f32_e32 v38, v44, v47
	v_mul_f32_e32 v40, v45, v49
	v_mul_f32_e32 v42, v44, v49
	v_add_f32_e32 v12, v12, v33
	v_add_f32_e32 v13, v13, v89
	v_add_f32_e32 v10, v10, v20
	v_add_f32_e32 v11, v11, v91
	v_add_f32_e32 v8, v8, v24
	v_add_f32_e32 v9, v9, v26
	v_add_f32_e32 v7, v7, v27
	v_add_f32_e32 v6, v6, v31
	v_fma_f32 v39, v36, v46, -v39
	v_fmac_f32_e32 v41, v37, v46
	v_fma_f32 v36, v36, v48, -v88
	v_fmac_f32_e32 v90, v37, v48
	v_mul_f32_e32 v37, v59, v51
	v_mul_f32_e32 v43, v58, v51
	v_mul_f32_e32 v47, v59, v53
	v_mul_f32_e32 v49, v58, v53
	v_fma_f32 v35, v44, v46, -v35
	v_fmac_f32_e32 v38, v45, v46
	v_fma_f32 v40, v44, v48, -v40
	v_fmac_f32_e32 v42, v45, v48
	v_mul_f32_e32 v44, v71, v51
	v_mul_f32_e32 v45, v70, v51
	v_mul_f32_e32 v46, v71, v53
	v_mul_f32_e32 v48, v70, v53
	v_add_f32_e32 v12, v12, v21
	v_add_f32_e32 v13, v13, v84
	v_add_f32_e32 v10, v10, v34
	v_add_f32_e32 v11, v11, v87
	v_add_f32_e32 v8, v8, v28
	v_add_f32_e32 v9, v9, v29
	v_add_f32_e32 v7, v7, v30
	v_add_f32_e32 v6, v6, v32
	v_mul_f32_e32 v51, v61, v55
	v_mul_f32_e32 v53, v60, v55
	v_mul_f32_e32 v86, v61, v57
	v_mul_f32_e32 v88, v60, v57
	v_fma_f32 v37, v58, v50, -v37
	v_fmac_f32_e32 v43, v59, v50
	v_fma_f32 v47, v58, v52, -v47
	v_fmac_f32_e32 v49, v59, v52
	v_fma_f32 v44, v70, v50, -v44
	v_fmac_f32_e32 v45, v71, v50
	v_fma_f32 v46, v70, v52, -v46
	v_fmac_f32_e32 v48, v71, v52
	v_mul_f32_e32 v50, v73, v55
	v_mul_f32_e32 v52, v72, v55
	v_mul_f32_e32 v55, v73, v57
	v_mul_f32_e32 v57, v72, v57
	v_add_f32_e32 v12, v12, v39
	v_add_f32_e32 v13, v13, v41
	v_add_f32_e32 v10, v10, v36
	v_add_f32_e32 v11, v11, v90
	v_add_f32_e32 v8, v8, v35
	v_add_f32_e32 v9, v9, v38
	v_add_f32_e32 v7, v7, v40
	v_add_f32_e32 v6, v6, v42
	;; [unrolled: 48-line block ×3, first 2 shown]
	v_fma_f32 v71, v64, v78, -v71
	v_fmac_f32_e32 v72, v65, v78
	v_fma_f32 v64, v64, v80, -v73
	v_fmac_f32_e32 v86, v65, v80
	v_fma_f32 v63, v76, v78, -v63
	v_fmac_f32_e32 v66, v77, v78
	v_fma_f32 v65, v76, v80, -v67
	v_fmac_f32_e32 v68, v77, v80
	v_add_f32_e32 v12, v12, v59
	v_add_f32_e32 v13, v13, v60
	;; [unrolled: 1-line block ×16, first 2 shown]
	s_cbranch_vccnz .LBB99_2
.LBB99_3:
	s_clause 0x1
	s_load_dwordx4 s[16:19], s[4:5], 0x78
	s_load_dwordx8 s[0:7], s[4:5], 0x58
	s_waitcnt lgkmcnt(0)
	s_mul_i32 s9, s19, s8
	s_mul_hi_u32 s13, s18, s8
	s_mul_i32 s12, s18, s8
	s_add_i32 s13, s13, s9
	s_lshl_b64 s[12:13], s[12:13], 3
	s_add_u32 s6, s6, s12
	v_add_co_u32 v4, s12, s30, v1
	v_add_co_ci_u32_e64 v5, null, s31, 0, s12
	v_add_co_u32 v0, s12, s28, v0
	s_addc_u32 s7, s7, s13
	s_or_b32 s9, s10, s11
	v_add_co_ci_u32_e64 v1, null, s29, 0, s12
	s_bitset0_b32 s9, 31
	s_cmp_lg_u32 s9, 0
	s_mov_b32 s9, 0
	s_cbranch_scc1 .LBB99_5
; %bb.4:
	v_mul_lo_u32 v14, v5, s16
	v_mul_lo_u32 v15, v4, s17
	v_mad_u64_u32 v[2:3], null, v4, s16, 0
	v_lshlrev_b64 v[17:18], 3, v[0:1]
	s_lshl_b64 s[12:13], s[16:17], 7
	v_mul_f32_e32 v19, s15, v13
	v_mul_f32_e32 v16, s14, v13
	;; [unrolled: 1-line block ×4, first 2 shown]
	v_add3_u32 v3, v3, v15, v14
	v_mul_f32_e32 v14, s15, v11
	v_fma_f32 v15, v12, s14, -v19
	v_mul_f32_e32 v24, s14, v9
	v_mul_f32_e32 v25, s15, v6
	v_lshlrev_b64 v[2:3], 3, v[2:3]
	v_fma_f32 v19, v10, s14, -v14
	v_mul_f32_e32 v14, s14, v6
	v_fmac_f32_e32 v16, s15, v12
	v_fmac_f32_e32 v20, s15, v10
	v_fma_f32 v23, v8, s14, -v23
	v_add_co_u32 v2, vcc_lo, s6, v2
	v_add_co_ci_u32_e64 v3, null, s7, v3, vcc_lo
	v_fmac_f32_e32 v14, s15, v7
	v_add_co_u32 v21, vcc_lo, v2, v17
	v_add_co_ci_u32_e64 v22, null, v3, v18, vcc_lo
	v_add_co_u32 v2, vcc_lo, v2, s12
	v_add_co_ci_u32_e64 v3, null, s13, v3, vcc_lo
	v_fmac_f32_e32 v24, s15, v8
	v_add_co_u32 v17, vcc_lo, v2, v17
	v_add_co_ci_u32_e64 v18, null, v3, v18, vcc_lo
	v_fma_f32 v25, v7, s14, -v25
	v_add_co_u32 v2, vcc_lo, 0x80, v17
	v_add_co_ci_u32_e64 v3, null, 0, v18, vcc_lo
	global_store_dwordx2 v[21:22], v[15:16], off
	global_store_dwordx2 v[21:22], v[19:20], off offset:128
	global_store_dwordx2 v[17:18], v[23:24], off
	global_store_dword v[17:18], v25, off offset:128
	s_andn2_b32 vcc_lo, exec_lo, s9
	s_cbranch_vccz .LBB99_6
	s_branch .LBB99_7
.LBB99_5:
                                        ; implicit-def: $vgpr14
                                        ; implicit-def: $vgpr2_vgpr3
.LBB99_6:
	v_mul_lo_u32 v14, v5, s2
	v_mul_lo_u32 v15, v4, s3
	v_mad_u64_u32 v[2:3], null, v4, s2, 0
	s_mul_i32 s5, s5, s8
	s_mul_hi_u32 s9, s4, s8
	s_mul_i32 s4, s4, s8
	s_add_i32 s5, s9, s5
	v_lshlrev_b64 v[0:1], 3, v[0:1]
	s_lshl_b64 s[4:5], s[4:5], 3
	v_add3_u32 v3, v3, v15, v14
	s_add_u32 s0, s0, s4
	s_addc_u32 s1, s1, s5
	v_mul_lo_u32 v18, v5, s16
	v_mul_lo_u32 v19, v4, s17
	v_lshlrev_b64 v[2:3], 3, v[2:3]
	v_mad_u64_u32 v[4:5], null, v4, s16, 0
	v_add_co_u32 v16, vcc_lo, s0, v2
	v_add_co_ci_u32_e64 v17, null, s1, v3, vcc_lo
	v_add3_u32 v5, v5, v19, v18
	v_add_co_u32 v2, vcc_lo, v16, v0
	v_add_co_ci_u32_e64 v3, null, v17, v1, vcc_lo
	v_mul_f32_e32 v18, s15, v13
	v_mul_f32_e32 v13, s14, v13
	v_lshlrev_b64 v[4:5], 3, v[4:5]
	global_load_dwordx2 v[14:15], v[2:3], off
	s_lshl_b64 s[0:1], s[2:3], 7
	v_fma_f32 v18, v12, s14, -v18
	v_fmac_f32_e32 v13, s15, v12
	v_add_co_u32 v19, vcc_lo, s6, v4
	v_add_co_ci_u32_e64 v20, null, s7, v5, vcc_lo
	v_add_co_u32 v4, vcc_lo, v19, v0
	v_add_co_ci_u32_e64 v5, null, v20, v1, vcc_lo
	s_waitcnt vmcnt(0)
	v_mul_f32_e32 v12, s11, v15
	v_mul_f32_e32 v15, s10, v15
	v_fma_f32 v12, v14, s10, -v12
	v_fmac_f32_e32 v15, s11, v14
	v_add_f32_e32 v12, v18, v12
	v_add_f32_e32 v13, v13, v15
	global_store_dwordx2 v[4:5], v[12:13], off
	global_load_dwordx2 v[2:3], v[2:3], off offset:128
	v_mul_f32_e32 v12, s15, v11
	v_mul_f32_e32 v11, s14, v11
	v_fma_f32 v12, v10, s14, -v12
	v_fmac_f32_e32 v11, s15, v10
	s_waitcnt vmcnt(0)
	v_mul_f32_e32 v13, s11, v3
	v_mul_f32_e32 v3, s10, v3
	v_fma_f32 v10, v2, s10, -v13
	v_add_co_u32 v13, vcc_lo, v16, s0
	v_fmac_f32_e32 v3, s11, v2
	v_add_co_ci_u32_e64 v14, null, s1, v17, vcc_lo
	v_add_f32_e32 v2, v12, v10
	v_add_co_u32 v10, vcc_lo, v13, v0
	v_add_f32_e32 v3, v11, v3
	v_add_co_ci_u32_e64 v11, null, v14, v1, vcc_lo
	s_lshl_b64 s[0:1], s[16:17], 7
	global_store_dwordx2 v[4:5], v[2:3], off offset:128
	global_load_dwordx2 v[2:3], v[10:11], off
	v_mul_f32_e32 v4, s15, v9
	v_mul_f32_e32 v5, s14, v9
	v_add_co_u32 v9, vcc_lo, v19, s0
	v_add_co_ci_u32_e64 v12, null, s1, v20, vcc_lo
	v_fma_f32 v4, v8, s14, -v4
	v_fmac_f32_e32 v5, s15, v8
	v_add_co_u32 v0, vcc_lo, v9, v0
	v_add_co_ci_u32_e64 v1, null, v12, v1, vcc_lo
	s_waitcnt vmcnt(0)
	v_mul_f32_e32 v8, s11, v3
	v_mul_f32_e32 v3, s10, v3
	v_fma_f32 v8, v2, s10, -v8
	v_fmac_f32_e32 v3, s11, v2
	v_add_f32_e32 v2, v4, v8
	v_add_f32_e32 v3, v5, v3
	v_mul_f32_e32 v4, s15, v6
	v_mul_f32_e32 v5, s14, v6
	global_store_dwordx2 v[0:1], v[2:3], off
	global_load_dwordx2 v[2:3], v[10:11], off offset:128
	v_fma_f32 v4, v7, s14, -v4
	v_fmac_f32_e32 v5, s15, v7
	s_waitcnt vmcnt(0)
	v_mul_f32_e32 v6, s11, v3
	v_mul_f32_e32 v3, s10, v3
	v_fma_f32 v6, v2, s10, -v6
	v_fmac_f32_e32 v3, s11, v2
	v_add_co_u32 v2, vcc_lo, 0x80, v0
	v_add_f32_e32 v4, v4, v6
	v_add_f32_e32 v14, v5, v3
	v_add_co_ci_u32_e64 v3, null, 0, v1, vcc_lo
	global_store_dword v[0:1], v4, off offset:128
.LBB99_7:
	global_store_dword v[2:3], v14, off offset:4
	s_endpgm
	.section	.rodata,"a",@progbits
	.p2align	6, 0x0
	.amdhsa_kernel _ZN12_GLOBAL__N_127rocblas_gemm_batched_kernelI19rocblas_complex_numIfELi16ELi16ELi32ELi32ELi8ELi32ELi8ELi8ELi32ELc84ELc78EKS2_S3_S2_EEvlllT_PT11_llS6_llS4_PT12_llPT13_lli
		.amdhsa_group_segment_fixed_size 4096
		.amdhsa_private_segment_fixed_size 0
		.amdhsa_kernarg_size 140
		.amdhsa_user_sgpr_count 6
		.amdhsa_user_sgpr_private_segment_buffer 1
		.amdhsa_user_sgpr_dispatch_ptr 0
		.amdhsa_user_sgpr_queue_ptr 0
		.amdhsa_user_sgpr_kernarg_segment_ptr 1
		.amdhsa_user_sgpr_dispatch_id 0
		.amdhsa_user_sgpr_flat_scratch_init 0
		.amdhsa_user_sgpr_private_segment_size 0
		.amdhsa_wavefront_size32 1
		.amdhsa_uses_dynamic_stack 0
		.amdhsa_system_sgpr_private_segment_wavefront_offset 0
		.amdhsa_system_sgpr_workgroup_id_x 1
		.amdhsa_system_sgpr_workgroup_id_y 1
		.amdhsa_system_sgpr_workgroup_id_z 1
		.amdhsa_system_sgpr_workgroup_info 0
		.amdhsa_system_vgpr_workitem_id 1
		.amdhsa_next_free_vgpr 92
		.amdhsa_next_free_sgpr 32
		.amdhsa_reserve_vcc 1
		.amdhsa_reserve_flat_scratch 0
		.amdhsa_float_round_mode_32 0
		.amdhsa_float_round_mode_16_64 0
		.amdhsa_float_denorm_mode_32 3
		.amdhsa_float_denorm_mode_16_64 3
		.amdhsa_dx10_clamp 1
		.amdhsa_ieee_mode 1
		.amdhsa_fp16_overflow 0
		.amdhsa_workgroup_processor_mode 1
		.amdhsa_memory_ordered 1
		.amdhsa_forward_progress 1
		.amdhsa_shared_vgpr_count 0
		.amdhsa_exception_fp_ieee_invalid_op 0
		.amdhsa_exception_fp_denorm_src 0
		.amdhsa_exception_fp_ieee_div_zero 0
		.amdhsa_exception_fp_ieee_overflow 0
		.amdhsa_exception_fp_ieee_underflow 0
		.amdhsa_exception_fp_ieee_inexact 0
		.amdhsa_exception_int_div_zero 0
	.end_amdhsa_kernel
	.section	.text._ZN12_GLOBAL__N_127rocblas_gemm_batched_kernelI19rocblas_complex_numIfELi16ELi16ELi32ELi32ELi8ELi32ELi8ELi8ELi32ELc84ELc78EKS2_S3_S2_EEvlllT_PT11_llS6_llS4_PT12_llPT13_lli,"axG",@progbits,_ZN12_GLOBAL__N_127rocblas_gemm_batched_kernelI19rocblas_complex_numIfELi16ELi16ELi32ELi32ELi8ELi32ELi8ELi8ELi32ELc84ELc78EKS2_S3_S2_EEvlllT_PT11_llS6_llS4_PT12_llPT13_lli,comdat
.Lfunc_end99:
	.size	_ZN12_GLOBAL__N_127rocblas_gemm_batched_kernelI19rocblas_complex_numIfELi16ELi16ELi32ELi32ELi8ELi32ELi8ELi8ELi32ELc84ELc78EKS2_S3_S2_EEvlllT_PT11_llS6_llS4_PT12_llPT13_lli, .Lfunc_end99-_ZN12_GLOBAL__N_127rocblas_gemm_batched_kernelI19rocblas_complex_numIfELi16ELi16ELi32ELi32ELi8ELi32ELi8ELi8ELi32ELc84ELc78EKS2_S3_S2_EEvlllT_PT11_llS6_llS4_PT12_llPT13_lli
                                        ; -- End function
	.set _ZN12_GLOBAL__N_127rocblas_gemm_batched_kernelI19rocblas_complex_numIfELi16ELi16ELi32ELi32ELi8ELi32ELi8ELi8ELi32ELc84ELc78EKS2_S3_S2_EEvlllT_PT11_llS6_llS4_PT12_llPT13_lli.num_vgpr, 92
	.set _ZN12_GLOBAL__N_127rocblas_gemm_batched_kernelI19rocblas_complex_numIfELi16ELi16ELi32ELi32ELi8ELi32ELi8ELi8ELi32ELc84ELc78EKS2_S3_S2_EEvlllT_PT11_llS6_llS4_PT12_llPT13_lli.num_agpr, 0
	.set _ZN12_GLOBAL__N_127rocblas_gemm_batched_kernelI19rocblas_complex_numIfELi16ELi16ELi32ELi32ELi8ELi32ELi8ELi8ELi32ELc84ELc78EKS2_S3_S2_EEvlllT_PT11_llS6_llS4_PT12_llPT13_lli.numbered_sgpr, 32
	.set _ZN12_GLOBAL__N_127rocblas_gemm_batched_kernelI19rocblas_complex_numIfELi16ELi16ELi32ELi32ELi8ELi32ELi8ELi8ELi32ELc84ELc78EKS2_S3_S2_EEvlllT_PT11_llS6_llS4_PT12_llPT13_lli.num_named_barrier, 0
	.set _ZN12_GLOBAL__N_127rocblas_gemm_batched_kernelI19rocblas_complex_numIfELi16ELi16ELi32ELi32ELi8ELi32ELi8ELi8ELi32ELc84ELc78EKS2_S3_S2_EEvlllT_PT11_llS6_llS4_PT12_llPT13_lli.private_seg_size, 0
	.set _ZN12_GLOBAL__N_127rocblas_gemm_batched_kernelI19rocblas_complex_numIfELi16ELi16ELi32ELi32ELi8ELi32ELi8ELi8ELi32ELc84ELc78EKS2_S3_S2_EEvlllT_PT11_llS6_llS4_PT12_llPT13_lli.uses_vcc, 1
	.set _ZN12_GLOBAL__N_127rocblas_gemm_batched_kernelI19rocblas_complex_numIfELi16ELi16ELi32ELi32ELi8ELi32ELi8ELi8ELi32ELc84ELc78EKS2_S3_S2_EEvlllT_PT11_llS6_llS4_PT12_llPT13_lli.uses_flat_scratch, 0
	.set _ZN12_GLOBAL__N_127rocblas_gemm_batched_kernelI19rocblas_complex_numIfELi16ELi16ELi32ELi32ELi8ELi32ELi8ELi8ELi32ELc84ELc78EKS2_S3_S2_EEvlllT_PT11_llS6_llS4_PT12_llPT13_lli.has_dyn_sized_stack, 0
	.set _ZN12_GLOBAL__N_127rocblas_gemm_batched_kernelI19rocblas_complex_numIfELi16ELi16ELi32ELi32ELi8ELi32ELi8ELi8ELi32ELc84ELc78EKS2_S3_S2_EEvlllT_PT11_llS6_llS4_PT12_llPT13_lli.has_recursion, 0
	.set _ZN12_GLOBAL__N_127rocblas_gemm_batched_kernelI19rocblas_complex_numIfELi16ELi16ELi32ELi32ELi8ELi32ELi8ELi8ELi32ELc84ELc78EKS2_S3_S2_EEvlllT_PT11_llS6_llS4_PT12_llPT13_lli.has_indirect_call, 0
	.section	.AMDGPU.csdata,"",@progbits
; Kernel info:
; codeLenInByte = 2524
; TotalNumSgprs: 34
; NumVgprs: 92
; ScratchSize: 0
; MemoryBound: 0
; FloatMode: 240
; IeeeMode: 1
; LDSByteSize: 4096 bytes/workgroup (compile time only)
; SGPRBlocks: 0
; VGPRBlocks: 11
; NumSGPRsForWavesPerEU: 34
; NumVGPRsForWavesPerEU: 92
; Occupancy: 10
; WaveLimiterHint : 1
; COMPUTE_PGM_RSRC2:SCRATCH_EN: 0
; COMPUTE_PGM_RSRC2:USER_SGPR: 6
; COMPUTE_PGM_RSRC2:TRAP_HANDLER: 0
; COMPUTE_PGM_RSRC2:TGID_X_EN: 1
; COMPUTE_PGM_RSRC2:TGID_Y_EN: 1
; COMPUTE_PGM_RSRC2:TGID_Z_EN: 1
; COMPUTE_PGM_RSRC2:TIDIG_COMP_CNT: 1
	.section	.text._ZN12_GLOBAL__N_127rocblas_gemm_batched_kernelI19rocblas_complex_numIfELi16ELi16ELi32ELi32ELi8ELi32ELi8ELi8ELi32ELc78ELc84EKS2_S3_S2_EEvlllT_PT11_llS6_llS4_PT12_llPT13_lli,"axG",@progbits,_ZN12_GLOBAL__N_127rocblas_gemm_batched_kernelI19rocblas_complex_numIfELi16ELi16ELi32ELi32ELi8ELi32ELi8ELi8ELi32ELc78ELc84EKS2_S3_S2_EEvlllT_PT11_llS6_llS4_PT12_llPT13_lli,comdat
	.globl	_ZN12_GLOBAL__N_127rocblas_gemm_batched_kernelI19rocblas_complex_numIfELi16ELi16ELi32ELi32ELi8ELi32ELi8ELi8ELi32ELc78ELc84EKS2_S3_S2_EEvlllT_PT11_llS6_llS4_PT12_llPT13_lli ; -- Begin function _ZN12_GLOBAL__N_127rocblas_gemm_batched_kernelI19rocblas_complex_numIfELi16ELi16ELi32ELi32ELi8ELi32ELi8ELi8ELi32ELc78ELc84EKS2_S3_S2_EEvlllT_PT11_llS6_llS4_PT12_llPT13_lli
	.p2align	8
	.type	_ZN12_GLOBAL__N_127rocblas_gemm_batched_kernelI19rocblas_complex_numIfELi16ELi16ELi32ELi32ELi8ELi32ELi8ELi8ELi32ELc78ELc84EKS2_S3_S2_EEvlllT_PT11_llS6_llS4_PT12_llPT13_lli,@function
_ZN12_GLOBAL__N_127rocblas_gemm_batched_kernelI19rocblas_complex_numIfELi16ELi16ELi32ELi32ELi8ELi32ELi8ELi8ELi32ELc78ELc84EKS2_S3_S2_EEvlllT_PT11_llS6_llS4_PT12_llPT13_lli: ; @_ZN12_GLOBAL__N_127rocblas_gemm_batched_kernelI19rocblas_complex_numIfELi16ELi16ELi32ELi32ELi8ELi32ELi8ELi8ELi32ELc78ELc84EKS2_S3_S2_EEvlllT_PT11_llS6_llS4_PT12_llPT13_lli
; %bb.0:
	s_clause 0x1
	s_load_dwordx16 s[12:27], s[4:5], 0x10
	s_load_dwordx2 s[10:11], s[4:5], 0x50
	s_mov_b32 s0, s7
	v_mov_b32_e32 v12, 0
	v_mov_b32_e32 v13, 0
	;; [unrolled: 1-line block ×8, first 2 shown]
	s_ashr_i32 s7, s6, 31
	s_ashr_i32 s1, s0, 31
	s_lshl_b64 s[28:29], s[6:7], 5
	s_lshl_b64 s[30:31], s[0:1], 5
	s_waitcnt lgkmcnt(0)
	v_cmp_lt_i64_e64 s2, s[12:13], 1
	s_and_b32 vcc_lo, exec_lo, s2
	s_cbranch_vccnz .LBB100_3
; %bb.1:
	v_lshl_add_u32 v9, v1, 4, v0
	v_and_b32_e32 v11, 7, v0
	s_mul_i32 s1, s21, s8
	s_mul_hi_u32 s2, s20, s8
	s_mul_hi_u32 s3, s26, s8
	v_lshrrev_b32_e32 v10, 3, v9
	v_lshrrev_b32_e32 v12, 5, v9
	s_add_i32 s1, s2, s1
	v_lshlrev_b32_e32 v13, 3, v11
	s_mul_i32 s2, s27, s8
	v_add_co_u32 v2, s0, v10, s30
	v_add_co_ci_u32_e64 v3, null, 0, s31, s0
	v_mad_u64_u32 v[4:5], null, s18, v12, s[28:29]
	s_mul_i32 s0, s20, s8
	v_mad_u64_u32 v[7:8], null, s24, v11, v[2:3]
	s_lshl_b64 s[0:1], s[0:1], 3
	v_lshl_or_b32 v10, v10, 6, v13
	s_add_u32 s0, s16, s0
	v_mov_b32_e32 v2, v5
	v_and_b32_e32 v5, 31, v9
	s_addc_u32 s1, s17, s1
	v_mov_b32_e32 v3, v8
	v_mov_b32_e32 v6, 0
	v_lshlrev_b32_e32 v14, 3, v0
	v_lshl_add_u32 v15, v1, 6, 0x800
	v_add_nc_u32_e32 v17, 0x800, v10
	v_mad_u64_u32 v[8:9], null, s19, v12, v[2:3]
	v_mad_u64_u32 v[2:3], null, s25, v11, v[3:4]
	v_add_co_u32 v3, vcc_lo, v4, v5
	v_lshlrev_b32_e32 v9, 3, v5
	v_mov_b32_e32 v11, 0
	v_add_co_ci_u32_e64 v4, null, 0, v8, vcc_lo
	v_mov_b32_e32 v8, v2
	v_lshl_or_b32 v16, v12, 8, v9
	v_mov_b32_e32 v9, 0
	v_lshlrev_b64 v[2:3], 3, v[3:4]
	v_mov_b32_e32 v10, 0
	v_lshlrev_b64 v[4:5], 3, v[7:8]
	v_mov_b32_e32 v7, 0
	v_mov_b32_e32 v8, 0
	;; [unrolled: 1-line block ×3, first 2 shown]
	v_add_co_u32 v2, vcc_lo, s0, v2
	v_add_co_ci_u32_e64 v3, null, s1, v3, vcc_lo
	s_add_i32 s1, s3, s2
	s_mul_i32 s0, s26, s8
	v_mov_b32_e32 v12, 0
	s_lshl_b64 s[2:3], s[0:1], 3
	s_lshl_b64 s[0:1], s[18:19], 6
	s_add_u32 s2, s22, s2
	s_addc_u32 s3, s23, s3
	v_add_co_u32 v4, vcc_lo, s2, v4
	v_add_co_ci_u32_e64 v5, null, s3, v5, vcc_lo
	s_lshl_b64 s[2:3], s[24:25], 6
	s_mov_b64 s[6:7], 0
.LBB100_2:                              ; =>This Inner Loop Header: Depth=1
	global_load_dwordx2 v[18:19], v[2:3], off
	global_load_dwordx2 v[20:21], v[4:5], off
	s_add_u32 s6, s6, 8
	s_addc_u32 s7, s7, 0
	v_add_co_u32 v2, vcc_lo, v2, s0
	v_cmp_lt_i64_e64 s9, s[6:7], s[12:13]
	v_add_co_ci_u32_e64 v3, null, s1, v3, vcc_lo
	v_add_co_u32 v4, vcc_lo, v4, s2
	v_add_co_ci_u32_e64 v5, null, s3, v5, vcc_lo
	s_and_b32 vcc_lo, exec_lo, s9
	s_waitcnt vmcnt(1)
	ds_write_b64 v16, v[18:19]
	s_waitcnt vmcnt(0)
	ds_write_b64 v17, v[20:21]
	s_waitcnt lgkmcnt(0)
	s_barrier
	buffer_gl0_inv
	ds_read_b128 v[18:21], v15
	ds_read2_b64 v[22:25], v14 offset1:16
	ds_read_b128 v[26:29], v15 offset:1024
	ds_read2_b64 v[30:33], v14 offset0:32 offset1:48
	ds_read_b128 v[34:37], v15 offset:16
	ds_read2_b64 v[38:41], v14 offset0:64 offset1:80
	ds_read_b128 v[42:45], v15 offset:1040
	ds_read2_b64 v[46:49], v14 offset0:96 offset1:112
	ds_read2_b64 v[50:53], v14 offset0:128 offset1:144
	ds_read2_b64 v[54:57], v14 offset0:160 offset1:176
	ds_read_b128 v[58:61], v15 offset:32
	ds_read_b128 v[62:65], v15 offset:48
	ds_read2_b64 v[66:69], v14 offset0:192 offset1:208
	ds_read_b128 v[70:73], v15 offset:1056
	ds_read_b128 v[74:77], v15 offset:1072
	ds_read2_b64 v[78:81], v14 offset0:224 offset1:240
	s_waitcnt lgkmcnt(0)
	s_barrier
	buffer_gl0_inv
	v_mul_f32_e32 v82, v19, v23
	v_mul_f32_e32 v83, v18, v23
	;; [unrolled: 1-line block ×12, first 2 shown]
	v_fma_f32 v82, v18, v22, -v82
	v_fmac_f32_e32 v83, v19, v22
	v_fma_f32 v18, v18, v24, -v84
	v_fmac_f32_e32 v85, v19, v24
	;; [unrolled: 2-line block ×4, first 2 shown]
	v_mul_f32_e32 v24, v29, v31
	v_mul_f32_e32 v26, v28, v31
	;; [unrolled: 1-line block ×4, first 2 shown]
	v_fma_f32 v33, v20, v30, -v88
	v_fmac_f32_e32 v89, v21, v30
	v_fma_f32 v20, v20, v32, -v90
	v_fmac_f32_e32 v91, v21, v32
	v_mul_f32_e32 v21, v35, v39
	v_mul_f32_e32 v84, v34, v39
	v_mul_f32_e32 v86, v35, v41
	v_mul_f32_e32 v87, v34, v41
	v_fma_f32 v24, v28, v30, -v24
	v_fmac_f32_e32 v26, v29, v30
	v_fma_f32 v27, v28, v32, -v27
	v_fmac_f32_e32 v31, v29, v32
	v_mul_f32_e32 v28, v43, v39
	v_mul_f32_e32 v29, v42, v39
	v_mul_f32_e32 v30, v43, v41
	v_mul_f32_e32 v32, v42, v41
	v_add_f32_e32 v12, v12, v82
	v_add_f32_e32 v13, v13, v83
	v_add_f32_e32 v10, v10, v18
	v_add_f32_e32 v11, v11, v85
	v_add_f32_e32 v8, v8, v19
	v_add_f32_e32 v9, v9, v23
	v_add_f32_e32 v7, v7, v22
	v_add_f32_e32 v6, v6, v25
	v_mul_f32_e32 v39, v37, v47
	v_mul_f32_e32 v41, v36, v47
	v_mul_f32_e32 v88, v37, v49
	v_mul_f32_e32 v90, v36, v49
	v_fma_f32 v21, v34, v38, -v21
	v_fmac_f32_e32 v84, v35, v38
	v_fma_f32 v34, v34, v40, -v86
	v_fmac_f32_e32 v87, v35, v40
	v_fma_f32 v28, v42, v38, -v28
	v_fmac_f32_e32 v29, v43, v38
	v_fma_f32 v30, v42, v40, -v30
	v_fmac_f32_e32 v32, v43, v40
	v_mul_f32_e32 v35, v45, v47
	v_mul_f32_e32 v38, v44, v47
	v_mul_f32_e32 v40, v45, v49
	v_mul_f32_e32 v42, v44, v49
	v_add_f32_e32 v12, v12, v33
	v_add_f32_e32 v13, v13, v89
	v_add_f32_e32 v10, v10, v20
	v_add_f32_e32 v11, v11, v91
	v_add_f32_e32 v8, v8, v24
	v_add_f32_e32 v9, v9, v26
	v_add_f32_e32 v7, v7, v27
	v_add_f32_e32 v6, v6, v31
	v_fma_f32 v39, v36, v46, -v39
	v_fmac_f32_e32 v41, v37, v46
	v_fma_f32 v36, v36, v48, -v88
	v_fmac_f32_e32 v90, v37, v48
	v_mul_f32_e32 v37, v59, v51
	v_mul_f32_e32 v43, v58, v51
	v_mul_f32_e32 v47, v59, v53
	v_mul_f32_e32 v49, v58, v53
	v_fma_f32 v35, v44, v46, -v35
	v_fmac_f32_e32 v38, v45, v46
	v_fma_f32 v40, v44, v48, -v40
	v_fmac_f32_e32 v42, v45, v48
	v_mul_f32_e32 v44, v71, v51
	v_mul_f32_e32 v45, v70, v51
	v_mul_f32_e32 v46, v71, v53
	v_mul_f32_e32 v48, v70, v53
	v_add_f32_e32 v12, v12, v21
	v_add_f32_e32 v13, v13, v84
	v_add_f32_e32 v10, v10, v34
	v_add_f32_e32 v11, v11, v87
	v_add_f32_e32 v8, v8, v28
	v_add_f32_e32 v9, v9, v29
	v_add_f32_e32 v7, v7, v30
	v_add_f32_e32 v6, v6, v32
	v_mul_f32_e32 v51, v61, v55
	v_mul_f32_e32 v53, v60, v55
	v_mul_f32_e32 v86, v61, v57
	v_mul_f32_e32 v88, v60, v57
	v_fma_f32 v37, v58, v50, -v37
	v_fmac_f32_e32 v43, v59, v50
	v_fma_f32 v47, v58, v52, -v47
	v_fmac_f32_e32 v49, v59, v52
	v_fma_f32 v44, v70, v50, -v44
	v_fmac_f32_e32 v45, v71, v50
	v_fma_f32 v46, v70, v52, -v46
	v_fmac_f32_e32 v48, v71, v52
	v_mul_f32_e32 v50, v73, v55
	v_mul_f32_e32 v52, v72, v55
	v_mul_f32_e32 v55, v73, v57
	v_mul_f32_e32 v57, v72, v57
	v_add_f32_e32 v12, v12, v39
	v_add_f32_e32 v13, v13, v41
	v_add_f32_e32 v10, v10, v36
	v_add_f32_e32 v11, v11, v90
	v_add_f32_e32 v8, v8, v35
	v_add_f32_e32 v9, v9, v38
	v_add_f32_e32 v7, v7, v40
	v_add_f32_e32 v6, v6, v42
	;; [unrolled: 48-line block ×3, first 2 shown]
	v_fma_f32 v71, v64, v78, -v71
	v_fmac_f32_e32 v72, v65, v78
	v_fma_f32 v64, v64, v80, -v73
	v_fmac_f32_e32 v86, v65, v80
	;; [unrolled: 2-line block ×4, first 2 shown]
	v_add_f32_e32 v12, v12, v59
	v_add_f32_e32 v13, v13, v60
	;; [unrolled: 1-line block ×16, first 2 shown]
	s_cbranch_vccnz .LBB100_2
.LBB100_3:
	s_clause 0x1
	s_load_dwordx4 s[16:19], s[4:5], 0x78
	s_load_dwordx8 s[0:7], s[4:5], 0x58
	s_waitcnt lgkmcnt(0)
	s_mul_i32 s9, s19, s8
	s_mul_hi_u32 s13, s18, s8
	s_mul_i32 s12, s18, s8
	s_add_i32 s13, s13, s9
	s_lshl_b64 s[12:13], s[12:13], 3
	s_add_u32 s6, s6, s12
	v_add_co_u32 v4, s12, s30, v1
	v_add_co_ci_u32_e64 v5, null, s31, 0, s12
	v_add_co_u32 v0, s12, s28, v0
	s_addc_u32 s7, s7, s13
	s_or_b32 s9, s10, s11
	v_add_co_ci_u32_e64 v1, null, s29, 0, s12
	s_bitset0_b32 s9, 31
	s_cmp_lg_u32 s9, 0
	s_mov_b32 s9, 0
	s_cbranch_scc1 .LBB100_5
; %bb.4:
	v_mul_lo_u32 v14, v5, s16
	v_mul_lo_u32 v15, v4, s17
	v_mad_u64_u32 v[2:3], null, v4, s16, 0
	v_lshlrev_b64 v[17:18], 3, v[0:1]
	s_lshl_b64 s[12:13], s[16:17], 7
	v_mul_f32_e32 v19, s15, v13
	v_mul_f32_e32 v16, s14, v13
	v_mul_f32_e32 v20, s14, v11
	v_mul_f32_e32 v23, s15, v9
	v_add3_u32 v3, v3, v15, v14
	v_mul_f32_e32 v14, s15, v11
	v_fma_f32 v15, v12, s14, -v19
	v_mul_f32_e32 v24, s14, v9
	v_mul_f32_e32 v25, s15, v6
	v_lshlrev_b64 v[2:3], 3, v[2:3]
	v_fma_f32 v19, v10, s14, -v14
	v_mul_f32_e32 v14, s14, v6
	v_fmac_f32_e32 v16, s15, v12
	v_fmac_f32_e32 v20, s15, v10
	v_fma_f32 v23, v8, s14, -v23
	v_add_co_u32 v2, vcc_lo, s6, v2
	v_add_co_ci_u32_e64 v3, null, s7, v3, vcc_lo
	v_fmac_f32_e32 v14, s15, v7
	v_add_co_u32 v21, vcc_lo, v2, v17
	v_add_co_ci_u32_e64 v22, null, v3, v18, vcc_lo
	v_add_co_u32 v2, vcc_lo, v2, s12
	v_add_co_ci_u32_e64 v3, null, s13, v3, vcc_lo
	v_fmac_f32_e32 v24, s15, v8
	v_add_co_u32 v17, vcc_lo, v2, v17
	v_add_co_ci_u32_e64 v18, null, v3, v18, vcc_lo
	v_fma_f32 v25, v7, s14, -v25
	v_add_co_u32 v2, vcc_lo, 0x80, v17
	v_add_co_ci_u32_e64 v3, null, 0, v18, vcc_lo
	global_store_dwordx2 v[21:22], v[15:16], off
	global_store_dwordx2 v[21:22], v[19:20], off offset:128
	global_store_dwordx2 v[17:18], v[23:24], off
	global_store_dword v[17:18], v25, off offset:128
	s_andn2_b32 vcc_lo, exec_lo, s9
	s_cbranch_vccz .LBB100_6
	s_branch .LBB100_7
.LBB100_5:
                                        ; implicit-def: $vgpr14
                                        ; implicit-def: $vgpr2_vgpr3
.LBB100_6:
	v_mul_lo_u32 v14, v5, s2
	v_mul_lo_u32 v15, v4, s3
	v_mad_u64_u32 v[2:3], null, v4, s2, 0
	s_mul_i32 s5, s5, s8
	s_mul_hi_u32 s9, s4, s8
	s_mul_i32 s4, s4, s8
	s_add_i32 s5, s9, s5
	v_lshlrev_b64 v[0:1], 3, v[0:1]
	s_lshl_b64 s[4:5], s[4:5], 3
	v_add3_u32 v3, v3, v15, v14
	s_add_u32 s0, s0, s4
	s_addc_u32 s1, s1, s5
	v_mul_lo_u32 v18, v5, s16
	v_mul_lo_u32 v19, v4, s17
	v_lshlrev_b64 v[2:3], 3, v[2:3]
	v_mad_u64_u32 v[4:5], null, v4, s16, 0
	v_add_co_u32 v16, vcc_lo, s0, v2
	v_add_co_ci_u32_e64 v17, null, s1, v3, vcc_lo
	v_add3_u32 v5, v5, v19, v18
	v_add_co_u32 v2, vcc_lo, v16, v0
	v_add_co_ci_u32_e64 v3, null, v17, v1, vcc_lo
	v_mul_f32_e32 v18, s15, v13
	v_mul_f32_e32 v13, s14, v13
	v_lshlrev_b64 v[4:5], 3, v[4:5]
	global_load_dwordx2 v[14:15], v[2:3], off
	s_lshl_b64 s[0:1], s[2:3], 7
	v_fma_f32 v18, v12, s14, -v18
	v_fmac_f32_e32 v13, s15, v12
	v_add_co_u32 v19, vcc_lo, s6, v4
	v_add_co_ci_u32_e64 v20, null, s7, v5, vcc_lo
	v_add_co_u32 v4, vcc_lo, v19, v0
	v_add_co_ci_u32_e64 v5, null, v20, v1, vcc_lo
	s_waitcnt vmcnt(0)
	v_mul_f32_e32 v12, s11, v15
	v_mul_f32_e32 v15, s10, v15
	v_fma_f32 v12, v14, s10, -v12
	v_fmac_f32_e32 v15, s11, v14
	v_add_f32_e32 v12, v18, v12
	v_add_f32_e32 v13, v13, v15
	global_store_dwordx2 v[4:5], v[12:13], off
	global_load_dwordx2 v[2:3], v[2:3], off offset:128
	v_mul_f32_e32 v12, s15, v11
	v_mul_f32_e32 v11, s14, v11
	v_fma_f32 v12, v10, s14, -v12
	v_fmac_f32_e32 v11, s15, v10
	s_waitcnt vmcnt(0)
	v_mul_f32_e32 v13, s11, v3
	v_mul_f32_e32 v3, s10, v3
	v_fma_f32 v10, v2, s10, -v13
	v_add_co_u32 v13, vcc_lo, v16, s0
	v_fmac_f32_e32 v3, s11, v2
	v_add_co_ci_u32_e64 v14, null, s1, v17, vcc_lo
	v_add_f32_e32 v2, v12, v10
	v_add_co_u32 v10, vcc_lo, v13, v0
	v_add_f32_e32 v3, v11, v3
	v_add_co_ci_u32_e64 v11, null, v14, v1, vcc_lo
	s_lshl_b64 s[0:1], s[16:17], 7
	global_store_dwordx2 v[4:5], v[2:3], off offset:128
	global_load_dwordx2 v[2:3], v[10:11], off
	v_mul_f32_e32 v4, s15, v9
	v_mul_f32_e32 v5, s14, v9
	v_add_co_u32 v9, vcc_lo, v19, s0
	v_add_co_ci_u32_e64 v12, null, s1, v20, vcc_lo
	v_fma_f32 v4, v8, s14, -v4
	v_fmac_f32_e32 v5, s15, v8
	v_add_co_u32 v0, vcc_lo, v9, v0
	v_add_co_ci_u32_e64 v1, null, v12, v1, vcc_lo
	s_waitcnt vmcnt(0)
	v_mul_f32_e32 v8, s11, v3
	v_mul_f32_e32 v3, s10, v3
	v_fma_f32 v8, v2, s10, -v8
	v_fmac_f32_e32 v3, s11, v2
	v_add_f32_e32 v2, v4, v8
	v_add_f32_e32 v3, v5, v3
	v_mul_f32_e32 v4, s15, v6
	v_mul_f32_e32 v5, s14, v6
	global_store_dwordx2 v[0:1], v[2:3], off
	global_load_dwordx2 v[2:3], v[10:11], off offset:128
	v_fma_f32 v4, v7, s14, -v4
	v_fmac_f32_e32 v5, s15, v7
	s_waitcnt vmcnt(0)
	v_mul_f32_e32 v6, s11, v3
	v_mul_f32_e32 v3, s10, v3
	v_fma_f32 v6, v2, s10, -v6
	v_fmac_f32_e32 v3, s11, v2
	v_add_co_u32 v2, vcc_lo, 0x80, v0
	v_add_f32_e32 v4, v4, v6
	v_add_f32_e32 v14, v5, v3
	v_add_co_ci_u32_e64 v3, null, 0, v1, vcc_lo
	global_store_dword v[0:1], v4, off offset:128
.LBB100_7:
	global_store_dword v[2:3], v14, off offset:4
	s_endpgm
	.section	.rodata,"a",@progbits
	.p2align	6, 0x0
	.amdhsa_kernel _ZN12_GLOBAL__N_127rocblas_gemm_batched_kernelI19rocblas_complex_numIfELi16ELi16ELi32ELi32ELi8ELi32ELi8ELi8ELi32ELc78ELc84EKS2_S3_S2_EEvlllT_PT11_llS6_llS4_PT12_llPT13_lli
		.amdhsa_group_segment_fixed_size 4096
		.amdhsa_private_segment_fixed_size 0
		.amdhsa_kernarg_size 140
		.amdhsa_user_sgpr_count 6
		.amdhsa_user_sgpr_private_segment_buffer 1
		.amdhsa_user_sgpr_dispatch_ptr 0
		.amdhsa_user_sgpr_queue_ptr 0
		.amdhsa_user_sgpr_kernarg_segment_ptr 1
		.amdhsa_user_sgpr_dispatch_id 0
		.amdhsa_user_sgpr_flat_scratch_init 0
		.amdhsa_user_sgpr_private_segment_size 0
		.amdhsa_wavefront_size32 1
		.amdhsa_uses_dynamic_stack 0
		.amdhsa_system_sgpr_private_segment_wavefront_offset 0
		.amdhsa_system_sgpr_workgroup_id_x 1
		.amdhsa_system_sgpr_workgroup_id_y 1
		.amdhsa_system_sgpr_workgroup_id_z 1
		.amdhsa_system_sgpr_workgroup_info 0
		.amdhsa_system_vgpr_workitem_id 1
		.amdhsa_next_free_vgpr 92
		.amdhsa_next_free_sgpr 32
		.amdhsa_reserve_vcc 1
		.amdhsa_reserve_flat_scratch 0
		.amdhsa_float_round_mode_32 0
		.amdhsa_float_round_mode_16_64 0
		.amdhsa_float_denorm_mode_32 3
		.amdhsa_float_denorm_mode_16_64 3
		.amdhsa_dx10_clamp 1
		.amdhsa_ieee_mode 1
		.amdhsa_fp16_overflow 0
		.amdhsa_workgroup_processor_mode 1
		.amdhsa_memory_ordered 1
		.amdhsa_forward_progress 1
		.amdhsa_shared_vgpr_count 0
		.amdhsa_exception_fp_ieee_invalid_op 0
		.amdhsa_exception_fp_denorm_src 0
		.amdhsa_exception_fp_ieee_div_zero 0
		.amdhsa_exception_fp_ieee_overflow 0
		.amdhsa_exception_fp_ieee_underflow 0
		.amdhsa_exception_fp_ieee_inexact 0
		.amdhsa_exception_int_div_zero 0
	.end_amdhsa_kernel
	.section	.text._ZN12_GLOBAL__N_127rocblas_gemm_batched_kernelI19rocblas_complex_numIfELi16ELi16ELi32ELi32ELi8ELi32ELi8ELi8ELi32ELc78ELc84EKS2_S3_S2_EEvlllT_PT11_llS6_llS4_PT12_llPT13_lli,"axG",@progbits,_ZN12_GLOBAL__N_127rocblas_gemm_batched_kernelI19rocblas_complex_numIfELi16ELi16ELi32ELi32ELi8ELi32ELi8ELi8ELi32ELc78ELc84EKS2_S3_S2_EEvlllT_PT11_llS6_llS4_PT12_llPT13_lli,comdat
.Lfunc_end100:
	.size	_ZN12_GLOBAL__N_127rocblas_gemm_batched_kernelI19rocblas_complex_numIfELi16ELi16ELi32ELi32ELi8ELi32ELi8ELi8ELi32ELc78ELc84EKS2_S3_S2_EEvlllT_PT11_llS6_llS4_PT12_llPT13_lli, .Lfunc_end100-_ZN12_GLOBAL__N_127rocblas_gemm_batched_kernelI19rocblas_complex_numIfELi16ELi16ELi32ELi32ELi8ELi32ELi8ELi8ELi32ELc78ELc84EKS2_S3_S2_EEvlllT_PT11_llS6_llS4_PT12_llPT13_lli
                                        ; -- End function
	.set _ZN12_GLOBAL__N_127rocblas_gemm_batched_kernelI19rocblas_complex_numIfELi16ELi16ELi32ELi32ELi8ELi32ELi8ELi8ELi32ELc78ELc84EKS2_S3_S2_EEvlllT_PT11_llS6_llS4_PT12_llPT13_lli.num_vgpr, 92
	.set _ZN12_GLOBAL__N_127rocblas_gemm_batched_kernelI19rocblas_complex_numIfELi16ELi16ELi32ELi32ELi8ELi32ELi8ELi8ELi32ELc78ELc84EKS2_S3_S2_EEvlllT_PT11_llS6_llS4_PT12_llPT13_lli.num_agpr, 0
	.set _ZN12_GLOBAL__N_127rocblas_gemm_batched_kernelI19rocblas_complex_numIfELi16ELi16ELi32ELi32ELi8ELi32ELi8ELi8ELi32ELc78ELc84EKS2_S3_S2_EEvlllT_PT11_llS6_llS4_PT12_llPT13_lli.numbered_sgpr, 32
	.set _ZN12_GLOBAL__N_127rocblas_gemm_batched_kernelI19rocblas_complex_numIfELi16ELi16ELi32ELi32ELi8ELi32ELi8ELi8ELi32ELc78ELc84EKS2_S3_S2_EEvlllT_PT11_llS6_llS4_PT12_llPT13_lli.num_named_barrier, 0
	.set _ZN12_GLOBAL__N_127rocblas_gemm_batched_kernelI19rocblas_complex_numIfELi16ELi16ELi32ELi32ELi8ELi32ELi8ELi8ELi32ELc78ELc84EKS2_S3_S2_EEvlllT_PT11_llS6_llS4_PT12_llPT13_lli.private_seg_size, 0
	.set _ZN12_GLOBAL__N_127rocblas_gemm_batched_kernelI19rocblas_complex_numIfELi16ELi16ELi32ELi32ELi8ELi32ELi8ELi8ELi32ELc78ELc84EKS2_S3_S2_EEvlllT_PT11_llS6_llS4_PT12_llPT13_lli.uses_vcc, 1
	.set _ZN12_GLOBAL__N_127rocblas_gemm_batched_kernelI19rocblas_complex_numIfELi16ELi16ELi32ELi32ELi8ELi32ELi8ELi8ELi32ELc78ELc84EKS2_S3_S2_EEvlllT_PT11_llS6_llS4_PT12_llPT13_lli.uses_flat_scratch, 0
	.set _ZN12_GLOBAL__N_127rocblas_gemm_batched_kernelI19rocblas_complex_numIfELi16ELi16ELi32ELi32ELi8ELi32ELi8ELi8ELi32ELc78ELc84EKS2_S3_S2_EEvlllT_PT11_llS6_llS4_PT12_llPT13_lli.has_dyn_sized_stack, 0
	.set _ZN12_GLOBAL__N_127rocblas_gemm_batched_kernelI19rocblas_complex_numIfELi16ELi16ELi32ELi32ELi8ELi32ELi8ELi8ELi32ELc78ELc84EKS2_S3_S2_EEvlllT_PT11_llS6_llS4_PT12_llPT13_lli.has_recursion, 0
	.set _ZN12_GLOBAL__N_127rocblas_gemm_batched_kernelI19rocblas_complex_numIfELi16ELi16ELi32ELi32ELi8ELi32ELi8ELi8ELi32ELc78ELc84EKS2_S3_S2_EEvlllT_PT11_llS6_llS4_PT12_llPT13_lli.has_indirect_call, 0
	.section	.AMDGPU.csdata,"",@progbits
; Kernel info:
; codeLenInByte = 2460
; TotalNumSgprs: 34
; NumVgprs: 92
; ScratchSize: 0
; MemoryBound: 0
; FloatMode: 240
; IeeeMode: 1
; LDSByteSize: 4096 bytes/workgroup (compile time only)
; SGPRBlocks: 0
; VGPRBlocks: 11
; NumSGPRsForWavesPerEU: 34
; NumVGPRsForWavesPerEU: 92
; Occupancy: 10
; WaveLimiterHint : 1
; COMPUTE_PGM_RSRC2:SCRATCH_EN: 0
; COMPUTE_PGM_RSRC2:USER_SGPR: 6
; COMPUTE_PGM_RSRC2:TRAP_HANDLER: 0
; COMPUTE_PGM_RSRC2:TGID_X_EN: 1
; COMPUTE_PGM_RSRC2:TGID_Y_EN: 1
; COMPUTE_PGM_RSRC2:TGID_Z_EN: 1
; COMPUTE_PGM_RSRC2:TIDIG_COMP_CNT: 1
	.section	.text._ZN12_GLOBAL__N_127rocblas_gemm_batched_kernelI19rocblas_complex_numIfELi16ELi16ELi32ELi32ELi8ELi32ELi8ELi8ELi32ELc84ELc84EKS2_S3_S2_EEvlllT_PT11_llS6_llS4_PT12_llPT13_lli,"axG",@progbits,_ZN12_GLOBAL__N_127rocblas_gemm_batched_kernelI19rocblas_complex_numIfELi16ELi16ELi32ELi32ELi8ELi32ELi8ELi8ELi32ELc84ELc84EKS2_S3_S2_EEvlllT_PT11_llS6_llS4_PT12_llPT13_lli,comdat
	.globl	_ZN12_GLOBAL__N_127rocblas_gemm_batched_kernelI19rocblas_complex_numIfELi16ELi16ELi32ELi32ELi8ELi32ELi8ELi8ELi32ELc84ELc84EKS2_S3_S2_EEvlllT_PT11_llS6_llS4_PT12_llPT13_lli ; -- Begin function _ZN12_GLOBAL__N_127rocblas_gemm_batched_kernelI19rocblas_complex_numIfELi16ELi16ELi32ELi32ELi8ELi32ELi8ELi8ELi32ELc84ELc84EKS2_S3_S2_EEvlllT_PT11_llS6_llS4_PT12_llPT13_lli
	.p2align	8
	.type	_ZN12_GLOBAL__N_127rocblas_gemm_batched_kernelI19rocblas_complex_numIfELi16ELi16ELi32ELi32ELi8ELi32ELi8ELi8ELi32ELc84ELc84EKS2_S3_S2_EEvlllT_PT11_llS6_llS4_PT12_llPT13_lli,@function
_ZN12_GLOBAL__N_127rocblas_gemm_batched_kernelI19rocblas_complex_numIfELi16ELi16ELi32ELi32ELi8ELi32ELi8ELi8ELi32ELc84ELc84EKS2_S3_S2_EEvlllT_PT11_llS6_llS4_PT12_llPT13_lli: ; @_ZN12_GLOBAL__N_127rocblas_gemm_batched_kernelI19rocblas_complex_numIfELi16ELi16ELi32ELi32ELi8ELi32ELi8ELi8ELi32ELc84ELc84EKS2_S3_S2_EEvlllT_PT11_llS6_llS4_PT12_llPT13_lli
; %bb.0:
	s_clause 0x1
	s_load_dwordx16 s[12:27], s[4:5], 0x10
	s_load_dwordx2 s[10:11], s[4:5], 0x50
	s_mov_b32 s0, s7
	v_mov_b32_e32 v12, 0
	v_mov_b32_e32 v13, 0
	;; [unrolled: 1-line block ×8, first 2 shown]
	s_ashr_i32 s7, s6, 31
	s_ashr_i32 s1, s0, 31
	s_lshl_b64 s[28:29], s[6:7], 5
	s_lshl_b64 s[30:31], s[0:1], 5
	s_waitcnt lgkmcnt(0)
	v_cmp_lt_i64_e64 s2, s[12:13], 1
	s_and_b32 vcc_lo, exec_lo, s2
	s_cbranch_vccnz .LBB101_3
; %bb.1:
	v_lshl_add_u32 v7, v1, 4, v0
	v_and_b32_e32 v8, 7, v0
	s_mul_i32 s1, s21, s8
	s_mul_hi_u32 s2, s20, s8
	s_mul_hi_u32 s3, s26, s8
	v_lshrrev_b32_e32 v9, 3, v7
	v_and_b32_e32 v10, 31, v7
	v_lshlrev_b32_e32 v13, 3, v8
	v_lshrrev_b32_e32 v18, 5, v7
	s_add_i32 s1, s2, s1
	v_add_co_u32 v2, s0, v9, s30
	v_add_co_ci_u32_e64 v3, null, 0, s31, s0
	v_add_co_u32 v4, s0, s28, v10
	v_add_co_ci_u32_e64 v5, null, s29, 0, s0
	v_mad_u64_u32 v[2:3], null, s24, v8, v[2:3]
	v_mul_lo_u32 v11, s19, v4
	v_mul_lo_u32 v12, s18, v5
	v_mad_u64_u32 v[4:5], null, s18, v4, 0
	s_mul_i32 s0, s20, s8
	s_mul_i32 s2, s27, s8
	s_lshl_b64 s[0:1], s[0:1], 3
	v_lshlrev_b32_e32 v10, 3, v10
	v_mov_b32_e32 v6, 0
	v_lshlrev_b32_e32 v14, 3, v0
	v_add3_u32 v5, v5, v12, v11
	v_mad_u64_u32 v[7:8], null, s25, v8, v[3:4]
	v_lshl_or_b32 v3, v9, 6, v13
	v_lshl_add_u32 v15, v1, 6, 0x800
	v_lshlrev_b64 v[4:5], 3, v[4:5]
	v_lshl_or_b32 v16, v18, 8, v10
	v_mov_b32_e32 v9, 0
	v_add_nc_u32_e32 v17, 0x800, v3
	v_mov_b32_e32 v3, v7
	v_lshlrev_b32_e32 v7, 3, v18
	v_add_co_u32 v4, vcc_lo, v4, s0
	v_add_co_ci_u32_e64 v5, null, s1, v5, vcc_lo
	s_add_i32 s1, s3, s2
	v_add_co_u32 v7, vcc_lo, v4, v7
	s_mul_i32 s0, s26, s8
	v_add_co_ci_u32_e64 v8, null, 0, v5, vcc_lo
	v_lshlrev_b64 v[4:5], 3, v[2:3]
	s_lshl_b64 s[0:1], s[0:1], 3
	v_add_co_u32 v2, vcc_lo, s16, v7
	s_add_u32 s0, s22, s0
	v_add_co_ci_u32_e64 v3, null, s17, v8, vcc_lo
	s_addc_u32 s1, s23, s1
	v_add_co_u32 v4, vcc_lo, s0, v4
	v_add_co_ci_u32_e64 v5, null, s1, v5, vcc_lo
	v_mov_b32_e32 v7, 0
	v_mov_b32_e32 v8, 0
	;; [unrolled: 1-line block ×6, first 2 shown]
	s_lshl_b64 s[0:1], s[24:25], 6
	s_mov_b64 s[2:3], 0
.LBB101_2:                              ; =>This Inner Loop Header: Depth=1
	global_load_dwordx2 v[18:19], v[2:3], off
	global_load_dwordx2 v[20:21], v[4:5], off
	s_add_u32 s2, s2, 8
	s_addc_u32 s3, s3, 0
	v_add_co_u32 v2, vcc_lo, v2, 64
	v_cmp_lt_i64_e64 s6, s[2:3], s[12:13]
	v_add_co_ci_u32_e64 v3, null, 0, v3, vcc_lo
	v_add_co_u32 v4, vcc_lo, v4, s0
	v_add_co_ci_u32_e64 v5, null, s1, v5, vcc_lo
	s_and_b32 vcc_lo, exec_lo, s6
	s_waitcnt vmcnt(1)
	ds_write_b64 v16, v[18:19]
	s_waitcnt vmcnt(0)
	ds_write_b64 v17, v[20:21]
	s_waitcnt lgkmcnt(0)
	s_barrier
	buffer_gl0_inv
	ds_read_b128 v[18:21], v15
	ds_read2_b64 v[22:25], v14 offset1:16
	ds_read_b128 v[26:29], v15 offset:1024
	ds_read2_b64 v[30:33], v14 offset0:32 offset1:48
	ds_read_b128 v[34:37], v15 offset:16
	ds_read2_b64 v[38:41], v14 offset0:64 offset1:80
	;; [unrolled: 2-line block ×3, first 2 shown]
	ds_read2_b64 v[50:53], v14 offset0:128 offset1:144
	ds_read2_b64 v[54:57], v14 offset0:160 offset1:176
	ds_read_b128 v[58:61], v15 offset:32
	ds_read_b128 v[62:65], v15 offset:48
	ds_read2_b64 v[66:69], v14 offset0:192 offset1:208
	ds_read_b128 v[70:73], v15 offset:1056
	ds_read_b128 v[74:77], v15 offset:1072
	ds_read2_b64 v[78:81], v14 offset0:224 offset1:240
	s_waitcnt lgkmcnt(0)
	s_barrier
	buffer_gl0_inv
	v_mul_f32_e32 v82, v19, v23
	v_mul_f32_e32 v83, v18, v23
	;; [unrolled: 1-line block ×12, first 2 shown]
	v_fma_f32 v82, v18, v22, -v82
	v_fmac_f32_e32 v83, v19, v22
	v_fma_f32 v18, v18, v24, -v84
	v_fmac_f32_e32 v85, v19, v24
	;; [unrolled: 2-line block ×4, first 2 shown]
	v_mul_f32_e32 v24, v29, v31
	v_mul_f32_e32 v26, v28, v31
	;; [unrolled: 1-line block ×4, first 2 shown]
	v_fma_f32 v33, v20, v30, -v88
	v_fmac_f32_e32 v89, v21, v30
	v_fma_f32 v20, v20, v32, -v90
	v_fmac_f32_e32 v91, v21, v32
	v_mul_f32_e32 v21, v35, v39
	v_mul_f32_e32 v84, v34, v39
	v_mul_f32_e32 v86, v35, v41
	v_mul_f32_e32 v87, v34, v41
	v_fma_f32 v24, v28, v30, -v24
	v_fmac_f32_e32 v26, v29, v30
	v_fma_f32 v27, v28, v32, -v27
	v_fmac_f32_e32 v31, v29, v32
	v_mul_f32_e32 v28, v43, v39
	v_mul_f32_e32 v29, v42, v39
	v_mul_f32_e32 v30, v43, v41
	v_mul_f32_e32 v32, v42, v41
	v_add_f32_e32 v12, v12, v82
	v_add_f32_e32 v13, v13, v83
	v_add_f32_e32 v10, v10, v18
	v_add_f32_e32 v11, v11, v85
	v_add_f32_e32 v8, v8, v19
	v_add_f32_e32 v9, v9, v23
	v_add_f32_e32 v7, v7, v22
	v_add_f32_e32 v6, v6, v25
	v_mul_f32_e32 v39, v37, v47
	v_mul_f32_e32 v41, v36, v47
	v_mul_f32_e32 v88, v37, v49
	v_mul_f32_e32 v90, v36, v49
	v_fma_f32 v21, v34, v38, -v21
	v_fmac_f32_e32 v84, v35, v38
	v_fma_f32 v34, v34, v40, -v86
	v_fmac_f32_e32 v87, v35, v40
	v_fma_f32 v28, v42, v38, -v28
	v_fmac_f32_e32 v29, v43, v38
	v_fma_f32 v30, v42, v40, -v30
	v_fmac_f32_e32 v32, v43, v40
	v_mul_f32_e32 v35, v45, v47
	v_mul_f32_e32 v38, v44, v47
	v_mul_f32_e32 v40, v45, v49
	v_mul_f32_e32 v42, v44, v49
	v_add_f32_e32 v12, v12, v33
	v_add_f32_e32 v13, v13, v89
	v_add_f32_e32 v10, v10, v20
	v_add_f32_e32 v11, v11, v91
	v_add_f32_e32 v8, v8, v24
	v_add_f32_e32 v9, v9, v26
	v_add_f32_e32 v7, v7, v27
	v_add_f32_e32 v6, v6, v31
	v_fma_f32 v39, v36, v46, -v39
	v_fmac_f32_e32 v41, v37, v46
	v_fma_f32 v36, v36, v48, -v88
	v_fmac_f32_e32 v90, v37, v48
	v_mul_f32_e32 v37, v59, v51
	v_mul_f32_e32 v43, v58, v51
	v_mul_f32_e32 v47, v59, v53
	v_mul_f32_e32 v49, v58, v53
	v_fma_f32 v35, v44, v46, -v35
	v_fmac_f32_e32 v38, v45, v46
	v_fma_f32 v40, v44, v48, -v40
	v_fmac_f32_e32 v42, v45, v48
	v_mul_f32_e32 v44, v71, v51
	v_mul_f32_e32 v45, v70, v51
	v_mul_f32_e32 v46, v71, v53
	v_mul_f32_e32 v48, v70, v53
	v_add_f32_e32 v12, v12, v21
	v_add_f32_e32 v13, v13, v84
	v_add_f32_e32 v10, v10, v34
	v_add_f32_e32 v11, v11, v87
	v_add_f32_e32 v8, v8, v28
	v_add_f32_e32 v9, v9, v29
	v_add_f32_e32 v7, v7, v30
	v_add_f32_e32 v6, v6, v32
	v_mul_f32_e32 v51, v61, v55
	v_mul_f32_e32 v53, v60, v55
	v_mul_f32_e32 v86, v61, v57
	v_mul_f32_e32 v88, v60, v57
	v_fma_f32 v37, v58, v50, -v37
	v_fmac_f32_e32 v43, v59, v50
	v_fma_f32 v47, v58, v52, -v47
	v_fmac_f32_e32 v49, v59, v52
	v_fma_f32 v44, v70, v50, -v44
	v_fmac_f32_e32 v45, v71, v50
	v_fma_f32 v46, v70, v52, -v46
	v_fmac_f32_e32 v48, v71, v52
	v_mul_f32_e32 v50, v73, v55
	v_mul_f32_e32 v52, v72, v55
	v_mul_f32_e32 v55, v73, v57
	v_mul_f32_e32 v57, v72, v57
	v_add_f32_e32 v12, v12, v39
	v_add_f32_e32 v13, v13, v41
	v_add_f32_e32 v10, v10, v36
	v_add_f32_e32 v11, v11, v90
	v_add_f32_e32 v8, v8, v35
	v_add_f32_e32 v9, v9, v38
	v_add_f32_e32 v7, v7, v40
	v_add_f32_e32 v6, v6, v42
	;; [unrolled: 48-line block ×3, first 2 shown]
	v_fma_f32 v71, v64, v78, -v71
	v_fmac_f32_e32 v72, v65, v78
	v_fma_f32 v64, v64, v80, -v73
	v_fmac_f32_e32 v86, v65, v80
	;; [unrolled: 2-line block ×4, first 2 shown]
	v_add_f32_e32 v12, v12, v59
	v_add_f32_e32 v13, v13, v60
	;; [unrolled: 1-line block ×16, first 2 shown]
	s_cbranch_vccnz .LBB101_2
.LBB101_3:
	s_clause 0x1
	s_load_dwordx4 s[16:19], s[4:5], 0x78
	s_load_dwordx8 s[0:7], s[4:5], 0x58
	s_waitcnt lgkmcnt(0)
	s_mul_i32 s9, s19, s8
	s_mul_hi_u32 s13, s18, s8
	s_mul_i32 s12, s18, s8
	s_add_i32 s13, s13, s9
	s_lshl_b64 s[12:13], s[12:13], 3
	s_add_u32 s6, s6, s12
	v_add_co_u32 v4, s12, s30, v1
	v_add_co_ci_u32_e64 v5, null, s31, 0, s12
	v_add_co_u32 v0, s12, s28, v0
	s_addc_u32 s7, s7, s13
	s_or_b32 s9, s10, s11
	v_add_co_ci_u32_e64 v1, null, s29, 0, s12
	s_bitset0_b32 s9, 31
	s_cmp_lg_u32 s9, 0
	s_mov_b32 s9, 0
	s_cbranch_scc1 .LBB101_5
; %bb.4:
	v_mul_lo_u32 v14, v5, s16
	v_mul_lo_u32 v15, v4, s17
	v_mad_u64_u32 v[2:3], null, v4, s16, 0
	v_lshlrev_b64 v[17:18], 3, v[0:1]
	s_lshl_b64 s[12:13], s[16:17], 7
	v_mul_f32_e32 v19, s15, v13
	v_mul_f32_e32 v16, s14, v13
	;; [unrolled: 1-line block ×4, first 2 shown]
	v_add3_u32 v3, v3, v15, v14
	v_mul_f32_e32 v14, s15, v11
	v_fma_f32 v15, v12, s14, -v19
	v_mul_f32_e32 v24, s14, v9
	v_mul_f32_e32 v25, s15, v6
	v_lshlrev_b64 v[2:3], 3, v[2:3]
	v_fma_f32 v19, v10, s14, -v14
	v_mul_f32_e32 v14, s14, v6
	v_fmac_f32_e32 v16, s15, v12
	v_fmac_f32_e32 v20, s15, v10
	v_fma_f32 v23, v8, s14, -v23
	v_add_co_u32 v2, vcc_lo, s6, v2
	v_add_co_ci_u32_e64 v3, null, s7, v3, vcc_lo
	v_fmac_f32_e32 v14, s15, v7
	v_add_co_u32 v21, vcc_lo, v2, v17
	v_add_co_ci_u32_e64 v22, null, v3, v18, vcc_lo
	v_add_co_u32 v2, vcc_lo, v2, s12
	v_add_co_ci_u32_e64 v3, null, s13, v3, vcc_lo
	v_fmac_f32_e32 v24, s15, v8
	v_add_co_u32 v17, vcc_lo, v2, v17
	v_add_co_ci_u32_e64 v18, null, v3, v18, vcc_lo
	v_fma_f32 v25, v7, s14, -v25
	v_add_co_u32 v2, vcc_lo, 0x80, v17
	v_add_co_ci_u32_e64 v3, null, 0, v18, vcc_lo
	global_store_dwordx2 v[21:22], v[15:16], off
	global_store_dwordx2 v[21:22], v[19:20], off offset:128
	global_store_dwordx2 v[17:18], v[23:24], off
	global_store_dword v[17:18], v25, off offset:128
	s_andn2_b32 vcc_lo, exec_lo, s9
	s_cbranch_vccz .LBB101_6
	s_branch .LBB101_7
.LBB101_5:
                                        ; implicit-def: $vgpr14
                                        ; implicit-def: $vgpr2_vgpr3
.LBB101_6:
	v_mul_lo_u32 v14, v5, s2
	v_mul_lo_u32 v15, v4, s3
	v_mad_u64_u32 v[2:3], null, v4, s2, 0
	s_mul_i32 s5, s5, s8
	s_mul_hi_u32 s9, s4, s8
	s_mul_i32 s4, s4, s8
	s_add_i32 s5, s9, s5
	v_lshlrev_b64 v[0:1], 3, v[0:1]
	s_lshl_b64 s[4:5], s[4:5], 3
	v_add3_u32 v3, v3, v15, v14
	s_add_u32 s0, s0, s4
	s_addc_u32 s1, s1, s5
	v_mul_lo_u32 v18, v5, s16
	v_mul_lo_u32 v19, v4, s17
	v_lshlrev_b64 v[2:3], 3, v[2:3]
	v_mad_u64_u32 v[4:5], null, v4, s16, 0
	v_add_co_u32 v16, vcc_lo, s0, v2
	v_add_co_ci_u32_e64 v17, null, s1, v3, vcc_lo
	v_add3_u32 v5, v5, v19, v18
	v_add_co_u32 v2, vcc_lo, v16, v0
	v_add_co_ci_u32_e64 v3, null, v17, v1, vcc_lo
	v_mul_f32_e32 v18, s15, v13
	v_mul_f32_e32 v13, s14, v13
	v_lshlrev_b64 v[4:5], 3, v[4:5]
	global_load_dwordx2 v[14:15], v[2:3], off
	s_lshl_b64 s[0:1], s[2:3], 7
	v_fma_f32 v18, v12, s14, -v18
	v_fmac_f32_e32 v13, s15, v12
	v_add_co_u32 v19, vcc_lo, s6, v4
	v_add_co_ci_u32_e64 v20, null, s7, v5, vcc_lo
	v_add_co_u32 v4, vcc_lo, v19, v0
	v_add_co_ci_u32_e64 v5, null, v20, v1, vcc_lo
	s_waitcnt vmcnt(0)
	v_mul_f32_e32 v12, s11, v15
	v_mul_f32_e32 v15, s10, v15
	v_fma_f32 v12, v14, s10, -v12
	v_fmac_f32_e32 v15, s11, v14
	v_add_f32_e32 v12, v18, v12
	v_add_f32_e32 v13, v13, v15
	global_store_dwordx2 v[4:5], v[12:13], off
	global_load_dwordx2 v[2:3], v[2:3], off offset:128
	v_mul_f32_e32 v12, s15, v11
	v_mul_f32_e32 v11, s14, v11
	v_fma_f32 v12, v10, s14, -v12
	v_fmac_f32_e32 v11, s15, v10
	s_waitcnt vmcnt(0)
	v_mul_f32_e32 v13, s11, v3
	v_mul_f32_e32 v3, s10, v3
	v_fma_f32 v10, v2, s10, -v13
	v_add_co_u32 v13, vcc_lo, v16, s0
	v_fmac_f32_e32 v3, s11, v2
	v_add_co_ci_u32_e64 v14, null, s1, v17, vcc_lo
	v_add_f32_e32 v2, v12, v10
	v_add_co_u32 v10, vcc_lo, v13, v0
	v_add_f32_e32 v3, v11, v3
	v_add_co_ci_u32_e64 v11, null, v14, v1, vcc_lo
	s_lshl_b64 s[0:1], s[16:17], 7
	global_store_dwordx2 v[4:5], v[2:3], off offset:128
	global_load_dwordx2 v[2:3], v[10:11], off
	v_mul_f32_e32 v4, s15, v9
	v_mul_f32_e32 v5, s14, v9
	v_add_co_u32 v9, vcc_lo, v19, s0
	v_add_co_ci_u32_e64 v12, null, s1, v20, vcc_lo
	v_fma_f32 v4, v8, s14, -v4
	v_fmac_f32_e32 v5, s15, v8
	v_add_co_u32 v0, vcc_lo, v9, v0
	v_add_co_ci_u32_e64 v1, null, v12, v1, vcc_lo
	s_waitcnt vmcnt(0)
	v_mul_f32_e32 v8, s11, v3
	v_mul_f32_e32 v3, s10, v3
	v_fma_f32 v8, v2, s10, -v8
	v_fmac_f32_e32 v3, s11, v2
	v_add_f32_e32 v2, v4, v8
	v_add_f32_e32 v3, v5, v3
	v_mul_f32_e32 v4, s15, v6
	v_mul_f32_e32 v5, s14, v6
	global_store_dwordx2 v[0:1], v[2:3], off
	global_load_dwordx2 v[2:3], v[10:11], off offset:128
	v_fma_f32 v4, v7, s14, -v4
	v_fmac_f32_e32 v5, s15, v7
	s_waitcnt vmcnt(0)
	v_mul_f32_e32 v6, s11, v3
	v_mul_f32_e32 v3, s10, v3
	v_fma_f32 v6, v2, s10, -v6
	v_fmac_f32_e32 v3, s11, v2
	v_add_co_u32 v2, vcc_lo, 0x80, v0
	v_add_f32_e32 v4, v4, v6
	v_add_f32_e32 v14, v5, v3
	v_add_co_ci_u32_e64 v3, null, 0, v1, vcc_lo
	global_store_dword v[0:1], v4, off offset:128
.LBB101_7:
	global_store_dword v[2:3], v14, off offset:4
	s_endpgm
	.section	.rodata,"a",@progbits
	.p2align	6, 0x0
	.amdhsa_kernel _ZN12_GLOBAL__N_127rocblas_gemm_batched_kernelI19rocblas_complex_numIfELi16ELi16ELi32ELi32ELi8ELi32ELi8ELi8ELi32ELc84ELc84EKS2_S3_S2_EEvlllT_PT11_llS6_llS4_PT12_llPT13_lli
		.amdhsa_group_segment_fixed_size 4096
		.amdhsa_private_segment_fixed_size 0
		.amdhsa_kernarg_size 140
		.amdhsa_user_sgpr_count 6
		.amdhsa_user_sgpr_private_segment_buffer 1
		.amdhsa_user_sgpr_dispatch_ptr 0
		.amdhsa_user_sgpr_queue_ptr 0
		.amdhsa_user_sgpr_kernarg_segment_ptr 1
		.amdhsa_user_sgpr_dispatch_id 0
		.amdhsa_user_sgpr_flat_scratch_init 0
		.amdhsa_user_sgpr_private_segment_size 0
		.amdhsa_wavefront_size32 1
		.amdhsa_uses_dynamic_stack 0
		.amdhsa_system_sgpr_private_segment_wavefront_offset 0
		.amdhsa_system_sgpr_workgroup_id_x 1
		.amdhsa_system_sgpr_workgroup_id_y 1
		.amdhsa_system_sgpr_workgroup_id_z 1
		.amdhsa_system_sgpr_workgroup_info 0
		.amdhsa_system_vgpr_workitem_id 1
		.amdhsa_next_free_vgpr 92
		.amdhsa_next_free_sgpr 32
		.amdhsa_reserve_vcc 1
		.amdhsa_reserve_flat_scratch 0
		.amdhsa_float_round_mode_32 0
		.amdhsa_float_round_mode_16_64 0
		.amdhsa_float_denorm_mode_32 3
		.amdhsa_float_denorm_mode_16_64 3
		.amdhsa_dx10_clamp 1
		.amdhsa_ieee_mode 1
		.amdhsa_fp16_overflow 0
		.amdhsa_workgroup_processor_mode 1
		.amdhsa_memory_ordered 1
		.amdhsa_forward_progress 1
		.amdhsa_shared_vgpr_count 0
		.amdhsa_exception_fp_ieee_invalid_op 0
		.amdhsa_exception_fp_denorm_src 0
		.amdhsa_exception_fp_ieee_div_zero 0
		.amdhsa_exception_fp_ieee_overflow 0
		.amdhsa_exception_fp_ieee_underflow 0
		.amdhsa_exception_fp_ieee_inexact 0
		.amdhsa_exception_int_div_zero 0
	.end_amdhsa_kernel
	.section	.text._ZN12_GLOBAL__N_127rocblas_gemm_batched_kernelI19rocblas_complex_numIfELi16ELi16ELi32ELi32ELi8ELi32ELi8ELi8ELi32ELc84ELc84EKS2_S3_S2_EEvlllT_PT11_llS6_llS4_PT12_llPT13_lli,"axG",@progbits,_ZN12_GLOBAL__N_127rocblas_gemm_batched_kernelI19rocblas_complex_numIfELi16ELi16ELi32ELi32ELi8ELi32ELi8ELi8ELi32ELc84ELc84EKS2_S3_S2_EEvlllT_PT11_llS6_llS4_PT12_llPT13_lli,comdat
.Lfunc_end101:
	.size	_ZN12_GLOBAL__N_127rocblas_gemm_batched_kernelI19rocblas_complex_numIfELi16ELi16ELi32ELi32ELi8ELi32ELi8ELi8ELi32ELc84ELc84EKS2_S3_S2_EEvlllT_PT11_llS6_llS4_PT12_llPT13_lli, .Lfunc_end101-_ZN12_GLOBAL__N_127rocblas_gemm_batched_kernelI19rocblas_complex_numIfELi16ELi16ELi32ELi32ELi8ELi32ELi8ELi8ELi32ELc84ELc84EKS2_S3_S2_EEvlllT_PT11_llS6_llS4_PT12_llPT13_lli
                                        ; -- End function
	.set _ZN12_GLOBAL__N_127rocblas_gemm_batched_kernelI19rocblas_complex_numIfELi16ELi16ELi32ELi32ELi8ELi32ELi8ELi8ELi32ELc84ELc84EKS2_S3_S2_EEvlllT_PT11_llS6_llS4_PT12_llPT13_lli.num_vgpr, 92
	.set _ZN12_GLOBAL__N_127rocblas_gemm_batched_kernelI19rocblas_complex_numIfELi16ELi16ELi32ELi32ELi8ELi32ELi8ELi8ELi32ELc84ELc84EKS2_S3_S2_EEvlllT_PT11_llS6_llS4_PT12_llPT13_lli.num_agpr, 0
	.set _ZN12_GLOBAL__N_127rocblas_gemm_batched_kernelI19rocblas_complex_numIfELi16ELi16ELi32ELi32ELi8ELi32ELi8ELi8ELi32ELc84ELc84EKS2_S3_S2_EEvlllT_PT11_llS6_llS4_PT12_llPT13_lli.numbered_sgpr, 32
	.set _ZN12_GLOBAL__N_127rocblas_gemm_batched_kernelI19rocblas_complex_numIfELi16ELi16ELi32ELi32ELi8ELi32ELi8ELi8ELi32ELc84ELc84EKS2_S3_S2_EEvlllT_PT11_llS6_llS4_PT12_llPT13_lli.num_named_barrier, 0
	.set _ZN12_GLOBAL__N_127rocblas_gemm_batched_kernelI19rocblas_complex_numIfELi16ELi16ELi32ELi32ELi8ELi32ELi8ELi8ELi32ELc84ELc84EKS2_S3_S2_EEvlllT_PT11_llS6_llS4_PT12_llPT13_lli.private_seg_size, 0
	.set _ZN12_GLOBAL__N_127rocblas_gemm_batched_kernelI19rocblas_complex_numIfELi16ELi16ELi32ELi32ELi8ELi32ELi8ELi8ELi32ELc84ELc84EKS2_S3_S2_EEvlllT_PT11_llS6_llS4_PT12_llPT13_lli.uses_vcc, 1
	.set _ZN12_GLOBAL__N_127rocblas_gemm_batched_kernelI19rocblas_complex_numIfELi16ELi16ELi32ELi32ELi8ELi32ELi8ELi8ELi32ELc84ELc84EKS2_S3_S2_EEvlllT_PT11_llS6_llS4_PT12_llPT13_lli.uses_flat_scratch, 0
	.set _ZN12_GLOBAL__N_127rocblas_gemm_batched_kernelI19rocblas_complex_numIfELi16ELi16ELi32ELi32ELi8ELi32ELi8ELi8ELi32ELc84ELc84EKS2_S3_S2_EEvlllT_PT11_llS6_llS4_PT12_llPT13_lli.has_dyn_sized_stack, 0
	.set _ZN12_GLOBAL__N_127rocblas_gemm_batched_kernelI19rocblas_complex_numIfELi16ELi16ELi32ELi32ELi8ELi32ELi8ELi8ELi32ELc84ELc84EKS2_S3_S2_EEvlllT_PT11_llS6_llS4_PT12_llPT13_lli.has_recursion, 0
	.set _ZN12_GLOBAL__N_127rocblas_gemm_batched_kernelI19rocblas_complex_numIfELi16ELi16ELi32ELi32ELi8ELi32ELi8ELi8ELi32ELc84ELc84EKS2_S3_S2_EEvlllT_PT11_llS6_llS4_PT12_llPT13_lli.has_indirect_call, 0
	.section	.AMDGPU.csdata,"",@progbits
; Kernel info:
; codeLenInByte = 2492
; TotalNumSgprs: 34
; NumVgprs: 92
; ScratchSize: 0
; MemoryBound: 0
; FloatMode: 240
; IeeeMode: 1
; LDSByteSize: 4096 bytes/workgroup (compile time only)
; SGPRBlocks: 0
; VGPRBlocks: 11
; NumSGPRsForWavesPerEU: 34
; NumVGPRsForWavesPerEU: 92
; Occupancy: 10
; WaveLimiterHint : 1
; COMPUTE_PGM_RSRC2:SCRATCH_EN: 0
; COMPUTE_PGM_RSRC2:USER_SGPR: 6
; COMPUTE_PGM_RSRC2:TRAP_HANDLER: 0
; COMPUTE_PGM_RSRC2:TGID_X_EN: 1
; COMPUTE_PGM_RSRC2:TGID_Y_EN: 1
; COMPUTE_PGM_RSRC2:TGID_Z_EN: 1
; COMPUTE_PGM_RSRC2:TIDIG_COMP_CNT: 1
	.section	.text._ZN12_GLOBAL__N_127rocblas_gemm_batched_kernelI19rocblas_complex_numIfELi16ELi16ELi32ELi32ELi8ELi32ELi8ELi8ELi32ELc67ELc67EKS2_S3_S2_EEvlllT_PT11_llS6_llS4_PT12_llPT13_lli,"axG",@progbits,_ZN12_GLOBAL__N_127rocblas_gemm_batched_kernelI19rocblas_complex_numIfELi16ELi16ELi32ELi32ELi8ELi32ELi8ELi8ELi32ELc67ELc67EKS2_S3_S2_EEvlllT_PT11_llS6_llS4_PT12_llPT13_lli,comdat
	.globl	_ZN12_GLOBAL__N_127rocblas_gemm_batched_kernelI19rocblas_complex_numIfELi16ELi16ELi32ELi32ELi8ELi32ELi8ELi8ELi32ELc67ELc67EKS2_S3_S2_EEvlllT_PT11_llS6_llS4_PT12_llPT13_lli ; -- Begin function _ZN12_GLOBAL__N_127rocblas_gemm_batched_kernelI19rocblas_complex_numIfELi16ELi16ELi32ELi32ELi8ELi32ELi8ELi8ELi32ELc67ELc67EKS2_S3_S2_EEvlllT_PT11_llS6_llS4_PT12_llPT13_lli
	.p2align	8
	.type	_ZN12_GLOBAL__N_127rocblas_gemm_batched_kernelI19rocblas_complex_numIfELi16ELi16ELi32ELi32ELi8ELi32ELi8ELi8ELi32ELc67ELc67EKS2_S3_S2_EEvlllT_PT11_llS6_llS4_PT12_llPT13_lli,@function
_ZN12_GLOBAL__N_127rocblas_gemm_batched_kernelI19rocblas_complex_numIfELi16ELi16ELi32ELi32ELi8ELi32ELi8ELi8ELi32ELc67ELc67EKS2_S3_S2_EEvlllT_PT11_llS6_llS4_PT12_llPT13_lli: ; @_ZN12_GLOBAL__N_127rocblas_gemm_batched_kernelI19rocblas_complex_numIfELi16ELi16ELi32ELi32ELi8ELi32ELi8ELi8ELi32ELc67ELc67EKS2_S3_S2_EEvlllT_PT11_llS6_llS4_PT12_llPT13_lli
; %bb.0:
	s_clause 0x1
	s_load_dwordx16 s[12:27], s[4:5], 0x10
	s_load_dwordx2 s[10:11], s[4:5], 0x50
	s_mov_b32 s0, s7
	v_mov_b32_e32 v12, 0
	v_mov_b32_e32 v13, 0
	;; [unrolled: 1-line block ×8, first 2 shown]
	s_ashr_i32 s7, s6, 31
	s_ashr_i32 s1, s0, 31
	s_lshl_b64 s[28:29], s[6:7], 5
	s_lshl_b64 s[30:31], s[0:1], 5
	s_waitcnt lgkmcnt(0)
	v_cmp_lt_i64_e64 s2, s[12:13], 1
	s_and_b32 vcc_lo, exec_lo, s2
	s_cbranch_vccnz .LBB102_3
; %bb.1:
	v_lshl_add_u32 v7, v1, 4, v0
	v_and_b32_e32 v8, 7, v0
	s_mul_i32 s1, s21, s8
	s_mul_hi_u32 s2, s20, s8
	s_mul_hi_u32 s3, s26, s8
	v_lshrrev_b32_e32 v9, 3, v7
	v_and_b32_e32 v10, 31, v7
	v_lshlrev_b32_e32 v13, 3, v8
	v_lshrrev_b32_e32 v18, 5, v7
	s_add_i32 s1, s2, s1
	v_add_co_u32 v2, s0, v9, s30
	v_add_co_ci_u32_e64 v3, null, 0, s31, s0
	v_add_co_u32 v4, s0, s28, v10
	v_add_co_ci_u32_e64 v5, null, s29, 0, s0
	v_mad_u64_u32 v[2:3], null, s24, v8, v[2:3]
	v_mul_lo_u32 v11, s19, v4
	v_mul_lo_u32 v12, s18, v5
	v_mad_u64_u32 v[4:5], null, s18, v4, 0
	s_mul_i32 s0, s20, s8
	s_mul_i32 s2, s27, s8
	s_lshl_b64 s[0:1], s[0:1], 3
	s_add_i32 s3, s3, s2
	s_mul_i32 s2, s26, s8
	v_lshlrev_b32_e32 v10, 3, v10
	v_mad_u64_u32 v[7:8], null, s25, v8, v[3:4]
	v_add3_u32 v5, v5, v12, v11
	v_lshl_or_b32 v3, v9, 6, v13
	v_mov_b32_e32 v6, 0
	v_lshlrev_b32_e32 v14, 3, v0
	v_lshl_add_u32 v15, v1, 6, 0x800
	v_lshlrev_b64 v[4:5], 3, v[4:5]
	v_add_nc_u32_e32 v17, 0x800, v3
	v_mov_b32_e32 v3, v7
	v_lshlrev_b32_e32 v7, 3, v18
	v_lshl_or_b32 v16, v18, 8, v10
	v_mov_b32_e32 v9, 0
	v_add_co_u32 v4, vcc_lo, v4, s0
	v_lshlrev_b64 v[2:3], 3, v[2:3]
	v_add_co_ci_u32_e64 v5, null, s1, v5, vcc_lo
	s_lshl_b64 s[0:1], s[2:3], 3
	v_add_co_u32 v4, vcc_lo, v4, v7
	s_add_u32 s0, s22, s0
	v_add_co_ci_u32_e64 v5, null, 0, v5, vcc_lo
	s_addc_u32 s1, s23, s1
	v_add_co_u32 v7, vcc_lo, s0, v2
	v_add_co_ci_u32_e64 v8, null, s1, v3, vcc_lo
	v_add_co_u32 v2, vcc_lo, s16, v4
	v_add_co_ci_u32_e64 v3, null, s17, v5, vcc_lo
	;; [unrolled: 2-line block ×3, first 2 shown]
	v_mov_b32_e32 v7, 0
	v_mov_b32_e32 v8, 0
	;; [unrolled: 1-line block ×6, first 2 shown]
	s_lshl_b64 s[0:1], s[24:25], 6
	s_mov_b64 s[2:3], 0
.LBB102_2:                              ; =>This Inner Loop Header: Depth=1
	global_load_dwordx2 v[18:19], v[2:3], off
	global_load_dwordx2 v[20:21], v[4:5], off offset:-4
	s_add_u32 s2, s2, 8
	s_addc_u32 s3, s3, 0
	v_add_co_u32 v2, vcc_lo, v2, 64
	v_cmp_lt_i64_e64 s6, s[2:3], s[12:13]
	v_add_co_ci_u32_e64 v3, null, 0, v3, vcc_lo
	v_add_co_u32 v4, vcc_lo, v4, s0
	v_add_co_ci_u32_e64 v5, null, s1, v5, vcc_lo
	s_and_b32 vcc_lo, exec_lo, s6
	s_waitcnt vmcnt(1)
	v_xor_b32_e32 v19, 0x80000000, v19
	s_waitcnt vmcnt(0)
	v_xor_b32_e32 v21, 0x80000000, v21
	ds_write_b64 v16, v[18:19]
	ds_write_b64 v17, v[20:21]
	s_waitcnt lgkmcnt(0)
	s_barrier
	buffer_gl0_inv
	ds_read_b128 v[18:21], v15
	ds_read2_b64 v[22:25], v14 offset1:16
	ds_read_b128 v[26:29], v15 offset:1024
	ds_read2_b64 v[30:33], v14 offset0:32 offset1:48
	ds_read_b128 v[34:37], v15 offset:16
	ds_read2_b64 v[38:41], v14 offset0:64 offset1:80
	;; [unrolled: 2-line block ×3, first 2 shown]
	ds_read2_b64 v[50:53], v14 offset0:128 offset1:144
	ds_read2_b64 v[54:57], v14 offset0:160 offset1:176
	ds_read_b128 v[58:61], v15 offset:32
	ds_read_b128 v[62:65], v15 offset:48
	ds_read2_b64 v[66:69], v14 offset0:192 offset1:208
	ds_read_b128 v[70:73], v15 offset:1056
	ds_read_b128 v[74:77], v15 offset:1072
	ds_read2_b64 v[78:81], v14 offset0:224 offset1:240
	s_waitcnt lgkmcnt(0)
	s_barrier
	buffer_gl0_inv
	v_mul_f32_e32 v82, v19, v23
	v_mul_f32_e32 v83, v18, v23
	v_mul_f32_e32 v84, v19, v25
	v_mul_f32_e32 v85, v18, v25
	v_mul_f32_e32 v86, v27, v23
	v_mul_f32_e32 v23, v26, v23
	v_mul_f32_e32 v87, v27, v25
	v_mul_f32_e32 v25, v26, v25
	v_mul_f32_e32 v88, v21, v31
	v_mul_f32_e32 v89, v20, v31
	v_mul_f32_e32 v90, v21, v33
	v_mul_f32_e32 v91, v20, v33
	v_fma_f32 v82, v18, v22, -v82
	v_fmac_f32_e32 v83, v19, v22
	v_fma_f32 v18, v18, v24, -v84
	v_fmac_f32_e32 v85, v19, v24
	;; [unrolled: 2-line block ×4, first 2 shown]
	v_mul_f32_e32 v24, v29, v31
	v_mul_f32_e32 v26, v28, v31
	;; [unrolled: 1-line block ×4, first 2 shown]
	v_fma_f32 v33, v20, v30, -v88
	v_fmac_f32_e32 v89, v21, v30
	v_fma_f32 v20, v20, v32, -v90
	v_fmac_f32_e32 v91, v21, v32
	v_mul_f32_e32 v21, v35, v39
	v_mul_f32_e32 v84, v34, v39
	v_mul_f32_e32 v86, v35, v41
	v_mul_f32_e32 v87, v34, v41
	v_fma_f32 v24, v28, v30, -v24
	v_fmac_f32_e32 v26, v29, v30
	v_fma_f32 v27, v28, v32, -v27
	v_fmac_f32_e32 v31, v29, v32
	v_mul_f32_e32 v28, v43, v39
	v_mul_f32_e32 v29, v42, v39
	v_mul_f32_e32 v30, v43, v41
	v_mul_f32_e32 v32, v42, v41
	v_add_f32_e32 v12, v12, v82
	v_add_f32_e32 v13, v13, v83
	v_add_f32_e32 v10, v10, v18
	v_add_f32_e32 v11, v11, v85
	v_add_f32_e32 v8, v8, v19
	v_add_f32_e32 v9, v9, v23
	v_add_f32_e32 v7, v7, v22
	v_add_f32_e32 v6, v6, v25
	v_mul_f32_e32 v39, v37, v47
	v_mul_f32_e32 v41, v36, v47
	v_mul_f32_e32 v88, v37, v49
	v_mul_f32_e32 v90, v36, v49
	v_fma_f32 v21, v34, v38, -v21
	v_fmac_f32_e32 v84, v35, v38
	v_fma_f32 v34, v34, v40, -v86
	v_fmac_f32_e32 v87, v35, v40
	v_fma_f32 v28, v42, v38, -v28
	v_fmac_f32_e32 v29, v43, v38
	v_fma_f32 v30, v42, v40, -v30
	v_fmac_f32_e32 v32, v43, v40
	v_mul_f32_e32 v35, v45, v47
	v_mul_f32_e32 v38, v44, v47
	v_mul_f32_e32 v40, v45, v49
	v_mul_f32_e32 v42, v44, v49
	v_add_f32_e32 v12, v12, v33
	v_add_f32_e32 v13, v13, v89
	v_add_f32_e32 v10, v10, v20
	v_add_f32_e32 v11, v11, v91
	v_add_f32_e32 v8, v8, v24
	v_add_f32_e32 v9, v9, v26
	v_add_f32_e32 v7, v7, v27
	v_add_f32_e32 v6, v6, v31
	v_fma_f32 v39, v36, v46, -v39
	v_fmac_f32_e32 v41, v37, v46
	v_fma_f32 v36, v36, v48, -v88
	v_fmac_f32_e32 v90, v37, v48
	v_mul_f32_e32 v37, v59, v51
	v_mul_f32_e32 v43, v58, v51
	v_mul_f32_e32 v47, v59, v53
	v_mul_f32_e32 v49, v58, v53
	v_fma_f32 v35, v44, v46, -v35
	v_fmac_f32_e32 v38, v45, v46
	v_fma_f32 v40, v44, v48, -v40
	v_fmac_f32_e32 v42, v45, v48
	v_mul_f32_e32 v44, v71, v51
	v_mul_f32_e32 v45, v70, v51
	v_mul_f32_e32 v46, v71, v53
	v_mul_f32_e32 v48, v70, v53
	v_add_f32_e32 v12, v12, v21
	v_add_f32_e32 v13, v13, v84
	v_add_f32_e32 v10, v10, v34
	v_add_f32_e32 v11, v11, v87
	v_add_f32_e32 v8, v8, v28
	v_add_f32_e32 v9, v9, v29
	v_add_f32_e32 v7, v7, v30
	v_add_f32_e32 v6, v6, v32
	v_mul_f32_e32 v51, v61, v55
	v_mul_f32_e32 v53, v60, v55
	v_mul_f32_e32 v86, v61, v57
	v_mul_f32_e32 v88, v60, v57
	v_fma_f32 v37, v58, v50, -v37
	v_fmac_f32_e32 v43, v59, v50
	v_fma_f32 v47, v58, v52, -v47
	v_fmac_f32_e32 v49, v59, v52
	v_fma_f32 v44, v70, v50, -v44
	v_fmac_f32_e32 v45, v71, v50
	v_fma_f32 v46, v70, v52, -v46
	v_fmac_f32_e32 v48, v71, v52
	v_mul_f32_e32 v50, v73, v55
	v_mul_f32_e32 v52, v72, v55
	v_mul_f32_e32 v55, v73, v57
	v_mul_f32_e32 v57, v72, v57
	v_add_f32_e32 v12, v12, v39
	v_add_f32_e32 v13, v13, v41
	v_add_f32_e32 v10, v10, v36
	v_add_f32_e32 v11, v11, v90
	v_add_f32_e32 v8, v8, v35
	v_add_f32_e32 v9, v9, v38
	v_add_f32_e32 v7, v7, v40
	v_add_f32_e32 v6, v6, v42
	;; [unrolled: 48-line block ×3, first 2 shown]
	v_fma_f32 v71, v64, v78, -v71
	v_fmac_f32_e32 v72, v65, v78
	v_fma_f32 v64, v64, v80, -v73
	v_fmac_f32_e32 v86, v65, v80
	;; [unrolled: 2-line block ×4, first 2 shown]
	v_add_f32_e32 v12, v12, v59
	v_add_f32_e32 v13, v13, v60
	;; [unrolled: 1-line block ×16, first 2 shown]
	s_cbranch_vccnz .LBB102_2
.LBB102_3:
	s_clause 0x1
	s_load_dwordx4 s[16:19], s[4:5], 0x78
	s_load_dwordx8 s[0:7], s[4:5], 0x58
	s_waitcnt lgkmcnt(0)
	s_mul_i32 s9, s19, s8
	s_mul_hi_u32 s13, s18, s8
	s_mul_i32 s12, s18, s8
	s_add_i32 s13, s13, s9
	s_lshl_b64 s[12:13], s[12:13], 3
	s_add_u32 s6, s6, s12
	v_add_co_u32 v4, s12, s30, v1
	v_add_co_ci_u32_e64 v5, null, s31, 0, s12
	v_add_co_u32 v0, s12, s28, v0
	s_addc_u32 s7, s7, s13
	s_or_b32 s9, s10, s11
	v_add_co_ci_u32_e64 v1, null, s29, 0, s12
	s_bitset0_b32 s9, 31
	s_cmp_lg_u32 s9, 0
	s_mov_b32 s9, 0
	s_cbranch_scc1 .LBB102_5
; %bb.4:
	v_mul_lo_u32 v14, v5, s16
	v_mul_lo_u32 v15, v4, s17
	v_mad_u64_u32 v[2:3], null, v4, s16, 0
	v_lshlrev_b64 v[17:18], 3, v[0:1]
	s_lshl_b64 s[12:13], s[16:17], 7
	v_mul_f32_e32 v19, s15, v13
	v_mul_f32_e32 v16, s14, v13
	;; [unrolled: 1-line block ×4, first 2 shown]
	v_add3_u32 v3, v3, v15, v14
	v_mul_f32_e32 v14, s15, v11
	v_fma_f32 v15, v12, s14, -v19
	v_mul_f32_e32 v24, s14, v9
	v_mul_f32_e32 v25, s15, v6
	v_lshlrev_b64 v[2:3], 3, v[2:3]
	v_fma_f32 v19, v10, s14, -v14
	v_mul_f32_e32 v14, s14, v6
	v_fmac_f32_e32 v16, s15, v12
	v_fmac_f32_e32 v20, s15, v10
	v_fma_f32 v23, v8, s14, -v23
	v_add_co_u32 v2, vcc_lo, s6, v2
	v_add_co_ci_u32_e64 v3, null, s7, v3, vcc_lo
	v_fmac_f32_e32 v14, s15, v7
	v_add_co_u32 v21, vcc_lo, v2, v17
	v_add_co_ci_u32_e64 v22, null, v3, v18, vcc_lo
	v_add_co_u32 v2, vcc_lo, v2, s12
	v_add_co_ci_u32_e64 v3, null, s13, v3, vcc_lo
	v_fmac_f32_e32 v24, s15, v8
	v_add_co_u32 v17, vcc_lo, v2, v17
	v_add_co_ci_u32_e64 v18, null, v3, v18, vcc_lo
	v_fma_f32 v25, v7, s14, -v25
	v_add_co_u32 v2, vcc_lo, 0x80, v17
	v_add_co_ci_u32_e64 v3, null, 0, v18, vcc_lo
	global_store_dwordx2 v[21:22], v[15:16], off
	global_store_dwordx2 v[21:22], v[19:20], off offset:128
	global_store_dwordx2 v[17:18], v[23:24], off
	global_store_dword v[17:18], v25, off offset:128
	s_andn2_b32 vcc_lo, exec_lo, s9
	s_cbranch_vccz .LBB102_6
	s_branch .LBB102_7
.LBB102_5:
                                        ; implicit-def: $vgpr14
                                        ; implicit-def: $vgpr2_vgpr3
.LBB102_6:
	v_mul_lo_u32 v14, v5, s2
	v_mul_lo_u32 v15, v4, s3
	v_mad_u64_u32 v[2:3], null, v4, s2, 0
	s_mul_i32 s5, s5, s8
	s_mul_hi_u32 s9, s4, s8
	s_mul_i32 s4, s4, s8
	s_add_i32 s5, s9, s5
	v_lshlrev_b64 v[0:1], 3, v[0:1]
	s_lshl_b64 s[4:5], s[4:5], 3
	v_add3_u32 v3, v3, v15, v14
	s_add_u32 s0, s0, s4
	s_addc_u32 s1, s1, s5
	v_mul_lo_u32 v18, v5, s16
	v_mul_lo_u32 v19, v4, s17
	v_lshlrev_b64 v[2:3], 3, v[2:3]
	v_mad_u64_u32 v[4:5], null, v4, s16, 0
	v_add_co_u32 v16, vcc_lo, s0, v2
	v_add_co_ci_u32_e64 v17, null, s1, v3, vcc_lo
	v_add3_u32 v5, v5, v19, v18
	v_add_co_u32 v2, vcc_lo, v16, v0
	v_add_co_ci_u32_e64 v3, null, v17, v1, vcc_lo
	v_mul_f32_e32 v18, s15, v13
	v_mul_f32_e32 v13, s14, v13
	v_lshlrev_b64 v[4:5], 3, v[4:5]
	global_load_dwordx2 v[14:15], v[2:3], off
	s_lshl_b64 s[0:1], s[2:3], 7
	v_fma_f32 v18, v12, s14, -v18
	v_fmac_f32_e32 v13, s15, v12
	v_add_co_u32 v19, vcc_lo, s6, v4
	v_add_co_ci_u32_e64 v20, null, s7, v5, vcc_lo
	v_add_co_u32 v4, vcc_lo, v19, v0
	v_add_co_ci_u32_e64 v5, null, v20, v1, vcc_lo
	s_waitcnt vmcnt(0)
	v_mul_f32_e32 v12, s11, v15
	v_mul_f32_e32 v15, s10, v15
	v_fma_f32 v12, v14, s10, -v12
	v_fmac_f32_e32 v15, s11, v14
	v_add_f32_e32 v12, v18, v12
	v_add_f32_e32 v13, v13, v15
	global_store_dwordx2 v[4:5], v[12:13], off
	global_load_dwordx2 v[2:3], v[2:3], off offset:128
	v_mul_f32_e32 v12, s15, v11
	v_mul_f32_e32 v11, s14, v11
	v_fma_f32 v12, v10, s14, -v12
	v_fmac_f32_e32 v11, s15, v10
	s_waitcnt vmcnt(0)
	v_mul_f32_e32 v13, s11, v3
	v_mul_f32_e32 v3, s10, v3
	v_fma_f32 v10, v2, s10, -v13
	v_add_co_u32 v13, vcc_lo, v16, s0
	v_fmac_f32_e32 v3, s11, v2
	v_add_co_ci_u32_e64 v14, null, s1, v17, vcc_lo
	v_add_f32_e32 v2, v12, v10
	v_add_co_u32 v10, vcc_lo, v13, v0
	v_add_f32_e32 v3, v11, v3
	v_add_co_ci_u32_e64 v11, null, v14, v1, vcc_lo
	s_lshl_b64 s[0:1], s[16:17], 7
	global_store_dwordx2 v[4:5], v[2:3], off offset:128
	global_load_dwordx2 v[2:3], v[10:11], off
	v_mul_f32_e32 v4, s15, v9
	v_mul_f32_e32 v5, s14, v9
	v_add_co_u32 v9, vcc_lo, v19, s0
	v_add_co_ci_u32_e64 v12, null, s1, v20, vcc_lo
	v_fma_f32 v4, v8, s14, -v4
	v_fmac_f32_e32 v5, s15, v8
	v_add_co_u32 v0, vcc_lo, v9, v0
	v_add_co_ci_u32_e64 v1, null, v12, v1, vcc_lo
	s_waitcnt vmcnt(0)
	v_mul_f32_e32 v8, s11, v3
	v_mul_f32_e32 v3, s10, v3
	v_fma_f32 v8, v2, s10, -v8
	v_fmac_f32_e32 v3, s11, v2
	v_add_f32_e32 v2, v4, v8
	v_add_f32_e32 v3, v5, v3
	v_mul_f32_e32 v4, s15, v6
	v_mul_f32_e32 v5, s14, v6
	global_store_dwordx2 v[0:1], v[2:3], off
	global_load_dwordx2 v[2:3], v[10:11], off offset:128
	v_fma_f32 v4, v7, s14, -v4
	v_fmac_f32_e32 v5, s15, v7
	s_waitcnt vmcnt(0)
	v_mul_f32_e32 v6, s11, v3
	v_mul_f32_e32 v3, s10, v3
	v_fma_f32 v6, v2, s10, -v6
	v_fmac_f32_e32 v3, s11, v2
	v_add_co_u32 v2, vcc_lo, 0x80, v0
	v_add_f32_e32 v4, v4, v6
	v_add_f32_e32 v14, v5, v3
	v_add_co_ci_u32_e64 v3, null, 0, v1, vcc_lo
	global_store_dword v[0:1], v4, off offset:128
.LBB102_7:
	global_store_dword v[2:3], v14, off offset:4
	s_endpgm
	.section	.rodata,"a",@progbits
	.p2align	6, 0x0
	.amdhsa_kernel _ZN12_GLOBAL__N_127rocblas_gemm_batched_kernelI19rocblas_complex_numIfELi16ELi16ELi32ELi32ELi8ELi32ELi8ELi8ELi32ELc67ELc67EKS2_S3_S2_EEvlllT_PT11_llS6_llS4_PT12_llPT13_lli
		.amdhsa_group_segment_fixed_size 4096
		.amdhsa_private_segment_fixed_size 0
		.amdhsa_kernarg_size 140
		.amdhsa_user_sgpr_count 6
		.amdhsa_user_sgpr_private_segment_buffer 1
		.amdhsa_user_sgpr_dispatch_ptr 0
		.amdhsa_user_sgpr_queue_ptr 0
		.amdhsa_user_sgpr_kernarg_segment_ptr 1
		.amdhsa_user_sgpr_dispatch_id 0
		.amdhsa_user_sgpr_flat_scratch_init 0
		.amdhsa_user_sgpr_private_segment_size 0
		.amdhsa_wavefront_size32 1
		.amdhsa_uses_dynamic_stack 0
		.amdhsa_system_sgpr_private_segment_wavefront_offset 0
		.amdhsa_system_sgpr_workgroup_id_x 1
		.amdhsa_system_sgpr_workgroup_id_y 1
		.amdhsa_system_sgpr_workgroup_id_z 1
		.amdhsa_system_sgpr_workgroup_info 0
		.amdhsa_system_vgpr_workitem_id 1
		.amdhsa_next_free_vgpr 92
		.amdhsa_next_free_sgpr 32
		.amdhsa_reserve_vcc 1
		.amdhsa_reserve_flat_scratch 0
		.amdhsa_float_round_mode_32 0
		.amdhsa_float_round_mode_16_64 0
		.amdhsa_float_denorm_mode_32 3
		.amdhsa_float_denorm_mode_16_64 3
		.amdhsa_dx10_clamp 1
		.amdhsa_ieee_mode 1
		.amdhsa_fp16_overflow 0
		.amdhsa_workgroup_processor_mode 1
		.amdhsa_memory_ordered 1
		.amdhsa_forward_progress 1
		.amdhsa_shared_vgpr_count 0
		.amdhsa_exception_fp_ieee_invalid_op 0
		.amdhsa_exception_fp_denorm_src 0
		.amdhsa_exception_fp_ieee_div_zero 0
		.amdhsa_exception_fp_ieee_overflow 0
		.amdhsa_exception_fp_ieee_underflow 0
		.amdhsa_exception_fp_ieee_inexact 0
		.amdhsa_exception_int_div_zero 0
	.end_amdhsa_kernel
	.section	.text._ZN12_GLOBAL__N_127rocblas_gemm_batched_kernelI19rocblas_complex_numIfELi16ELi16ELi32ELi32ELi8ELi32ELi8ELi8ELi32ELc67ELc67EKS2_S3_S2_EEvlllT_PT11_llS6_llS4_PT12_llPT13_lli,"axG",@progbits,_ZN12_GLOBAL__N_127rocblas_gemm_batched_kernelI19rocblas_complex_numIfELi16ELi16ELi32ELi32ELi8ELi32ELi8ELi8ELi32ELc67ELc67EKS2_S3_S2_EEvlllT_PT11_llS6_llS4_PT12_llPT13_lli,comdat
.Lfunc_end102:
	.size	_ZN12_GLOBAL__N_127rocblas_gemm_batched_kernelI19rocblas_complex_numIfELi16ELi16ELi32ELi32ELi8ELi32ELi8ELi8ELi32ELc67ELc67EKS2_S3_S2_EEvlllT_PT11_llS6_llS4_PT12_llPT13_lli, .Lfunc_end102-_ZN12_GLOBAL__N_127rocblas_gemm_batched_kernelI19rocblas_complex_numIfELi16ELi16ELi32ELi32ELi8ELi32ELi8ELi8ELi32ELc67ELc67EKS2_S3_S2_EEvlllT_PT11_llS6_llS4_PT12_llPT13_lli
                                        ; -- End function
	.set _ZN12_GLOBAL__N_127rocblas_gemm_batched_kernelI19rocblas_complex_numIfELi16ELi16ELi32ELi32ELi8ELi32ELi8ELi8ELi32ELc67ELc67EKS2_S3_S2_EEvlllT_PT11_llS6_llS4_PT12_llPT13_lli.num_vgpr, 92
	.set _ZN12_GLOBAL__N_127rocblas_gemm_batched_kernelI19rocblas_complex_numIfELi16ELi16ELi32ELi32ELi8ELi32ELi8ELi8ELi32ELc67ELc67EKS2_S3_S2_EEvlllT_PT11_llS6_llS4_PT12_llPT13_lli.num_agpr, 0
	.set _ZN12_GLOBAL__N_127rocblas_gemm_batched_kernelI19rocblas_complex_numIfELi16ELi16ELi32ELi32ELi8ELi32ELi8ELi8ELi32ELc67ELc67EKS2_S3_S2_EEvlllT_PT11_llS6_llS4_PT12_llPT13_lli.numbered_sgpr, 32
	.set _ZN12_GLOBAL__N_127rocblas_gemm_batched_kernelI19rocblas_complex_numIfELi16ELi16ELi32ELi32ELi8ELi32ELi8ELi8ELi32ELc67ELc67EKS2_S3_S2_EEvlllT_PT11_llS6_llS4_PT12_llPT13_lli.num_named_barrier, 0
	.set _ZN12_GLOBAL__N_127rocblas_gemm_batched_kernelI19rocblas_complex_numIfELi16ELi16ELi32ELi32ELi8ELi32ELi8ELi8ELi32ELc67ELc67EKS2_S3_S2_EEvlllT_PT11_llS6_llS4_PT12_llPT13_lli.private_seg_size, 0
	.set _ZN12_GLOBAL__N_127rocblas_gemm_batched_kernelI19rocblas_complex_numIfELi16ELi16ELi32ELi32ELi8ELi32ELi8ELi8ELi32ELc67ELc67EKS2_S3_S2_EEvlllT_PT11_llS6_llS4_PT12_llPT13_lli.uses_vcc, 1
	.set _ZN12_GLOBAL__N_127rocblas_gemm_batched_kernelI19rocblas_complex_numIfELi16ELi16ELi32ELi32ELi8ELi32ELi8ELi8ELi32ELc67ELc67EKS2_S3_S2_EEvlllT_PT11_llS6_llS4_PT12_llPT13_lli.uses_flat_scratch, 0
	.set _ZN12_GLOBAL__N_127rocblas_gemm_batched_kernelI19rocblas_complex_numIfELi16ELi16ELi32ELi32ELi8ELi32ELi8ELi8ELi32ELc67ELc67EKS2_S3_S2_EEvlllT_PT11_llS6_llS4_PT12_llPT13_lli.has_dyn_sized_stack, 0
	.set _ZN12_GLOBAL__N_127rocblas_gemm_batched_kernelI19rocblas_complex_numIfELi16ELi16ELi32ELi32ELi8ELi32ELi8ELi8ELi32ELc67ELc67EKS2_S3_S2_EEvlllT_PT11_llS6_llS4_PT12_llPT13_lli.has_recursion, 0
	.set _ZN12_GLOBAL__N_127rocblas_gemm_batched_kernelI19rocblas_complex_numIfELi16ELi16ELi32ELi32ELi8ELi32ELi8ELi8ELi32ELc67ELc67EKS2_S3_S2_EEvlllT_PT11_llS6_llS4_PT12_llPT13_lli.has_indirect_call, 0
	.section	.AMDGPU.csdata,"",@progbits
; Kernel info:
; codeLenInByte = 2524
; TotalNumSgprs: 34
; NumVgprs: 92
; ScratchSize: 0
; MemoryBound: 0
; FloatMode: 240
; IeeeMode: 1
; LDSByteSize: 4096 bytes/workgroup (compile time only)
; SGPRBlocks: 0
; VGPRBlocks: 11
; NumSGPRsForWavesPerEU: 34
; NumVGPRsForWavesPerEU: 92
; Occupancy: 10
; WaveLimiterHint : 1
; COMPUTE_PGM_RSRC2:SCRATCH_EN: 0
; COMPUTE_PGM_RSRC2:USER_SGPR: 6
; COMPUTE_PGM_RSRC2:TRAP_HANDLER: 0
; COMPUTE_PGM_RSRC2:TGID_X_EN: 1
; COMPUTE_PGM_RSRC2:TGID_Y_EN: 1
; COMPUTE_PGM_RSRC2:TGID_Z_EN: 1
; COMPUTE_PGM_RSRC2:TIDIG_COMP_CNT: 1
	.section	.text._ZN12_GLOBAL__N_127rocblas_gemm_batched_kernelI19rocblas_complex_numIfELi16ELi16ELi32ELi32ELi8ELi32ELi8ELi8ELi32ELc67ELc78EKS2_S3_S2_EEvlllT_PT11_llS6_llS4_PT12_llPT13_lli,"axG",@progbits,_ZN12_GLOBAL__N_127rocblas_gemm_batched_kernelI19rocblas_complex_numIfELi16ELi16ELi32ELi32ELi8ELi32ELi8ELi8ELi32ELc67ELc78EKS2_S3_S2_EEvlllT_PT11_llS6_llS4_PT12_llPT13_lli,comdat
	.globl	_ZN12_GLOBAL__N_127rocblas_gemm_batched_kernelI19rocblas_complex_numIfELi16ELi16ELi32ELi32ELi8ELi32ELi8ELi8ELi32ELc67ELc78EKS2_S3_S2_EEvlllT_PT11_llS6_llS4_PT12_llPT13_lli ; -- Begin function _ZN12_GLOBAL__N_127rocblas_gemm_batched_kernelI19rocblas_complex_numIfELi16ELi16ELi32ELi32ELi8ELi32ELi8ELi8ELi32ELc67ELc78EKS2_S3_S2_EEvlllT_PT11_llS6_llS4_PT12_llPT13_lli
	.p2align	8
	.type	_ZN12_GLOBAL__N_127rocblas_gemm_batched_kernelI19rocblas_complex_numIfELi16ELi16ELi32ELi32ELi8ELi32ELi8ELi8ELi32ELc67ELc78EKS2_S3_S2_EEvlllT_PT11_llS6_llS4_PT12_llPT13_lli,@function
_ZN12_GLOBAL__N_127rocblas_gemm_batched_kernelI19rocblas_complex_numIfELi16ELi16ELi32ELi32ELi8ELi32ELi8ELi8ELi32ELc67ELc78EKS2_S3_S2_EEvlllT_PT11_llS6_llS4_PT12_llPT13_lli: ; @_ZN12_GLOBAL__N_127rocblas_gemm_batched_kernelI19rocblas_complex_numIfELi16ELi16ELi32ELi32ELi8ELi32ELi8ELi8ELi32ELc67ELc78EKS2_S3_S2_EEvlllT_PT11_llS6_llS4_PT12_llPT13_lli
; %bb.0:
	s_clause 0x1
	s_load_dwordx16 s[12:27], s[4:5], 0x10
	s_load_dwordx2 s[10:11], s[4:5], 0x50
	s_mov_b32 s0, s7
	v_mov_b32_e32 v12, 0
	v_mov_b32_e32 v13, 0
	;; [unrolled: 1-line block ×8, first 2 shown]
	s_ashr_i32 s7, s6, 31
	s_ashr_i32 s1, s0, 31
	s_lshl_b64 s[28:29], s[6:7], 5
	s_lshl_b64 s[30:31], s[0:1], 5
	s_waitcnt lgkmcnt(0)
	v_cmp_lt_i64_e64 s2, s[12:13], 1
	s_and_b32 vcc_lo, exec_lo, s2
	s_cbranch_vccnz .LBB103_3
; %bb.1:
	v_lshl_add_u32 v2, v1, 4, v0
	v_and_b32_e32 v3, 7, v0
	s_mul_hi_u32 s1, s20, s8
	v_mov_b32_e32 v6, 0
	v_lshlrev_b32_e32 v16, 3, v0
	v_and_b32_e32 v4, 31, v2
	v_lshlrev_b32_e32 v7, 3, v3
	v_lshrrev_b32_e32 v5, 3, v2
	v_lshrrev_b32_e32 v9, 5, v2
	v_lshl_add_u32 v17, v1, 6, 0x800
	v_add_co_u32 v3, s0, s28, v4
	v_add_co_ci_u32_e64 v8, null, s29, 0, s0
	v_lshl_or_b32 v10, v5, 6, v7
	v_mul_lo_u32 v11, s19, v3
	v_mad_u64_u32 v[2:3], null, s18, v3, 0
	v_mul_lo_u32 v8, s18, v8
	v_add_co_u32 v5, s0, v5, s30
	v_lshlrev_b32_e32 v4, 3, v4
	v_add_co_ci_u32_e64 v12, null, 0, s31, s0
	v_add_nc_u32_e32 v15, 0x800, v10
	s_mul_i32 s0, s21, s8
	v_lshl_or_b32 v14, v9, 8, v4
	v_add3_u32 v3, v3, v8, v11
	v_mul_lo_u32 v8, s25, v5
	v_mul_lo_u32 v10, s24, v12
	v_mad_u64_u32 v[4:5], null, s24, v5, 0
	v_lshlrev_b64 v[2:3], 3, v[2:3]
	s_add_i32 s1, s1, s0
	s_mul_i32 s0, s20, s8
	v_lshlrev_b32_e32 v9, 3, v9
	s_lshl_b64 s[0:1], s[0:1], 3
	v_mov_b32_e32 v11, 0
	v_add3_u32 v5, v5, v10, v8
	v_add_co_u32 v8, vcc_lo, v2, s0
	v_add_co_ci_u32_e64 v10, null, s1, v3, vcc_lo
	s_mul_i32 s0, s27, s8
	s_mul_hi_u32 s1, s26, s8
	v_lshlrev_b64 v[2:3], 3, v[4:5]
	s_add_i32 s1, s1, s0
	s_mul_i32 s0, s26, s8
	v_add_co_u32 v4, vcc_lo, v8, v9
	s_lshl_b64 s[0:1], s[0:1], 3
	v_add_co_ci_u32_e64 v5, null, 0, v10, vcc_lo
	v_add_co_u32 v2, vcc_lo, v2, s0
	v_add_co_ci_u32_e64 v3, null, s1, v3, vcc_lo
	v_add_co_u32 v4, vcc_lo, s16, v4
	v_add_co_ci_u32_e64 v5, null, s17, v5, vcc_lo
	v_add_co_u32 v7, vcc_lo, v2, v7
	v_add_co_ci_u32_e64 v8, null, 0, v3, vcc_lo
	v_add_co_u32 v2, vcc_lo, v4, 4
	v_add_co_ci_u32_e64 v3, null, 0, v5, vcc_lo
	v_add_co_u32 v4, vcc_lo, s22, v7
	v_add_co_ci_u32_e64 v5, null, s23, v8, vcc_lo
	v_mov_b32_e32 v7, 0
	v_mov_b32_e32 v9, 0
	;; [unrolled: 1-line block ×6, first 2 shown]
	s_mov_b64 s[0:1], 0
.LBB103_2:                              ; =>This Inner Loop Header: Depth=1
	global_load_dwordx2 v[18:19], v[2:3], off offset:-4
	global_load_dwordx2 v[20:21], v[4:5], off
	s_add_u32 s0, s0, 8
	s_addc_u32 s1, s1, 0
	v_add_co_u32 v2, vcc_lo, v2, 64
	v_cmp_lt_i64_e64 s2, s[0:1], s[12:13]
	v_add_co_ci_u32_e64 v3, null, 0, v3, vcc_lo
	v_add_co_u32 v4, vcc_lo, v4, 64
	v_add_co_ci_u32_e64 v5, null, 0, v5, vcc_lo
	s_and_b32 vcc_lo, exec_lo, s2
	s_waitcnt vmcnt(1)
	v_xor_b32_e32 v19, 0x80000000, v19
	s_waitcnt vmcnt(0)
	ds_write_b64 v15, v[20:21]
	ds_write_b64 v14, v[18:19]
	s_waitcnt lgkmcnt(0)
	s_barrier
	buffer_gl0_inv
	ds_read_b128 v[18:21], v17
	ds_read2_b64 v[22:25], v16 offset1:16
	ds_read_b128 v[26:29], v17 offset:1024
	ds_read2_b64 v[30:33], v16 offset0:32 offset1:48
	ds_read_b128 v[34:37], v17 offset:16
	ds_read2_b64 v[38:41], v16 offset0:64 offset1:80
	;; [unrolled: 2-line block ×3, first 2 shown]
	ds_read2_b64 v[50:53], v16 offset0:128 offset1:144
	ds_read2_b64 v[54:57], v16 offset0:160 offset1:176
	ds_read_b128 v[58:61], v17 offset:32
	ds_read_b128 v[62:65], v17 offset:48
	ds_read2_b64 v[66:69], v16 offset0:192 offset1:208
	ds_read_b128 v[70:73], v17 offset:1056
	ds_read_b128 v[74:77], v17 offset:1072
	ds_read2_b64 v[78:81], v16 offset0:224 offset1:240
	s_waitcnt lgkmcnt(0)
	s_barrier
	buffer_gl0_inv
	v_mul_f32_e32 v82, v19, v23
	v_mul_f32_e32 v83, v18, v23
	;; [unrolled: 1-line block ×12, first 2 shown]
	v_fma_f32 v82, v18, v22, -v82
	v_fmac_f32_e32 v83, v19, v22
	v_fma_f32 v18, v18, v24, -v84
	v_fmac_f32_e32 v85, v19, v24
	;; [unrolled: 2-line block ×4, first 2 shown]
	v_mul_f32_e32 v24, v29, v31
	v_mul_f32_e32 v26, v28, v31
	;; [unrolled: 1-line block ×4, first 2 shown]
	v_fma_f32 v33, v20, v30, -v88
	v_fmac_f32_e32 v89, v21, v30
	v_fma_f32 v20, v20, v32, -v90
	v_fmac_f32_e32 v91, v21, v32
	v_mul_f32_e32 v21, v35, v39
	v_mul_f32_e32 v84, v34, v39
	v_mul_f32_e32 v86, v35, v41
	v_mul_f32_e32 v87, v34, v41
	v_fma_f32 v24, v28, v30, -v24
	v_fmac_f32_e32 v26, v29, v30
	v_fma_f32 v27, v28, v32, -v27
	v_fmac_f32_e32 v31, v29, v32
	v_mul_f32_e32 v28, v43, v39
	v_mul_f32_e32 v29, v42, v39
	v_mul_f32_e32 v30, v43, v41
	v_mul_f32_e32 v32, v42, v41
	v_add_f32_e32 v12, v12, v82
	v_add_f32_e32 v13, v13, v83
	v_add_f32_e32 v10, v10, v18
	v_add_f32_e32 v11, v11, v85
	v_add_f32_e32 v8, v8, v19
	v_add_f32_e32 v9, v9, v23
	v_add_f32_e32 v7, v7, v22
	v_add_f32_e32 v6, v6, v25
	v_mul_f32_e32 v39, v37, v47
	v_mul_f32_e32 v41, v36, v47
	v_mul_f32_e32 v88, v37, v49
	v_mul_f32_e32 v90, v36, v49
	v_fma_f32 v21, v34, v38, -v21
	v_fmac_f32_e32 v84, v35, v38
	v_fma_f32 v34, v34, v40, -v86
	v_fmac_f32_e32 v87, v35, v40
	v_fma_f32 v28, v42, v38, -v28
	v_fmac_f32_e32 v29, v43, v38
	v_fma_f32 v30, v42, v40, -v30
	v_fmac_f32_e32 v32, v43, v40
	v_mul_f32_e32 v35, v45, v47
	v_mul_f32_e32 v38, v44, v47
	v_mul_f32_e32 v40, v45, v49
	v_mul_f32_e32 v42, v44, v49
	v_add_f32_e32 v12, v12, v33
	v_add_f32_e32 v13, v13, v89
	v_add_f32_e32 v10, v10, v20
	v_add_f32_e32 v11, v11, v91
	v_add_f32_e32 v8, v8, v24
	v_add_f32_e32 v9, v9, v26
	v_add_f32_e32 v7, v7, v27
	v_add_f32_e32 v6, v6, v31
	v_fma_f32 v39, v36, v46, -v39
	v_fmac_f32_e32 v41, v37, v46
	v_fma_f32 v36, v36, v48, -v88
	v_fmac_f32_e32 v90, v37, v48
	v_mul_f32_e32 v37, v59, v51
	v_mul_f32_e32 v43, v58, v51
	v_mul_f32_e32 v47, v59, v53
	v_mul_f32_e32 v49, v58, v53
	v_fma_f32 v35, v44, v46, -v35
	v_fmac_f32_e32 v38, v45, v46
	v_fma_f32 v40, v44, v48, -v40
	v_fmac_f32_e32 v42, v45, v48
	v_mul_f32_e32 v44, v71, v51
	v_mul_f32_e32 v45, v70, v51
	v_mul_f32_e32 v46, v71, v53
	v_mul_f32_e32 v48, v70, v53
	v_add_f32_e32 v12, v12, v21
	v_add_f32_e32 v13, v13, v84
	v_add_f32_e32 v10, v10, v34
	v_add_f32_e32 v11, v11, v87
	v_add_f32_e32 v8, v8, v28
	v_add_f32_e32 v9, v9, v29
	v_add_f32_e32 v7, v7, v30
	v_add_f32_e32 v6, v6, v32
	v_mul_f32_e32 v51, v61, v55
	v_mul_f32_e32 v53, v60, v55
	v_mul_f32_e32 v86, v61, v57
	v_mul_f32_e32 v88, v60, v57
	v_fma_f32 v37, v58, v50, -v37
	v_fmac_f32_e32 v43, v59, v50
	v_fma_f32 v47, v58, v52, -v47
	v_fmac_f32_e32 v49, v59, v52
	v_fma_f32 v44, v70, v50, -v44
	v_fmac_f32_e32 v45, v71, v50
	v_fma_f32 v46, v70, v52, -v46
	v_fmac_f32_e32 v48, v71, v52
	v_mul_f32_e32 v50, v73, v55
	v_mul_f32_e32 v52, v72, v55
	v_mul_f32_e32 v55, v73, v57
	v_mul_f32_e32 v57, v72, v57
	v_add_f32_e32 v12, v12, v39
	v_add_f32_e32 v13, v13, v41
	v_add_f32_e32 v10, v10, v36
	v_add_f32_e32 v11, v11, v90
	v_add_f32_e32 v8, v8, v35
	v_add_f32_e32 v9, v9, v38
	v_add_f32_e32 v7, v7, v40
	v_add_f32_e32 v6, v6, v42
	;; [unrolled: 48-line block ×3, first 2 shown]
	v_fma_f32 v71, v64, v78, -v71
	v_fmac_f32_e32 v72, v65, v78
	v_fma_f32 v64, v64, v80, -v73
	v_fmac_f32_e32 v86, v65, v80
	;; [unrolled: 2-line block ×4, first 2 shown]
	v_add_f32_e32 v12, v12, v59
	v_add_f32_e32 v13, v13, v60
	;; [unrolled: 1-line block ×16, first 2 shown]
	s_cbranch_vccnz .LBB103_2
.LBB103_3:
	s_clause 0x1
	s_load_dwordx4 s[16:19], s[4:5], 0x78
	s_load_dwordx8 s[0:7], s[4:5], 0x58
	s_waitcnt lgkmcnt(0)
	s_mul_i32 s9, s19, s8
	s_mul_hi_u32 s13, s18, s8
	s_mul_i32 s12, s18, s8
	s_add_i32 s13, s13, s9
	s_lshl_b64 s[12:13], s[12:13], 3
	s_add_u32 s6, s6, s12
	v_add_co_u32 v4, s12, s30, v1
	v_add_co_ci_u32_e64 v5, null, s31, 0, s12
	v_add_co_u32 v0, s12, s28, v0
	s_addc_u32 s7, s7, s13
	s_or_b32 s9, s10, s11
	v_add_co_ci_u32_e64 v1, null, s29, 0, s12
	s_bitset0_b32 s9, 31
	s_cmp_lg_u32 s9, 0
	s_mov_b32 s9, 0
	s_cbranch_scc1 .LBB103_5
; %bb.4:
	v_mul_lo_u32 v14, v5, s16
	v_mul_lo_u32 v15, v4, s17
	v_mad_u64_u32 v[2:3], null, v4, s16, 0
	v_lshlrev_b64 v[17:18], 3, v[0:1]
	s_lshl_b64 s[12:13], s[16:17], 7
	v_mul_f32_e32 v19, s15, v13
	v_mul_f32_e32 v16, s14, v13
	;; [unrolled: 1-line block ×4, first 2 shown]
	v_add3_u32 v3, v3, v15, v14
	v_mul_f32_e32 v14, s15, v11
	v_fma_f32 v15, v12, s14, -v19
	v_mul_f32_e32 v24, s14, v9
	v_mul_f32_e32 v25, s15, v6
	v_lshlrev_b64 v[2:3], 3, v[2:3]
	v_fma_f32 v19, v10, s14, -v14
	v_mul_f32_e32 v14, s14, v6
	v_fmac_f32_e32 v16, s15, v12
	v_fmac_f32_e32 v20, s15, v10
	v_fma_f32 v23, v8, s14, -v23
	v_add_co_u32 v2, vcc_lo, s6, v2
	v_add_co_ci_u32_e64 v3, null, s7, v3, vcc_lo
	v_fmac_f32_e32 v14, s15, v7
	v_add_co_u32 v21, vcc_lo, v2, v17
	v_add_co_ci_u32_e64 v22, null, v3, v18, vcc_lo
	v_add_co_u32 v2, vcc_lo, v2, s12
	v_add_co_ci_u32_e64 v3, null, s13, v3, vcc_lo
	v_fmac_f32_e32 v24, s15, v8
	v_add_co_u32 v17, vcc_lo, v2, v17
	v_add_co_ci_u32_e64 v18, null, v3, v18, vcc_lo
	v_fma_f32 v25, v7, s14, -v25
	v_add_co_u32 v2, vcc_lo, 0x80, v17
	v_add_co_ci_u32_e64 v3, null, 0, v18, vcc_lo
	global_store_dwordx2 v[21:22], v[15:16], off
	global_store_dwordx2 v[21:22], v[19:20], off offset:128
	global_store_dwordx2 v[17:18], v[23:24], off
	global_store_dword v[17:18], v25, off offset:128
	s_andn2_b32 vcc_lo, exec_lo, s9
	s_cbranch_vccz .LBB103_6
	s_branch .LBB103_7
.LBB103_5:
                                        ; implicit-def: $vgpr14
                                        ; implicit-def: $vgpr2_vgpr3
.LBB103_6:
	v_mul_lo_u32 v14, v5, s2
	v_mul_lo_u32 v15, v4, s3
	v_mad_u64_u32 v[2:3], null, v4, s2, 0
	s_mul_i32 s5, s5, s8
	s_mul_hi_u32 s9, s4, s8
	s_mul_i32 s4, s4, s8
	s_add_i32 s5, s9, s5
	v_lshlrev_b64 v[0:1], 3, v[0:1]
	s_lshl_b64 s[4:5], s[4:5], 3
	v_add3_u32 v3, v3, v15, v14
	s_add_u32 s0, s0, s4
	s_addc_u32 s1, s1, s5
	v_mul_lo_u32 v18, v5, s16
	v_mul_lo_u32 v19, v4, s17
	v_lshlrev_b64 v[2:3], 3, v[2:3]
	v_mad_u64_u32 v[4:5], null, v4, s16, 0
	v_add_co_u32 v16, vcc_lo, s0, v2
	v_add_co_ci_u32_e64 v17, null, s1, v3, vcc_lo
	v_add3_u32 v5, v5, v19, v18
	v_add_co_u32 v2, vcc_lo, v16, v0
	v_add_co_ci_u32_e64 v3, null, v17, v1, vcc_lo
	v_mul_f32_e32 v18, s15, v13
	v_mul_f32_e32 v13, s14, v13
	v_lshlrev_b64 v[4:5], 3, v[4:5]
	global_load_dwordx2 v[14:15], v[2:3], off
	s_lshl_b64 s[0:1], s[2:3], 7
	v_fma_f32 v18, v12, s14, -v18
	v_fmac_f32_e32 v13, s15, v12
	v_add_co_u32 v19, vcc_lo, s6, v4
	v_add_co_ci_u32_e64 v20, null, s7, v5, vcc_lo
	v_add_co_u32 v4, vcc_lo, v19, v0
	v_add_co_ci_u32_e64 v5, null, v20, v1, vcc_lo
	s_waitcnt vmcnt(0)
	v_mul_f32_e32 v12, s11, v15
	v_mul_f32_e32 v15, s10, v15
	v_fma_f32 v12, v14, s10, -v12
	v_fmac_f32_e32 v15, s11, v14
	v_add_f32_e32 v12, v18, v12
	v_add_f32_e32 v13, v13, v15
	global_store_dwordx2 v[4:5], v[12:13], off
	global_load_dwordx2 v[2:3], v[2:3], off offset:128
	v_mul_f32_e32 v12, s15, v11
	v_mul_f32_e32 v11, s14, v11
	v_fma_f32 v12, v10, s14, -v12
	v_fmac_f32_e32 v11, s15, v10
	s_waitcnt vmcnt(0)
	v_mul_f32_e32 v13, s11, v3
	v_mul_f32_e32 v3, s10, v3
	v_fma_f32 v10, v2, s10, -v13
	v_add_co_u32 v13, vcc_lo, v16, s0
	v_fmac_f32_e32 v3, s11, v2
	v_add_co_ci_u32_e64 v14, null, s1, v17, vcc_lo
	v_add_f32_e32 v2, v12, v10
	v_add_co_u32 v10, vcc_lo, v13, v0
	v_add_f32_e32 v3, v11, v3
	v_add_co_ci_u32_e64 v11, null, v14, v1, vcc_lo
	s_lshl_b64 s[0:1], s[16:17], 7
	global_store_dwordx2 v[4:5], v[2:3], off offset:128
	global_load_dwordx2 v[2:3], v[10:11], off
	v_mul_f32_e32 v4, s15, v9
	v_mul_f32_e32 v5, s14, v9
	v_add_co_u32 v9, vcc_lo, v19, s0
	v_add_co_ci_u32_e64 v12, null, s1, v20, vcc_lo
	v_fma_f32 v4, v8, s14, -v4
	v_fmac_f32_e32 v5, s15, v8
	v_add_co_u32 v0, vcc_lo, v9, v0
	v_add_co_ci_u32_e64 v1, null, v12, v1, vcc_lo
	s_waitcnt vmcnt(0)
	v_mul_f32_e32 v8, s11, v3
	v_mul_f32_e32 v3, s10, v3
	v_fma_f32 v8, v2, s10, -v8
	v_fmac_f32_e32 v3, s11, v2
	v_add_f32_e32 v2, v4, v8
	v_add_f32_e32 v3, v5, v3
	v_mul_f32_e32 v4, s15, v6
	v_mul_f32_e32 v5, s14, v6
	global_store_dwordx2 v[0:1], v[2:3], off
	global_load_dwordx2 v[2:3], v[10:11], off offset:128
	v_fma_f32 v4, v7, s14, -v4
	v_fmac_f32_e32 v5, s15, v7
	s_waitcnt vmcnt(0)
	v_mul_f32_e32 v6, s11, v3
	v_mul_f32_e32 v3, s10, v3
	v_fma_f32 v6, v2, s10, -v6
	v_fmac_f32_e32 v3, s11, v2
	v_add_co_u32 v2, vcc_lo, 0x80, v0
	v_add_f32_e32 v4, v4, v6
	v_add_f32_e32 v14, v5, v3
	v_add_co_ci_u32_e64 v3, null, 0, v1, vcc_lo
	global_store_dword v[0:1], v4, off offset:128
.LBB103_7:
	global_store_dword v[2:3], v14, off offset:4
	s_endpgm
	.section	.rodata,"a",@progbits
	.p2align	6, 0x0
	.amdhsa_kernel _ZN12_GLOBAL__N_127rocblas_gemm_batched_kernelI19rocblas_complex_numIfELi16ELi16ELi32ELi32ELi8ELi32ELi8ELi8ELi32ELc67ELc78EKS2_S3_S2_EEvlllT_PT11_llS6_llS4_PT12_llPT13_lli
		.amdhsa_group_segment_fixed_size 4096
		.amdhsa_private_segment_fixed_size 0
		.amdhsa_kernarg_size 140
		.amdhsa_user_sgpr_count 6
		.amdhsa_user_sgpr_private_segment_buffer 1
		.amdhsa_user_sgpr_dispatch_ptr 0
		.amdhsa_user_sgpr_queue_ptr 0
		.amdhsa_user_sgpr_kernarg_segment_ptr 1
		.amdhsa_user_sgpr_dispatch_id 0
		.amdhsa_user_sgpr_flat_scratch_init 0
		.amdhsa_user_sgpr_private_segment_size 0
		.amdhsa_wavefront_size32 1
		.amdhsa_uses_dynamic_stack 0
		.amdhsa_system_sgpr_private_segment_wavefront_offset 0
		.amdhsa_system_sgpr_workgroup_id_x 1
		.amdhsa_system_sgpr_workgroup_id_y 1
		.amdhsa_system_sgpr_workgroup_id_z 1
		.amdhsa_system_sgpr_workgroup_info 0
		.amdhsa_system_vgpr_workitem_id 1
		.amdhsa_next_free_vgpr 92
		.amdhsa_next_free_sgpr 32
		.amdhsa_reserve_vcc 1
		.amdhsa_reserve_flat_scratch 0
		.amdhsa_float_round_mode_32 0
		.amdhsa_float_round_mode_16_64 0
		.amdhsa_float_denorm_mode_32 3
		.amdhsa_float_denorm_mode_16_64 3
		.amdhsa_dx10_clamp 1
		.amdhsa_ieee_mode 1
		.amdhsa_fp16_overflow 0
		.amdhsa_workgroup_processor_mode 1
		.amdhsa_memory_ordered 1
		.amdhsa_forward_progress 1
		.amdhsa_shared_vgpr_count 0
		.amdhsa_exception_fp_ieee_invalid_op 0
		.amdhsa_exception_fp_denorm_src 0
		.amdhsa_exception_fp_ieee_div_zero 0
		.amdhsa_exception_fp_ieee_overflow 0
		.amdhsa_exception_fp_ieee_underflow 0
		.amdhsa_exception_fp_ieee_inexact 0
		.amdhsa_exception_int_div_zero 0
	.end_amdhsa_kernel
	.section	.text._ZN12_GLOBAL__N_127rocblas_gemm_batched_kernelI19rocblas_complex_numIfELi16ELi16ELi32ELi32ELi8ELi32ELi8ELi8ELi32ELc67ELc78EKS2_S3_S2_EEvlllT_PT11_llS6_llS4_PT12_llPT13_lli,"axG",@progbits,_ZN12_GLOBAL__N_127rocblas_gemm_batched_kernelI19rocblas_complex_numIfELi16ELi16ELi32ELi32ELi8ELi32ELi8ELi8ELi32ELc67ELc78EKS2_S3_S2_EEvlllT_PT11_llS6_llS4_PT12_llPT13_lli,comdat
.Lfunc_end103:
	.size	_ZN12_GLOBAL__N_127rocblas_gemm_batched_kernelI19rocblas_complex_numIfELi16ELi16ELi32ELi32ELi8ELi32ELi8ELi8ELi32ELc67ELc78EKS2_S3_S2_EEvlllT_PT11_llS6_llS4_PT12_llPT13_lli, .Lfunc_end103-_ZN12_GLOBAL__N_127rocblas_gemm_batched_kernelI19rocblas_complex_numIfELi16ELi16ELi32ELi32ELi8ELi32ELi8ELi8ELi32ELc67ELc78EKS2_S3_S2_EEvlllT_PT11_llS6_llS4_PT12_llPT13_lli
                                        ; -- End function
	.set _ZN12_GLOBAL__N_127rocblas_gemm_batched_kernelI19rocblas_complex_numIfELi16ELi16ELi32ELi32ELi8ELi32ELi8ELi8ELi32ELc67ELc78EKS2_S3_S2_EEvlllT_PT11_llS6_llS4_PT12_llPT13_lli.num_vgpr, 92
	.set _ZN12_GLOBAL__N_127rocblas_gemm_batched_kernelI19rocblas_complex_numIfELi16ELi16ELi32ELi32ELi8ELi32ELi8ELi8ELi32ELc67ELc78EKS2_S3_S2_EEvlllT_PT11_llS6_llS4_PT12_llPT13_lli.num_agpr, 0
	.set _ZN12_GLOBAL__N_127rocblas_gemm_batched_kernelI19rocblas_complex_numIfELi16ELi16ELi32ELi32ELi8ELi32ELi8ELi8ELi32ELc67ELc78EKS2_S3_S2_EEvlllT_PT11_llS6_llS4_PT12_llPT13_lli.numbered_sgpr, 32
	.set _ZN12_GLOBAL__N_127rocblas_gemm_batched_kernelI19rocblas_complex_numIfELi16ELi16ELi32ELi32ELi8ELi32ELi8ELi8ELi32ELc67ELc78EKS2_S3_S2_EEvlllT_PT11_llS6_llS4_PT12_llPT13_lli.num_named_barrier, 0
	.set _ZN12_GLOBAL__N_127rocblas_gemm_batched_kernelI19rocblas_complex_numIfELi16ELi16ELi32ELi32ELi8ELi32ELi8ELi8ELi32ELc67ELc78EKS2_S3_S2_EEvlllT_PT11_llS6_llS4_PT12_llPT13_lli.private_seg_size, 0
	.set _ZN12_GLOBAL__N_127rocblas_gemm_batched_kernelI19rocblas_complex_numIfELi16ELi16ELi32ELi32ELi8ELi32ELi8ELi8ELi32ELc67ELc78EKS2_S3_S2_EEvlllT_PT11_llS6_llS4_PT12_llPT13_lli.uses_vcc, 1
	.set _ZN12_GLOBAL__N_127rocblas_gemm_batched_kernelI19rocblas_complex_numIfELi16ELi16ELi32ELi32ELi8ELi32ELi8ELi8ELi32ELc67ELc78EKS2_S3_S2_EEvlllT_PT11_llS6_llS4_PT12_llPT13_lli.uses_flat_scratch, 0
	.set _ZN12_GLOBAL__N_127rocblas_gemm_batched_kernelI19rocblas_complex_numIfELi16ELi16ELi32ELi32ELi8ELi32ELi8ELi8ELi32ELc67ELc78EKS2_S3_S2_EEvlllT_PT11_llS6_llS4_PT12_llPT13_lli.has_dyn_sized_stack, 0
	.set _ZN12_GLOBAL__N_127rocblas_gemm_batched_kernelI19rocblas_complex_numIfELi16ELi16ELi32ELi32ELi8ELi32ELi8ELi8ELi32ELc67ELc78EKS2_S3_S2_EEvlllT_PT11_llS6_llS4_PT12_llPT13_lli.has_recursion, 0
	.set _ZN12_GLOBAL__N_127rocblas_gemm_batched_kernelI19rocblas_complex_numIfELi16ELi16ELi32ELi32ELi8ELi32ELi8ELi8ELi32ELc67ELc78EKS2_S3_S2_EEvlllT_PT11_llS6_llS4_PT12_llPT13_lli.has_indirect_call, 0
	.section	.AMDGPU.csdata,"",@progbits
; Kernel info:
; codeLenInByte = 2548
; TotalNumSgprs: 34
; NumVgprs: 92
; ScratchSize: 0
; MemoryBound: 0
; FloatMode: 240
; IeeeMode: 1
; LDSByteSize: 4096 bytes/workgroup (compile time only)
; SGPRBlocks: 0
; VGPRBlocks: 11
; NumSGPRsForWavesPerEU: 34
; NumVGPRsForWavesPerEU: 92
; Occupancy: 10
; WaveLimiterHint : 1
; COMPUTE_PGM_RSRC2:SCRATCH_EN: 0
; COMPUTE_PGM_RSRC2:USER_SGPR: 6
; COMPUTE_PGM_RSRC2:TRAP_HANDLER: 0
; COMPUTE_PGM_RSRC2:TGID_X_EN: 1
; COMPUTE_PGM_RSRC2:TGID_Y_EN: 1
; COMPUTE_PGM_RSRC2:TGID_Z_EN: 1
; COMPUTE_PGM_RSRC2:TIDIG_COMP_CNT: 1
	.section	.text._ZN12_GLOBAL__N_127rocblas_gemm_batched_kernelI19rocblas_complex_numIfELi16ELi16ELi32ELi32ELi8ELi32ELi8ELi8ELi32ELc67ELc84EKS2_S3_S2_EEvlllT_PT11_llS6_llS4_PT12_llPT13_lli,"axG",@progbits,_ZN12_GLOBAL__N_127rocblas_gemm_batched_kernelI19rocblas_complex_numIfELi16ELi16ELi32ELi32ELi8ELi32ELi8ELi8ELi32ELc67ELc84EKS2_S3_S2_EEvlllT_PT11_llS6_llS4_PT12_llPT13_lli,comdat
	.globl	_ZN12_GLOBAL__N_127rocblas_gemm_batched_kernelI19rocblas_complex_numIfELi16ELi16ELi32ELi32ELi8ELi32ELi8ELi8ELi32ELc67ELc84EKS2_S3_S2_EEvlllT_PT11_llS6_llS4_PT12_llPT13_lli ; -- Begin function _ZN12_GLOBAL__N_127rocblas_gemm_batched_kernelI19rocblas_complex_numIfELi16ELi16ELi32ELi32ELi8ELi32ELi8ELi8ELi32ELc67ELc84EKS2_S3_S2_EEvlllT_PT11_llS6_llS4_PT12_llPT13_lli
	.p2align	8
	.type	_ZN12_GLOBAL__N_127rocblas_gemm_batched_kernelI19rocblas_complex_numIfELi16ELi16ELi32ELi32ELi8ELi32ELi8ELi8ELi32ELc67ELc84EKS2_S3_S2_EEvlllT_PT11_llS6_llS4_PT12_llPT13_lli,@function
_ZN12_GLOBAL__N_127rocblas_gemm_batched_kernelI19rocblas_complex_numIfELi16ELi16ELi32ELi32ELi8ELi32ELi8ELi8ELi32ELc67ELc84EKS2_S3_S2_EEvlllT_PT11_llS6_llS4_PT12_llPT13_lli: ; @_ZN12_GLOBAL__N_127rocblas_gemm_batched_kernelI19rocblas_complex_numIfELi16ELi16ELi32ELi32ELi8ELi32ELi8ELi8ELi32ELc67ELc84EKS2_S3_S2_EEvlllT_PT11_llS6_llS4_PT12_llPT13_lli
; %bb.0:
	s_clause 0x1
	s_load_dwordx16 s[12:27], s[4:5], 0x10
	s_load_dwordx2 s[10:11], s[4:5], 0x50
	s_mov_b32 s0, s7
	v_mov_b32_e32 v12, 0
	v_mov_b32_e32 v13, 0
	;; [unrolled: 1-line block ×8, first 2 shown]
	s_ashr_i32 s7, s6, 31
	s_ashr_i32 s1, s0, 31
	s_lshl_b64 s[28:29], s[6:7], 5
	s_lshl_b64 s[30:31], s[0:1], 5
	s_waitcnt lgkmcnt(0)
	v_cmp_lt_i64_e64 s2, s[12:13], 1
	s_and_b32 vcc_lo, exec_lo, s2
	s_cbranch_vccnz .LBB104_3
; %bb.1:
	v_lshl_add_u32 v7, v1, 4, v0
	v_and_b32_e32 v8, 7, v0
	s_mul_i32 s1, s21, s8
	s_mul_hi_u32 s2, s20, s8
	v_mov_b32_e32 v6, 0
	v_lshrrev_b32_e32 v9, 3, v7
	v_and_b32_e32 v10, 31, v7
	v_lshlrev_b32_e32 v16, 3, v8
	v_lshrrev_b32_e32 v13, 5, v7
	s_add_i32 s1, s2, s1
	v_add_co_u32 v2, s0, v9, s30
	v_add_co_ci_u32_e64 v3, null, 0, s31, s0
	v_add_co_u32 v4, s0, s28, v10
	v_add_co_ci_u32_e64 v5, null, s29, 0, s0
	v_mad_u64_u32 v[2:3], null, s24, v8, v[2:3]
	v_mul_lo_u32 v11, s19, v4
	v_mul_lo_u32 v12, s18, v5
	v_mad_u64_u32 v[4:5], null, s18, v4, 0
	s_mul_i32 s0, s20, s8
	v_lshlrev_b32_e32 v10, 3, v10
	s_lshl_b64 s[0:1], s[0:1], 3
	v_lshlrev_b32_e32 v14, 3, v0
	v_lshl_add_u32 v15, v1, 6, 0x800
	s_mov_b64 s[2:3], 0
	v_add3_u32 v5, v5, v12, v11
	v_mad_u64_u32 v[7:8], null, s25, v8, v[3:4]
	v_lshl_or_b32 v3, v9, 6, v16
	v_lshl_or_b32 v16, v13, 8, v10
	v_lshlrev_b64 v[4:5], 3, v[4:5]
	v_mov_b32_e32 v9, 0
	v_mov_b32_e32 v11, 0
	v_add_nc_u32_e32 v17, 0x800, v3
	v_mov_b32_e32 v3, v7
	v_lshlrev_b32_e32 v7, 3, v13
	v_add_co_u32 v4, vcc_lo, v4, s0
	v_add_co_ci_u32_e64 v5, null, s1, v5, vcc_lo
	s_mul_i32 s0, s27, s8
	v_add_co_u32 v4, vcc_lo, v4, v7
	v_add_co_ci_u32_e64 v5, null, 0, v5, vcc_lo
	s_mul_hi_u32 s1, s26, s8
	v_add_co_u32 v7, vcc_lo, s16, v4
	s_add_i32 s1, s1, s0
	s_mul_i32 s0, s26, s8
	v_add_co_ci_u32_e64 v8, null, s17, v5, vcc_lo
	v_lshlrev_b64 v[4:5], 3, v[2:3]
	s_lshl_b64 s[0:1], s[0:1], 3
	v_add_co_u32 v2, vcc_lo, v7, 4
	s_add_u32 s0, s22, s0
	v_add_co_ci_u32_e64 v3, null, 0, v8, vcc_lo
	s_addc_u32 s1, s23, s1
	v_add_co_u32 v4, vcc_lo, s0, v4
	v_add_co_ci_u32_e64 v5, null, s1, v5, vcc_lo
	v_mov_b32_e32 v7, 0
	v_mov_b32_e32 v8, 0
	;; [unrolled: 1-line block ×5, first 2 shown]
	s_lshl_b64 s[0:1], s[24:25], 6
.LBB104_2:                              ; =>This Inner Loop Header: Depth=1
	global_load_dwordx2 v[18:19], v[2:3], off offset:-4
	global_load_dwordx2 v[20:21], v[4:5], off
	s_add_u32 s2, s2, 8
	s_addc_u32 s3, s3, 0
	v_add_co_u32 v2, vcc_lo, v2, 64
	v_cmp_lt_i64_e64 s6, s[2:3], s[12:13]
	v_add_co_ci_u32_e64 v3, null, 0, v3, vcc_lo
	v_add_co_u32 v4, vcc_lo, v4, s0
	v_add_co_ci_u32_e64 v5, null, s1, v5, vcc_lo
	s_and_b32 vcc_lo, exec_lo, s6
	s_waitcnt vmcnt(1)
	v_xor_b32_e32 v19, 0x80000000, v19
	s_waitcnt vmcnt(0)
	ds_write_b64 v17, v[20:21]
	ds_write_b64 v16, v[18:19]
	s_waitcnt lgkmcnt(0)
	s_barrier
	buffer_gl0_inv
	ds_read_b128 v[18:21], v15
	ds_read2_b64 v[22:25], v14 offset1:16
	ds_read_b128 v[26:29], v15 offset:1024
	ds_read2_b64 v[30:33], v14 offset0:32 offset1:48
	ds_read_b128 v[34:37], v15 offset:16
	ds_read2_b64 v[38:41], v14 offset0:64 offset1:80
	;; [unrolled: 2-line block ×3, first 2 shown]
	ds_read2_b64 v[50:53], v14 offset0:128 offset1:144
	ds_read2_b64 v[54:57], v14 offset0:160 offset1:176
	ds_read_b128 v[58:61], v15 offset:32
	ds_read_b128 v[62:65], v15 offset:48
	ds_read2_b64 v[66:69], v14 offset0:192 offset1:208
	ds_read_b128 v[70:73], v15 offset:1056
	ds_read_b128 v[74:77], v15 offset:1072
	ds_read2_b64 v[78:81], v14 offset0:224 offset1:240
	s_waitcnt lgkmcnt(0)
	s_barrier
	buffer_gl0_inv
	v_mul_f32_e32 v82, v19, v23
	v_mul_f32_e32 v83, v18, v23
	;; [unrolled: 1-line block ×12, first 2 shown]
	v_fma_f32 v82, v18, v22, -v82
	v_fmac_f32_e32 v83, v19, v22
	v_fma_f32 v18, v18, v24, -v84
	v_fmac_f32_e32 v85, v19, v24
	;; [unrolled: 2-line block ×4, first 2 shown]
	v_mul_f32_e32 v24, v29, v31
	v_mul_f32_e32 v26, v28, v31
	;; [unrolled: 1-line block ×4, first 2 shown]
	v_fma_f32 v33, v20, v30, -v88
	v_fmac_f32_e32 v89, v21, v30
	v_fma_f32 v20, v20, v32, -v90
	v_fmac_f32_e32 v91, v21, v32
	v_mul_f32_e32 v21, v35, v39
	v_mul_f32_e32 v84, v34, v39
	v_mul_f32_e32 v86, v35, v41
	v_mul_f32_e32 v87, v34, v41
	v_fma_f32 v24, v28, v30, -v24
	v_fmac_f32_e32 v26, v29, v30
	v_fma_f32 v27, v28, v32, -v27
	v_fmac_f32_e32 v31, v29, v32
	v_mul_f32_e32 v28, v43, v39
	v_mul_f32_e32 v29, v42, v39
	v_mul_f32_e32 v30, v43, v41
	v_mul_f32_e32 v32, v42, v41
	v_add_f32_e32 v12, v12, v82
	v_add_f32_e32 v13, v13, v83
	v_add_f32_e32 v10, v10, v18
	v_add_f32_e32 v11, v11, v85
	v_add_f32_e32 v8, v8, v19
	v_add_f32_e32 v9, v9, v23
	v_add_f32_e32 v7, v7, v22
	v_add_f32_e32 v6, v6, v25
	v_mul_f32_e32 v39, v37, v47
	v_mul_f32_e32 v41, v36, v47
	v_mul_f32_e32 v88, v37, v49
	v_mul_f32_e32 v90, v36, v49
	v_fma_f32 v21, v34, v38, -v21
	v_fmac_f32_e32 v84, v35, v38
	v_fma_f32 v34, v34, v40, -v86
	v_fmac_f32_e32 v87, v35, v40
	v_fma_f32 v28, v42, v38, -v28
	v_fmac_f32_e32 v29, v43, v38
	v_fma_f32 v30, v42, v40, -v30
	v_fmac_f32_e32 v32, v43, v40
	v_mul_f32_e32 v35, v45, v47
	v_mul_f32_e32 v38, v44, v47
	v_mul_f32_e32 v40, v45, v49
	v_mul_f32_e32 v42, v44, v49
	v_add_f32_e32 v12, v12, v33
	v_add_f32_e32 v13, v13, v89
	v_add_f32_e32 v10, v10, v20
	v_add_f32_e32 v11, v11, v91
	v_add_f32_e32 v8, v8, v24
	v_add_f32_e32 v9, v9, v26
	v_add_f32_e32 v7, v7, v27
	v_add_f32_e32 v6, v6, v31
	v_fma_f32 v39, v36, v46, -v39
	v_fmac_f32_e32 v41, v37, v46
	v_fma_f32 v36, v36, v48, -v88
	v_fmac_f32_e32 v90, v37, v48
	v_mul_f32_e32 v37, v59, v51
	v_mul_f32_e32 v43, v58, v51
	v_mul_f32_e32 v47, v59, v53
	v_mul_f32_e32 v49, v58, v53
	v_fma_f32 v35, v44, v46, -v35
	v_fmac_f32_e32 v38, v45, v46
	v_fma_f32 v40, v44, v48, -v40
	v_fmac_f32_e32 v42, v45, v48
	v_mul_f32_e32 v44, v71, v51
	v_mul_f32_e32 v45, v70, v51
	v_mul_f32_e32 v46, v71, v53
	v_mul_f32_e32 v48, v70, v53
	v_add_f32_e32 v12, v12, v21
	v_add_f32_e32 v13, v13, v84
	v_add_f32_e32 v10, v10, v34
	v_add_f32_e32 v11, v11, v87
	v_add_f32_e32 v8, v8, v28
	v_add_f32_e32 v9, v9, v29
	v_add_f32_e32 v7, v7, v30
	v_add_f32_e32 v6, v6, v32
	v_mul_f32_e32 v51, v61, v55
	v_mul_f32_e32 v53, v60, v55
	v_mul_f32_e32 v86, v61, v57
	v_mul_f32_e32 v88, v60, v57
	v_fma_f32 v37, v58, v50, -v37
	v_fmac_f32_e32 v43, v59, v50
	v_fma_f32 v47, v58, v52, -v47
	v_fmac_f32_e32 v49, v59, v52
	v_fma_f32 v44, v70, v50, -v44
	v_fmac_f32_e32 v45, v71, v50
	v_fma_f32 v46, v70, v52, -v46
	v_fmac_f32_e32 v48, v71, v52
	v_mul_f32_e32 v50, v73, v55
	v_mul_f32_e32 v52, v72, v55
	v_mul_f32_e32 v55, v73, v57
	v_mul_f32_e32 v57, v72, v57
	v_add_f32_e32 v12, v12, v39
	v_add_f32_e32 v13, v13, v41
	v_add_f32_e32 v10, v10, v36
	v_add_f32_e32 v11, v11, v90
	v_add_f32_e32 v8, v8, v35
	v_add_f32_e32 v9, v9, v38
	v_add_f32_e32 v7, v7, v40
	v_add_f32_e32 v6, v6, v42
	;; [unrolled: 48-line block ×3, first 2 shown]
	v_fma_f32 v71, v64, v78, -v71
	v_fmac_f32_e32 v72, v65, v78
	v_fma_f32 v64, v64, v80, -v73
	v_fmac_f32_e32 v86, v65, v80
	;; [unrolled: 2-line block ×4, first 2 shown]
	v_add_f32_e32 v12, v12, v59
	v_add_f32_e32 v13, v13, v60
	;; [unrolled: 1-line block ×16, first 2 shown]
	s_cbranch_vccnz .LBB104_2
.LBB104_3:
	s_clause 0x1
	s_load_dwordx4 s[16:19], s[4:5], 0x78
	s_load_dwordx8 s[0:7], s[4:5], 0x58
	s_waitcnt lgkmcnt(0)
	s_mul_i32 s9, s19, s8
	s_mul_hi_u32 s13, s18, s8
	s_mul_i32 s12, s18, s8
	s_add_i32 s13, s13, s9
	s_lshl_b64 s[12:13], s[12:13], 3
	s_add_u32 s6, s6, s12
	v_add_co_u32 v4, s12, s30, v1
	v_add_co_ci_u32_e64 v5, null, s31, 0, s12
	v_add_co_u32 v0, s12, s28, v0
	s_addc_u32 s7, s7, s13
	s_or_b32 s9, s10, s11
	v_add_co_ci_u32_e64 v1, null, s29, 0, s12
	s_bitset0_b32 s9, 31
	s_cmp_lg_u32 s9, 0
	s_mov_b32 s9, 0
	s_cbranch_scc1 .LBB104_5
; %bb.4:
	v_mul_lo_u32 v14, v5, s16
	v_mul_lo_u32 v15, v4, s17
	v_mad_u64_u32 v[2:3], null, v4, s16, 0
	v_lshlrev_b64 v[17:18], 3, v[0:1]
	s_lshl_b64 s[12:13], s[16:17], 7
	v_mul_f32_e32 v19, s15, v13
	v_mul_f32_e32 v16, s14, v13
	;; [unrolled: 1-line block ×4, first 2 shown]
	v_add3_u32 v3, v3, v15, v14
	v_mul_f32_e32 v14, s15, v11
	v_fma_f32 v15, v12, s14, -v19
	v_mul_f32_e32 v24, s14, v9
	v_mul_f32_e32 v25, s15, v6
	v_lshlrev_b64 v[2:3], 3, v[2:3]
	v_fma_f32 v19, v10, s14, -v14
	v_mul_f32_e32 v14, s14, v6
	v_fmac_f32_e32 v16, s15, v12
	v_fmac_f32_e32 v20, s15, v10
	v_fma_f32 v23, v8, s14, -v23
	v_add_co_u32 v2, vcc_lo, s6, v2
	v_add_co_ci_u32_e64 v3, null, s7, v3, vcc_lo
	v_fmac_f32_e32 v14, s15, v7
	v_add_co_u32 v21, vcc_lo, v2, v17
	v_add_co_ci_u32_e64 v22, null, v3, v18, vcc_lo
	v_add_co_u32 v2, vcc_lo, v2, s12
	v_add_co_ci_u32_e64 v3, null, s13, v3, vcc_lo
	v_fmac_f32_e32 v24, s15, v8
	v_add_co_u32 v17, vcc_lo, v2, v17
	v_add_co_ci_u32_e64 v18, null, v3, v18, vcc_lo
	v_fma_f32 v25, v7, s14, -v25
	v_add_co_u32 v2, vcc_lo, 0x80, v17
	v_add_co_ci_u32_e64 v3, null, 0, v18, vcc_lo
	global_store_dwordx2 v[21:22], v[15:16], off
	global_store_dwordx2 v[21:22], v[19:20], off offset:128
	global_store_dwordx2 v[17:18], v[23:24], off
	global_store_dword v[17:18], v25, off offset:128
	s_andn2_b32 vcc_lo, exec_lo, s9
	s_cbranch_vccz .LBB104_6
	s_branch .LBB104_7
.LBB104_5:
                                        ; implicit-def: $vgpr14
                                        ; implicit-def: $vgpr2_vgpr3
.LBB104_6:
	v_mul_lo_u32 v14, v5, s2
	v_mul_lo_u32 v15, v4, s3
	v_mad_u64_u32 v[2:3], null, v4, s2, 0
	s_mul_i32 s5, s5, s8
	s_mul_hi_u32 s9, s4, s8
	s_mul_i32 s4, s4, s8
	s_add_i32 s5, s9, s5
	v_lshlrev_b64 v[0:1], 3, v[0:1]
	s_lshl_b64 s[4:5], s[4:5], 3
	v_add3_u32 v3, v3, v15, v14
	s_add_u32 s0, s0, s4
	s_addc_u32 s1, s1, s5
	v_mul_lo_u32 v18, v5, s16
	v_mul_lo_u32 v19, v4, s17
	v_lshlrev_b64 v[2:3], 3, v[2:3]
	v_mad_u64_u32 v[4:5], null, v4, s16, 0
	v_add_co_u32 v16, vcc_lo, s0, v2
	v_add_co_ci_u32_e64 v17, null, s1, v3, vcc_lo
	v_add3_u32 v5, v5, v19, v18
	v_add_co_u32 v2, vcc_lo, v16, v0
	v_add_co_ci_u32_e64 v3, null, v17, v1, vcc_lo
	v_mul_f32_e32 v18, s15, v13
	v_mul_f32_e32 v13, s14, v13
	v_lshlrev_b64 v[4:5], 3, v[4:5]
	global_load_dwordx2 v[14:15], v[2:3], off
	s_lshl_b64 s[0:1], s[2:3], 7
	v_fma_f32 v18, v12, s14, -v18
	v_fmac_f32_e32 v13, s15, v12
	v_add_co_u32 v19, vcc_lo, s6, v4
	v_add_co_ci_u32_e64 v20, null, s7, v5, vcc_lo
	v_add_co_u32 v4, vcc_lo, v19, v0
	v_add_co_ci_u32_e64 v5, null, v20, v1, vcc_lo
	s_waitcnt vmcnt(0)
	v_mul_f32_e32 v12, s11, v15
	v_mul_f32_e32 v15, s10, v15
	v_fma_f32 v12, v14, s10, -v12
	v_fmac_f32_e32 v15, s11, v14
	v_add_f32_e32 v12, v18, v12
	v_add_f32_e32 v13, v13, v15
	global_store_dwordx2 v[4:5], v[12:13], off
	global_load_dwordx2 v[2:3], v[2:3], off offset:128
	v_mul_f32_e32 v12, s15, v11
	v_mul_f32_e32 v11, s14, v11
	v_fma_f32 v12, v10, s14, -v12
	v_fmac_f32_e32 v11, s15, v10
	s_waitcnt vmcnt(0)
	v_mul_f32_e32 v13, s11, v3
	v_mul_f32_e32 v3, s10, v3
	v_fma_f32 v10, v2, s10, -v13
	v_add_co_u32 v13, vcc_lo, v16, s0
	v_fmac_f32_e32 v3, s11, v2
	v_add_co_ci_u32_e64 v14, null, s1, v17, vcc_lo
	v_add_f32_e32 v2, v12, v10
	v_add_co_u32 v10, vcc_lo, v13, v0
	v_add_f32_e32 v3, v11, v3
	v_add_co_ci_u32_e64 v11, null, v14, v1, vcc_lo
	s_lshl_b64 s[0:1], s[16:17], 7
	global_store_dwordx2 v[4:5], v[2:3], off offset:128
	global_load_dwordx2 v[2:3], v[10:11], off
	v_mul_f32_e32 v4, s15, v9
	v_mul_f32_e32 v5, s14, v9
	v_add_co_u32 v9, vcc_lo, v19, s0
	v_add_co_ci_u32_e64 v12, null, s1, v20, vcc_lo
	v_fma_f32 v4, v8, s14, -v4
	v_fmac_f32_e32 v5, s15, v8
	v_add_co_u32 v0, vcc_lo, v9, v0
	v_add_co_ci_u32_e64 v1, null, v12, v1, vcc_lo
	s_waitcnt vmcnt(0)
	v_mul_f32_e32 v8, s11, v3
	v_mul_f32_e32 v3, s10, v3
	v_fma_f32 v8, v2, s10, -v8
	v_fmac_f32_e32 v3, s11, v2
	v_add_f32_e32 v2, v4, v8
	v_add_f32_e32 v3, v5, v3
	v_mul_f32_e32 v4, s15, v6
	v_mul_f32_e32 v5, s14, v6
	global_store_dwordx2 v[0:1], v[2:3], off
	global_load_dwordx2 v[2:3], v[10:11], off offset:128
	v_fma_f32 v4, v7, s14, -v4
	v_fmac_f32_e32 v5, s15, v7
	s_waitcnt vmcnt(0)
	v_mul_f32_e32 v6, s11, v3
	v_mul_f32_e32 v3, s10, v3
	v_fma_f32 v6, v2, s10, -v6
	v_fmac_f32_e32 v3, s11, v2
	v_add_co_u32 v2, vcc_lo, 0x80, v0
	v_add_f32_e32 v4, v4, v6
	v_add_f32_e32 v14, v5, v3
	v_add_co_ci_u32_e64 v3, null, 0, v1, vcc_lo
	global_store_dword v[0:1], v4, off offset:128
.LBB104_7:
	global_store_dword v[2:3], v14, off offset:4
	s_endpgm
	.section	.rodata,"a",@progbits
	.p2align	6, 0x0
	.amdhsa_kernel _ZN12_GLOBAL__N_127rocblas_gemm_batched_kernelI19rocblas_complex_numIfELi16ELi16ELi32ELi32ELi8ELi32ELi8ELi8ELi32ELc67ELc84EKS2_S3_S2_EEvlllT_PT11_llS6_llS4_PT12_llPT13_lli
		.amdhsa_group_segment_fixed_size 4096
		.amdhsa_private_segment_fixed_size 0
		.amdhsa_kernarg_size 140
		.amdhsa_user_sgpr_count 6
		.amdhsa_user_sgpr_private_segment_buffer 1
		.amdhsa_user_sgpr_dispatch_ptr 0
		.amdhsa_user_sgpr_queue_ptr 0
		.amdhsa_user_sgpr_kernarg_segment_ptr 1
		.amdhsa_user_sgpr_dispatch_id 0
		.amdhsa_user_sgpr_flat_scratch_init 0
		.amdhsa_user_sgpr_private_segment_size 0
		.amdhsa_wavefront_size32 1
		.amdhsa_uses_dynamic_stack 0
		.amdhsa_system_sgpr_private_segment_wavefront_offset 0
		.amdhsa_system_sgpr_workgroup_id_x 1
		.amdhsa_system_sgpr_workgroup_id_y 1
		.amdhsa_system_sgpr_workgroup_id_z 1
		.amdhsa_system_sgpr_workgroup_info 0
		.amdhsa_system_vgpr_workitem_id 1
		.amdhsa_next_free_vgpr 92
		.amdhsa_next_free_sgpr 32
		.amdhsa_reserve_vcc 1
		.amdhsa_reserve_flat_scratch 0
		.amdhsa_float_round_mode_32 0
		.amdhsa_float_round_mode_16_64 0
		.amdhsa_float_denorm_mode_32 3
		.amdhsa_float_denorm_mode_16_64 3
		.amdhsa_dx10_clamp 1
		.amdhsa_ieee_mode 1
		.amdhsa_fp16_overflow 0
		.amdhsa_workgroup_processor_mode 1
		.amdhsa_memory_ordered 1
		.amdhsa_forward_progress 1
		.amdhsa_shared_vgpr_count 0
		.amdhsa_exception_fp_ieee_invalid_op 0
		.amdhsa_exception_fp_denorm_src 0
		.amdhsa_exception_fp_ieee_div_zero 0
		.amdhsa_exception_fp_ieee_overflow 0
		.amdhsa_exception_fp_ieee_underflow 0
		.amdhsa_exception_fp_ieee_inexact 0
		.amdhsa_exception_int_div_zero 0
	.end_amdhsa_kernel
	.section	.text._ZN12_GLOBAL__N_127rocblas_gemm_batched_kernelI19rocblas_complex_numIfELi16ELi16ELi32ELi32ELi8ELi32ELi8ELi8ELi32ELc67ELc84EKS2_S3_S2_EEvlllT_PT11_llS6_llS4_PT12_llPT13_lli,"axG",@progbits,_ZN12_GLOBAL__N_127rocblas_gemm_batched_kernelI19rocblas_complex_numIfELi16ELi16ELi32ELi32ELi8ELi32ELi8ELi8ELi32ELc67ELc84EKS2_S3_S2_EEvlllT_PT11_llS6_llS4_PT12_llPT13_lli,comdat
.Lfunc_end104:
	.size	_ZN12_GLOBAL__N_127rocblas_gemm_batched_kernelI19rocblas_complex_numIfELi16ELi16ELi32ELi32ELi8ELi32ELi8ELi8ELi32ELc67ELc84EKS2_S3_S2_EEvlllT_PT11_llS6_llS4_PT12_llPT13_lli, .Lfunc_end104-_ZN12_GLOBAL__N_127rocblas_gemm_batched_kernelI19rocblas_complex_numIfELi16ELi16ELi32ELi32ELi8ELi32ELi8ELi8ELi32ELc67ELc84EKS2_S3_S2_EEvlllT_PT11_llS6_llS4_PT12_llPT13_lli
                                        ; -- End function
	.set _ZN12_GLOBAL__N_127rocblas_gemm_batched_kernelI19rocblas_complex_numIfELi16ELi16ELi32ELi32ELi8ELi32ELi8ELi8ELi32ELc67ELc84EKS2_S3_S2_EEvlllT_PT11_llS6_llS4_PT12_llPT13_lli.num_vgpr, 92
	.set _ZN12_GLOBAL__N_127rocblas_gemm_batched_kernelI19rocblas_complex_numIfELi16ELi16ELi32ELi32ELi8ELi32ELi8ELi8ELi32ELc67ELc84EKS2_S3_S2_EEvlllT_PT11_llS6_llS4_PT12_llPT13_lli.num_agpr, 0
	.set _ZN12_GLOBAL__N_127rocblas_gemm_batched_kernelI19rocblas_complex_numIfELi16ELi16ELi32ELi32ELi8ELi32ELi8ELi8ELi32ELc67ELc84EKS2_S3_S2_EEvlllT_PT11_llS6_llS4_PT12_llPT13_lli.numbered_sgpr, 32
	.set _ZN12_GLOBAL__N_127rocblas_gemm_batched_kernelI19rocblas_complex_numIfELi16ELi16ELi32ELi32ELi8ELi32ELi8ELi8ELi32ELc67ELc84EKS2_S3_S2_EEvlllT_PT11_llS6_llS4_PT12_llPT13_lli.num_named_barrier, 0
	.set _ZN12_GLOBAL__N_127rocblas_gemm_batched_kernelI19rocblas_complex_numIfELi16ELi16ELi32ELi32ELi8ELi32ELi8ELi8ELi32ELc67ELc84EKS2_S3_S2_EEvlllT_PT11_llS6_llS4_PT12_llPT13_lli.private_seg_size, 0
	.set _ZN12_GLOBAL__N_127rocblas_gemm_batched_kernelI19rocblas_complex_numIfELi16ELi16ELi32ELi32ELi8ELi32ELi8ELi8ELi32ELc67ELc84EKS2_S3_S2_EEvlllT_PT11_llS6_llS4_PT12_llPT13_lli.uses_vcc, 1
	.set _ZN12_GLOBAL__N_127rocblas_gemm_batched_kernelI19rocblas_complex_numIfELi16ELi16ELi32ELi32ELi8ELi32ELi8ELi8ELi32ELc67ELc84EKS2_S3_S2_EEvlllT_PT11_llS6_llS4_PT12_llPT13_lli.uses_flat_scratch, 0
	.set _ZN12_GLOBAL__N_127rocblas_gemm_batched_kernelI19rocblas_complex_numIfELi16ELi16ELi32ELi32ELi8ELi32ELi8ELi8ELi32ELc67ELc84EKS2_S3_S2_EEvlllT_PT11_llS6_llS4_PT12_llPT13_lli.has_dyn_sized_stack, 0
	.set _ZN12_GLOBAL__N_127rocblas_gemm_batched_kernelI19rocblas_complex_numIfELi16ELi16ELi32ELi32ELi8ELi32ELi8ELi8ELi32ELc67ELc84EKS2_S3_S2_EEvlllT_PT11_llS6_llS4_PT12_llPT13_lli.has_recursion, 0
	.set _ZN12_GLOBAL__N_127rocblas_gemm_batched_kernelI19rocblas_complex_numIfELi16ELi16ELi32ELi32ELi8ELi32ELi8ELi8ELi32ELc67ELc84EKS2_S3_S2_EEvlllT_PT11_llS6_llS4_PT12_llPT13_lli.has_indirect_call, 0
	.section	.AMDGPU.csdata,"",@progbits
; Kernel info:
; codeLenInByte = 2516
; TotalNumSgprs: 34
; NumVgprs: 92
; ScratchSize: 0
; MemoryBound: 0
; FloatMode: 240
; IeeeMode: 1
; LDSByteSize: 4096 bytes/workgroup (compile time only)
; SGPRBlocks: 0
; VGPRBlocks: 11
; NumSGPRsForWavesPerEU: 34
; NumVGPRsForWavesPerEU: 92
; Occupancy: 10
; WaveLimiterHint : 1
; COMPUTE_PGM_RSRC2:SCRATCH_EN: 0
; COMPUTE_PGM_RSRC2:USER_SGPR: 6
; COMPUTE_PGM_RSRC2:TRAP_HANDLER: 0
; COMPUTE_PGM_RSRC2:TGID_X_EN: 1
; COMPUTE_PGM_RSRC2:TGID_Y_EN: 1
; COMPUTE_PGM_RSRC2:TGID_Z_EN: 1
; COMPUTE_PGM_RSRC2:TIDIG_COMP_CNT: 1
	.section	.text._ZN12_GLOBAL__N_127rocblas_gemm_batched_kernelI19rocblas_complex_numIfELi16ELi16ELi32ELi32ELi8ELi32ELi8ELi8ELi32ELc78ELc67EKS2_S3_S2_EEvlllT_PT11_llS6_llS4_PT12_llPT13_lli,"axG",@progbits,_ZN12_GLOBAL__N_127rocblas_gemm_batched_kernelI19rocblas_complex_numIfELi16ELi16ELi32ELi32ELi8ELi32ELi8ELi8ELi32ELc78ELc67EKS2_S3_S2_EEvlllT_PT11_llS6_llS4_PT12_llPT13_lli,comdat
	.globl	_ZN12_GLOBAL__N_127rocblas_gemm_batched_kernelI19rocblas_complex_numIfELi16ELi16ELi32ELi32ELi8ELi32ELi8ELi8ELi32ELc78ELc67EKS2_S3_S2_EEvlllT_PT11_llS6_llS4_PT12_llPT13_lli ; -- Begin function _ZN12_GLOBAL__N_127rocblas_gemm_batched_kernelI19rocblas_complex_numIfELi16ELi16ELi32ELi32ELi8ELi32ELi8ELi8ELi32ELc78ELc67EKS2_S3_S2_EEvlllT_PT11_llS6_llS4_PT12_llPT13_lli
	.p2align	8
	.type	_ZN12_GLOBAL__N_127rocblas_gemm_batched_kernelI19rocblas_complex_numIfELi16ELi16ELi32ELi32ELi8ELi32ELi8ELi8ELi32ELc78ELc67EKS2_S3_S2_EEvlllT_PT11_llS6_llS4_PT12_llPT13_lli,@function
_ZN12_GLOBAL__N_127rocblas_gemm_batched_kernelI19rocblas_complex_numIfELi16ELi16ELi32ELi32ELi8ELi32ELi8ELi8ELi32ELc78ELc67EKS2_S3_S2_EEvlllT_PT11_llS6_llS4_PT12_llPT13_lli: ; @_ZN12_GLOBAL__N_127rocblas_gemm_batched_kernelI19rocblas_complex_numIfELi16ELi16ELi32ELi32ELi8ELi32ELi8ELi8ELi32ELc78ELc67EKS2_S3_S2_EEvlllT_PT11_llS6_llS4_PT12_llPT13_lli
; %bb.0:
	s_clause 0x1
	s_load_dwordx16 s[12:27], s[4:5], 0x10
	s_load_dwordx2 s[10:11], s[4:5], 0x50
	s_mov_b32 s0, s7
	v_mov_b32_e32 v12, 0
	v_mov_b32_e32 v13, 0
	;; [unrolled: 1-line block ×8, first 2 shown]
	s_ashr_i32 s7, s6, 31
	s_ashr_i32 s1, s0, 31
	s_lshl_b64 s[28:29], s[6:7], 5
	s_lshl_b64 s[30:31], s[0:1], 5
	s_waitcnt lgkmcnt(0)
	v_cmp_lt_i64_e64 s2, s[12:13], 1
	s_and_b32 vcc_lo, exec_lo, s2
	s_cbranch_vccnz .LBB105_3
; %bb.1:
	v_lshl_add_u32 v7, v1, 4, v0
	v_and_b32_e32 v10, 7, v0
	v_mov_b32_e32 v6, 0
	s_mul_i32 s1, s21, s8
	s_mul_hi_u32 s2, s20, s8
	v_lshrrev_b32_e32 v9, 3, v7
	v_lshrrev_b32_e32 v11, 5, v7
	v_lshlrev_b32_e32 v13, 3, v10
	v_and_b32_e32 v12, 31, v7
	s_add_i32 s1, s2, s1
	v_add_co_u32 v2, s0, v9, s30
	v_add_co_ci_u32_e64 v3, null, 0, s31, s0
	v_mad_u64_u32 v[4:5], null, s18, v11, s[28:29]
	v_lshl_or_b32 v13, v9, 6, v13
	v_mad_u64_u32 v[2:3], null, s24, v10, v[2:3]
	s_mul_i32 s0, s20, s8
	s_mul_hi_u32 s2, s26, s8
	s_lshl_b64 s[0:1], s[0:1], 3
	v_mad_u64_u32 v[7:8], null, s19, v11, v[5:6]
	s_add_u32 s6, s16, s0
	v_mad_u64_u32 v[8:9], null, s25, v10, v[3:4]
	v_add_co_u32 v4, vcc_lo, v4, v12
	s_mul_i32 s0, s27, s8
	v_add_co_ci_u32_e64 v5, null, 0, v7, vcc_lo
	s_addc_u32 s7, s17, s1
	v_mov_b32_e32 v3, v8
	s_add_i32 s1, s2, s0
	s_mul_i32 s0, s26, s8
	v_lshlrev_b64 v[4:5], 3, v[4:5]
	s_lshl_b64 s[2:3], s[0:1], 3
	v_lshlrev_b64 v[2:3], 3, v[2:3]
	s_lshl_b64 s[0:1], s[18:19], 6
	s_add_u32 s2, s22, s2
	s_addc_u32 s3, s23, s3
	v_lshlrev_b32_e32 v16, 3, v12
	v_lshlrev_b32_e32 v14, 3, v0
	v_add_co_u32 v7, vcc_lo, s2, v2
	v_add_co_ci_u32_e64 v8, null, s3, v3, vcc_lo
	v_add_co_u32 v2, vcc_lo, s6, v4
	v_add_co_ci_u32_e64 v3, null, s7, v5, vcc_lo
	v_add_co_u32 v4, vcc_lo, v7, 4
	v_lshl_add_u32 v15, v1, 6, 0x800
	v_lshl_or_b32 v16, v11, 8, v16
	v_add_nc_u32_e32 v17, 0x800, v13
	v_add_co_ci_u32_e64 v5, null, 0, v8, vcc_lo
	v_mov_b32_e32 v7, 0
	v_mov_b32_e32 v9, 0
	;; [unrolled: 1-line block ×7, first 2 shown]
	s_lshl_b64 s[2:3], s[24:25], 6
	s_mov_b64 s[6:7], 0
.LBB105_2:                              ; =>This Inner Loop Header: Depth=1
	global_load_dwordx2 v[18:19], v[4:5], off offset:-4
	global_load_dwordx2 v[20:21], v[2:3], off
	s_add_u32 s6, s6, 8
	s_addc_u32 s7, s7, 0
	v_add_co_u32 v2, vcc_lo, v2, s0
	v_cmp_lt_i64_e64 s9, s[6:7], s[12:13]
	v_add_co_ci_u32_e64 v3, null, s1, v3, vcc_lo
	v_add_co_u32 v4, vcc_lo, v4, s2
	v_add_co_ci_u32_e64 v5, null, s3, v5, vcc_lo
	s_and_b32 vcc_lo, exec_lo, s9
	s_waitcnt vmcnt(1)
	v_xor_b32_e32 v19, 0x80000000, v19
	s_waitcnt vmcnt(0)
	ds_write_b64 v16, v[20:21]
	ds_write_b64 v17, v[18:19]
	s_waitcnt lgkmcnt(0)
	s_barrier
	buffer_gl0_inv
	ds_read_b128 v[18:21], v15
	ds_read2_b64 v[22:25], v14 offset1:16
	ds_read_b128 v[26:29], v15 offset:1024
	ds_read2_b64 v[30:33], v14 offset0:32 offset1:48
	ds_read_b128 v[34:37], v15 offset:16
	ds_read2_b64 v[38:41], v14 offset0:64 offset1:80
	;; [unrolled: 2-line block ×3, first 2 shown]
	ds_read2_b64 v[50:53], v14 offset0:128 offset1:144
	ds_read2_b64 v[54:57], v14 offset0:160 offset1:176
	ds_read_b128 v[58:61], v15 offset:32
	ds_read_b128 v[62:65], v15 offset:48
	ds_read2_b64 v[66:69], v14 offset0:192 offset1:208
	ds_read_b128 v[70:73], v15 offset:1056
	ds_read_b128 v[74:77], v15 offset:1072
	ds_read2_b64 v[78:81], v14 offset0:224 offset1:240
	s_waitcnt lgkmcnt(0)
	s_barrier
	buffer_gl0_inv
	v_mul_f32_e32 v82, v19, v23
	v_mul_f32_e32 v83, v18, v23
	;; [unrolled: 1-line block ×12, first 2 shown]
	v_fma_f32 v82, v18, v22, -v82
	v_fmac_f32_e32 v83, v19, v22
	v_fma_f32 v18, v18, v24, -v84
	v_fmac_f32_e32 v85, v19, v24
	;; [unrolled: 2-line block ×4, first 2 shown]
	v_mul_f32_e32 v24, v29, v31
	v_mul_f32_e32 v26, v28, v31
	;; [unrolled: 1-line block ×4, first 2 shown]
	v_fma_f32 v33, v20, v30, -v88
	v_fmac_f32_e32 v89, v21, v30
	v_fma_f32 v20, v20, v32, -v90
	v_fmac_f32_e32 v91, v21, v32
	v_mul_f32_e32 v21, v35, v39
	v_mul_f32_e32 v84, v34, v39
	v_mul_f32_e32 v86, v35, v41
	v_mul_f32_e32 v87, v34, v41
	v_fma_f32 v24, v28, v30, -v24
	v_fmac_f32_e32 v26, v29, v30
	v_fma_f32 v27, v28, v32, -v27
	v_fmac_f32_e32 v31, v29, v32
	v_mul_f32_e32 v28, v43, v39
	v_mul_f32_e32 v29, v42, v39
	v_mul_f32_e32 v30, v43, v41
	v_mul_f32_e32 v32, v42, v41
	v_add_f32_e32 v12, v12, v82
	v_add_f32_e32 v13, v13, v83
	v_add_f32_e32 v10, v10, v18
	v_add_f32_e32 v11, v11, v85
	v_add_f32_e32 v8, v8, v19
	v_add_f32_e32 v9, v9, v23
	v_add_f32_e32 v7, v7, v22
	v_add_f32_e32 v6, v6, v25
	v_mul_f32_e32 v39, v37, v47
	v_mul_f32_e32 v41, v36, v47
	v_mul_f32_e32 v88, v37, v49
	v_mul_f32_e32 v90, v36, v49
	v_fma_f32 v21, v34, v38, -v21
	v_fmac_f32_e32 v84, v35, v38
	v_fma_f32 v34, v34, v40, -v86
	v_fmac_f32_e32 v87, v35, v40
	v_fma_f32 v28, v42, v38, -v28
	v_fmac_f32_e32 v29, v43, v38
	v_fma_f32 v30, v42, v40, -v30
	v_fmac_f32_e32 v32, v43, v40
	v_mul_f32_e32 v35, v45, v47
	v_mul_f32_e32 v38, v44, v47
	v_mul_f32_e32 v40, v45, v49
	v_mul_f32_e32 v42, v44, v49
	v_add_f32_e32 v12, v12, v33
	v_add_f32_e32 v13, v13, v89
	v_add_f32_e32 v10, v10, v20
	v_add_f32_e32 v11, v11, v91
	v_add_f32_e32 v8, v8, v24
	v_add_f32_e32 v9, v9, v26
	v_add_f32_e32 v7, v7, v27
	v_add_f32_e32 v6, v6, v31
	v_fma_f32 v39, v36, v46, -v39
	v_fmac_f32_e32 v41, v37, v46
	v_fma_f32 v36, v36, v48, -v88
	v_fmac_f32_e32 v90, v37, v48
	v_mul_f32_e32 v37, v59, v51
	v_mul_f32_e32 v43, v58, v51
	v_mul_f32_e32 v47, v59, v53
	v_mul_f32_e32 v49, v58, v53
	v_fma_f32 v35, v44, v46, -v35
	v_fmac_f32_e32 v38, v45, v46
	v_fma_f32 v40, v44, v48, -v40
	v_fmac_f32_e32 v42, v45, v48
	v_mul_f32_e32 v44, v71, v51
	v_mul_f32_e32 v45, v70, v51
	v_mul_f32_e32 v46, v71, v53
	v_mul_f32_e32 v48, v70, v53
	v_add_f32_e32 v12, v12, v21
	v_add_f32_e32 v13, v13, v84
	v_add_f32_e32 v10, v10, v34
	v_add_f32_e32 v11, v11, v87
	v_add_f32_e32 v8, v8, v28
	v_add_f32_e32 v9, v9, v29
	v_add_f32_e32 v7, v7, v30
	v_add_f32_e32 v6, v6, v32
	v_mul_f32_e32 v51, v61, v55
	v_mul_f32_e32 v53, v60, v55
	v_mul_f32_e32 v86, v61, v57
	v_mul_f32_e32 v88, v60, v57
	v_fma_f32 v37, v58, v50, -v37
	v_fmac_f32_e32 v43, v59, v50
	v_fma_f32 v47, v58, v52, -v47
	v_fmac_f32_e32 v49, v59, v52
	v_fma_f32 v44, v70, v50, -v44
	v_fmac_f32_e32 v45, v71, v50
	v_fma_f32 v46, v70, v52, -v46
	v_fmac_f32_e32 v48, v71, v52
	v_mul_f32_e32 v50, v73, v55
	v_mul_f32_e32 v52, v72, v55
	v_mul_f32_e32 v55, v73, v57
	v_mul_f32_e32 v57, v72, v57
	v_add_f32_e32 v12, v12, v39
	v_add_f32_e32 v13, v13, v41
	v_add_f32_e32 v10, v10, v36
	v_add_f32_e32 v11, v11, v90
	v_add_f32_e32 v8, v8, v35
	v_add_f32_e32 v9, v9, v38
	v_add_f32_e32 v7, v7, v40
	v_add_f32_e32 v6, v6, v42
	;; [unrolled: 48-line block ×3, first 2 shown]
	v_fma_f32 v71, v64, v78, -v71
	v_fmac_f32_e32 v72, v65, v78
	v_fma_f32 v64, v64, v80, -v73
	v_fmac_f32_e32 v86, v65, v80
	;; [unrolled: 2-line block ×4, first 2 shown]
	v_add_f32_e32 v12, v12, v59
	v_add_f32_e32 v13, v13, v60
	;; [unrolled: 1-line block ×16, first 2 shown]
	s_cbranch_vccnz .LBB105_2
.LBB105_3:
	s_clause 0x1
	s_load_dwordx4 s[16:19], s[4:5], 0x78
	s_load_dwordx8 s[0:7], s[4:5], 0x58
	s_waitcnt lgkmcnt(0)
	s_mul_i32 s9, s19, s8
	s_mul_hi_u32 s13, s18, s8
	s_mul_i32 s12, s18, s8
	s_add_i32 s13, s13, s9
	s_lshl_b64 s[12:13], s[12:13], 3
	s_add_u32 s6, s6, s12
	v_add_co_u32 v4, s12, s30, v1
	v_add_co_ci_u32_e64 v5, null, s31, 0, s12
	v_add_co_u32 v0, s12, s28, v0
	s_addc_u32 s7, s7, s13
	s_or_b32 s9, s10, s11
	v_add_co_ci_u32_e64 v1, null, s29, 0, s12
	s_bitset0_b32 s9, 31
	s_cmp_lg_u32 s9, 0
	s_mov_b32 s9, 0
	s_cbranch_scc1 .LBB105_5
; %bb.4:
	v_mul_lo_u32 v14, v5, s16
	v_mul_lo_u32 v15, v4, s17
	v_mad_u64_u32 v[2:3], null, v4, s16, 0
	v_lshlrev_b64 v[17:18], 3, v[0:1]
	s_lshl_b64 s[12:13], s[16:17], 7
	v_mul_f32_e32 v19, s15, v13
	v_mul_f32_e32 v16, s14, v13
	;; [unrolled: 1-line block ×4, first 2 shown]
	v_add3_u32 v3, v3, v15, v14
	v_mul_f32_e32 v14, s15, v11
	v_fma_f32 v15, v12, s14, -v19
	v_mul_f32_e32 v24, s14, v9
	v_mul_f32_e32 v25, s15, v6
	v_lshlrev_b64 v[2:3], 3, v[2:3]
	v_fma_f32 v19, v10, s14, -v14
	v_mul_f32_e32 v14, s14, v6
	v_fmac_f32_e32 v16, s15, v12
	v_fmac_f32_e32 v20, s15, v10
	v_fma_f32 v23, v8, s14, -v23
	v_add_co_u32 v2, vcc_lo, s6, v2
	v_add_co_ci_u32_e64 v3, null, s7, v3, vcc_lo
	v_fmac_f32_e32 v14, s15, v7
	v_add_co_u32 v21, vcc_lo, v2, v17
	v_add_co_ci_u32_e64 v22, null, v3, v18, vcc_lo
	v_add_co_u32 v2, vcc_lo, v2, s12
	v_add_co_ci_u32_e64 v3, null, s13, v3, vcc_lo
	v_fmac_f32_e32 v24, s15, v8
	v_add_co_u32 v17, vcc_lo, v2, v17
	v_add_co_ci_u32_e64 v18, null, v3, v18, vcc_lo
	v_fma_f32 v25, v7, s14, -v25
	v_add_co_u32 v2, vcc_lo, 0x80, v17
	v_add_co_ci_u32_e64 v3, null, 0, v18, vcc_lo
	global_store_dwordx2 v[21:22], v[15:16], off
	global_store_dwordx2 v[21:22], v[19:20], off offset:128
	global_store_dwordx2 v[17:18], v[23:24], off
	global_store_dword v[17:18], v25, off offset:128
	s_andn2_b32 vcc_lo, exec_lo, s9
	s_cbranch_vccz .LBB105_6
	s_branch .LBB105_7
.LBB105_5:
                                        ; implicit-def: $vgpr14
                                        ; implicit-def: $vgpr2_vgpr3
.LBB105_6:
	v_mul_lo_u32 v14, v5, s2
	v_mul_lo_u32 v15, v4, s3
	v_mad_u64_u32 v[2:3], null, v4, s2, 0
	s_mul_i32 s5, s5, s8
	s_mul_hi_u32 s9, s4, s8
	s_mul_i32 s4, s4, s8
	s_add_i32 s5, s9, s5
	v_lshlrev_b64 v[0:1], 3, v[0:1]
	s_lshl_b64 s[4:5], s[4:5], 3
	v_add3_u32 v3, v3, v15, v14
	s_add_u32 s0, s0, s4
	s_addc_u32 s1, s1, s5
	v_mul_lo_u32 v18, v5, s16
	v_mul_lo_u32 v19, v4, s17
	v_lshlrev_b64 v[2:3], 3, v[2:3]
	v_mad_u64_u32 v[4:5], null, v4, s16, 0
	v_add_co_u32 v16, vcc_lo, s0, v2
	v_add_co_ci_u32_e64 v17, null, s1, v3, vcc_lo
	v_add3_u32 v5, v5, v19, v18
	v_add_co_u32 v2, vcc_lo, v16, v0
	v_add_co_ci_u32_e64 v3, null, v17, v1, vcc_lo
	v_mul_f32_e32 v18, s15, v13
	v_mul_f32_e32 v13, s14, v13
	v_lshlrev_b64 v[4:5], 3, v[4:5]
	global_load_dwordx2 v[14:15], v[2:3], off
	s_lshl_b64 s[0:1], s[2:3], 7
	v_fma_f32 v18, v12, s14, -v18
	v_fmac_f32_e32 v13, s15, v12
	v_add_co_u32 v19, vcc_lo, s6, v4
	v_add_co_ci_u32_e64 v20, null, s7, v5, vcc_lo
	v_add_co_u32 v4, vcc_lo, v19, v0
	v_add_co_ci_u32_e64 v5, null, v20, v1, vcc_lo
	s_waitcnt vmcnt(0)
	v_mul_f32_e32 v12, s11, v15
	v_mul_f32_e32 v15, s10, v15
	v_fma_f32 v12, v14, s10, -v12
	v_fmac_f32_e32 v15, s11, v14
	v_add_f32_e32 v12, v18, v12
	v_add_f32_e32 v13, v13, v15
	global_store_dwordx2 v[4:5], v[12:13], off
	global_load_dwordx2 v[2:3], v[2:3], off offset:128
	v_mul_f32_e32 v12, s15, v11
	v_mul_f32_e32 v11, s14, v11
	v_fma_f32 v12, v10, s14, -v12
	v_fmac_f32_e32 v11, s15, v10
	s_waitcnt vmcnt(0)
	v_mul_f32_e32 v13, s11, v3
	v_mul_f32_e32 v3, s10, v3
	v_fma_f32 v10, v2, s10, -v13
	v_add_co_u32 v13, vcc_lo, v16, s0
	v_fmac_f32_e32 v3, s11, v2
	v_add_co_ci_u32_e64 v14, null, s1, v17, vcc_lo
	v_add_f32_e32 v2, v12, v10
	v_add_co_u32 v10, vcc_lo, v13, v0
	v_add_f32_e32 v3, v11, v3
	v_add_co_ci_u32_e64 v11, null, v14, v1, vcc_lo
	s_lshl_b64 s[0:1], s[16:17], 7
	global_store_dwordx2 v[4:5], v[2:3], off offset:128
	global_load_dwordx2 v[2:3], v[10:11], off
	v_mul_f32_e32 v4, s15, v9
	v_mul_f32_e32 v5, s14, v9
	v_add_co_u32 v9, vcc_lo, v19, s0
	v_add_co_ci_u32_e64 v12, null, s1, v20, vcc_lo
	v_fma_f32 v4, v8, s14, -v4
	v_fmac_f32_e32 v5, s15, v8
	v_add_co_u32 v0, vcc_lo, v9, v0
	v_add_co_ci_u32_e64 v1, null, v12, v1, vcc_lo
	s_waitcnt vmcnt(0)
	v_mul_f32_e32 v8, s11, v3
	v_mul_f32_e32 v3, s10, v3
	v_fma_f32 v8, v2, s10, -v8
	v_fmac_f32_e32 v3, s11, v2
	v_add_f32_e32 v2, v4, v8
	v_add_f32_e32 v3, v5, v3
	v_mul_f32_e32 v4, s15, v6
	v_mul_f32_e32 v5, s14, v6
	global_store_dwordx2 v[0:1], v[2:3], off
	global_load_dwordx2 v[2:3], v[10:11], off offset:128
	v_fma_f32 v4, v7, s14, -v4
	v_fmac_f32_e32 v5, s15, v7
	s_waitcnt vmcnt(0)
	v_mul_f32_e32 v6, s11, v3
	v_mul_f32_e32 v3, s10, v3
	v_fma_f32 v6, v2, s10, -v6
	v_fmac_f32_e32 v3, s11, v2
	v_add_co_u32 v2, vcc_lo, 0x80, v0
	v_add_f32_e32 v4, v4, v6
	v_add_f32_e32 v14, v5, v3
	v_add_co_ci_u32_e64 v3, null, 0, v1, vcc_lo
	global_store_dword v[0:1], v4, off offset:128
.LBB105_7:
	global_store_dword v[2:3], v14, off offset:4
	s_endpgm
	.section	.rodata,"a",@progbits
	.p2align	6, 0x0
	.amdhsa_kernel _ZN12_GLOBAL__N_127rocblas_gemm_batched_kernelI19rocblas_complex_numIfELi16ELi16ELi32ELi32ELi8ELi32ELi8ELi8ELi32ELc78ELc67EKS2_S3_S2_EEvlllT_PT11_llS6_llS4_PT12_llPT13_lli
		.amdhsa_group_segment_fixed_size 4096
		.amdhsa_private_segment_fixed_size 0
		.amdhsa_kernarg_size 140
		.amdhsa_user_sgpr_count 6
		.amdhsa_user_sgpr_private_segment_buffer 1
		.amdhsa_user_sgpr_dispatch_ptr 0
		.amdhsa_user_sgpr_queue_ptr 0
		.amdhsa_user_sgpr_kernarg_segment_ptr 1
		.amdhsa_user_sgpr_dispatch_id 0
		.amdhsa_user_sgpr_flat_scratch_init 0
		.amdhsa_user_sgpr_private_segment_size 0
		.amdhsa_wavefront_size32 1
		.amdhsa_uses_dynamic_stack 0
		.amdhsa_system_sgpr_private_segment_wavefront_offset 0
		.amdhsa_system_sgpr_workgroup_id_x 1
		.amdhsa_system_sgpr_workgroup_id_y 1
		.amdhsa_system_sgpr_workgroup_id_z 1
		.amdhsa_system_sgpr_workgroup_info 0
		.amdhsa_system_vgpr_workitem_id 1
		.amdhsa_next_free_vgpr 92
		.amdhsa_next_free_sgpr 32
		.amdhsa_reserve_vcc 1
		.amdhsa_reserve_flat_scratch 0
		.amdhsa_float_round_mode_32 0
		.amdhsa_float_round_mode_16_64 0
		.amdhsa_float_denorm_mode_32 3
		.amdhsa_float_denorm_mode_16_64 3
		.amdhsa_dx10_clamp 1
		.amdhsa_ieee_mode 1
		.amdhsa_fp16_overflow 0
		.amdhsa_workgroup_processor_mode 1
		.amdhsa_memory_ordered 1
		.amdhsa_forward_progress 1
		.amdhsa_shared_vgpr_count 0
		.amdhsa_exception_fp_ieee_invalid_op 0
		.amdhsa_exception_fp_denorm_src 0
		.amdhsa_exception_fp_ieee_div_zero 0
		.amdhsa_exception_fp_ieee_overflow 0
		.amdhsa_exception_fp_ieee_underflow 0
		.amdhsa_exception_fp_ieee_inexact 0
		.amdhsa_exception_int_div_zero 0
	.end_amdhsa_kernel
	.section	.text._ZN12_GLOBAL__N_127rocblas_gemm_batched_kernelI19rocblas_complex_numIfELi16ELi16ELi32ELi32ELi8ELi32ELi8ELi8ELi32ELc78ELc67EKS2_S3_S2_EEvlllT_PT11_llS6_llS4_PT12_llPT13_lli,"axG",@progbits,_ZN12_GLOBAL__N_127rocblas_gemm_batched_kernelI19rocblas_complex_numIfELi16ELi16ELi32ELi32ELi8ELi32ELi8ELi8ELi32ELc78ELc67EKS2_S3_S2_EEvlllT_PT11_llS6_llS4_PT12_llPT13_lli,comdat
.Lfunc_end105:
	.size	_ZN12_GLOBAL__N_127rocblas_gemm_batched_kernelI19rocblas_complex_numIfELi16ELi16ELi32ELi32ELi8ELi32ELi8ELi8ELi32ELc78ELc67EKS2_S3_S2_EEvlllT_PT11_llS6_llS4_PT12_llPT13_lli, .Lfunc_end105-_ZN12_GLOBAL__N_127rocblas_gemm_batched_kernelI19rocblas_complex_numIfELi16ELi16ELi32ELi32ELi8ELi32ELi8ELi8ELi32ELc78ELc67EKS2_S3_S2_EEvlllT_PT11_llS6_llS4_PT12_llPT13_lli
                                        ; -- End function
	.set _ZN12_GLOBAL__N_127rocblas_gemm_batched_kernelI19rocblas_complex_numIfELi16ELi16ELi32ELi32ELi8ELi32ELi8ELi8ELi32ELc78ELc67EKS2_S3_S2_EEvlllT_PT11_llS6_llS4_PT12_llPT13_lli.num_vgpr, 92
	.set _ZN12_GLOBAL__N_127rocblas_gemm_batched_kernelI19rocblas_complex_numIfELi16ELi16ELi32ELi32ELi8ELi32ELi8ELi8ELi32ELc78ELc67EKS2_S3_S2_EEvlllT_PT11_llS6_llS4_PT12_llPT13_lli.num_agpr, 0
	.set _ZN12_GLOBAL__N_127rocblas_gemm_batched_kernelI19rocblas_complex_numIfELi16ELi16ELi32ELi32ELi8ELi32ELi8ELi8ELi32ELc78ELc67EKS2_S3_S2_EEvlllT_PT11_llS6_llS4_PT12_llPT13_lli.numbered_sgpr, 32
	.set _ZN12_GLOBAL__N_127rocblas_gemm_batched_kernelI19rocblas_complex_numIfELi16ELi16ELi32ELi32ELi8ELi32ELi8ELi8ELi32ELc78ELc67EKS2_S3_S2_EEvlllT_PT11_llS6_llS4_PT12_llPT13_lli.num_named_barrier, 0
	.set _ZN12_GLOBAL__N_127rocblas_gemm_batched_kernelI19rocblas_complex_numIfELi16ELi16ELi32ELi32ELi8ELi32ELi8ELi8ELi32ELc78ELc67EKS2_S3_S2_EEvlllT_PT11_llS6_llS4_PT12_llPT13_lli.private_seg_size, 0
	.set _ZN12_GLOBAL__N_127rocblas_gemm_batched_kernelI19rocblas_complex_numIfELi16ELi16ELi32ELi32ELi8ELi32ELi8ELi8ELi32ELc78ELc67EKS2_S3_S2_EEvlllT_PT11_llS6_llS4_PT12_llPT13_lli.uses_vcc, 1
	.set _ZN12_GLOBAL__N_127rocblas_gemm_batched_kernelI19rocblas_complex_numIfELi16ELi16ELi32ELi32ELi8ELi32ELi8ELi8ELi32ELc78ELc67EKS2_S3_S2_EEvlllT_PT11_llS6_llS4_PT12_llPT13_lli.uses_flat_scratch, 0
	.set _ZN12_GLOBAL__N_127rocblas_gemm_batched_kernelI19rocblas_complex_numIfELi16ELi16ELi32ELi32ELi8ELi32ELi8ELi8ELi32ELc78ELc67EKS2_S3_S2_EEvlllT_PT11_llS6_llS4_PT12_llPT13_lli.has_dyn_sized_stack, 0
	.set _ZN12_GLOBAL__N_127rocblas_gemm_batched_kernelI19rocblas_complex_numIfELi16ELi16ELi32ELi32ELi8ELi32ELi8ELi8ELi32ELc78ELc67EKS2_S3_S2_EEvlllT_PT11_llS6_llS4_PT12_llPT13_lli.has_recursion, 0
	.set _ZN12_GLOBAL__N_127rocblas_gemm_batched_kernelI19rocblas_complex_numIfELi16ELi16ELi32ELi32ELi8ELi32ELi8ELi8ELi32ELc78ELc67EKS2_S3_S2_EEvlllT_PT11_llS6_llS4_PT12_llPT13_lli.has_indirect_call, 0
	.section	.AMDGPU.csdata,"",@progbits
; Kernel info:
; codeLenInByte = 2476
; TotalNumSgprs: 34
; NumVgprs: 92
; ScratchSize: 0
; MemoryBound: 0
; FloatMode: 240
; IeeeMode: 1
; LDSByteSize: 4096 bytes/workgroup (compile time only)
; SGPRBlocks: 0
; VGPRBlocks: 11
; NumSGPRsForWavesPerEU: 34
; NumVGPRsForWavesPerEU: 92
; Occupancy: 10
; WaveLimiterHint : 1
; COMPUTE_PGM_RSRC2:SCRATCH_EN: 0
; COMPUTE_PGM_RSRC2:USER_SGPR: 6
; COMPUTE_PGM_RSRC2:TRAP_HANDLER: 0
; COMPUTE_PGM_RSRC2:TGID_X_EN: 1
; COMPUTE_PGM_RSRC2:TGID_Y_EN: 1
; COMPUTE_PGM_RSRC2:TGID_Z_EN: 1
; COMPUTE_PGM_RSRC2:TIDIG_COMP_CNT: 1
	.section	.text._ZN12_GLOBAL__N_127rocblas_gemm_batched_kernelI19rocblas_complex_numIfELi16ELi16ELi32ELi32ELi8ELi32ELi8ELi8ELi32ELc84ELc67EKS2_S3_S2_EEvlllT_PT11_llS6_llS4_PT12_llPT13_lli,"axG",@progbits,_ZN12_GLOBAL__N_127rocblas_gemm_batched_kernelI19rocblas_complex_numIfELi16ELi16ELi32ELi32ELi8ELi32ELi8ELi8ELi32ELc84ELc67EKS2_S3_S2_EEvlllT_PT11_llS6_llS4_PT12_llPT13_lli,comdat
	.globl	_ZN12_GLOBAL__N_127rocblas_gemm_batched_kernelI19rocblas_complex_numIfELi16ELi16ELi32ELi32ELi8ELi32ELi8ELi8ELi32ELc84ELc67EKS2_S3_S2_EEvlllT_PT11_llS6_llS4_PT12_llPT13_lli ; -- Begin function _ZN12_GLOBAL__N_127rocblas_gemm_batched_kernelI19rocblas_complex_numIfELi16ELi16ELi32ELi32ELi8ELi32ELi8ELi8ELi32ELc84ELc67EKS2_S3_S2_EEvlllT_PT11_llS6_llS4_PT12_llPT13_lli
	.p2align	8
	.type	_ZN12_GLOBAL__N_127rocblas_gemm_batched_kernelI19rocblas_complex_numIfELi16ELi16ELi32ELi32ELi8ELi32ELi8ELi8ELi32ELc84ELc67EKS2_S3_S2_EEvlllT_PT11_llS6_llS4_PT12_llPT13_lli,@function
_ZN12_GLOBAL__N_127rocblas_gemm_batched_kernelI19rocblas_complex_numIfELi16ELi16ELi32ELi32ELi8ELi32ELi8ELi8ELi32ELc84ELc67EKS2_S3_S2_EEvlllT_PT11_llS6_llS4_PT12_llPT13_lli: ; @_ZN12_GLOBAL__N_127rocblas_gemm_batched_kernelI19rocblas_complex_numIfELi16ELi16ELi32ELi32ELi8ELi32ELi8ELi8ELi32ELc84ELc67EKS2_S3_S2_EEvlllT_PT11_llS6_llS4_PT12_llPT13_lli
; %bb.0:
	s_clause 0x1
	s_load_dwordx16 s[12:27], s[4:5], 0x10
	s_load_dwordx2 s[10:11], s[4:5], 0x50
	s_mov_b32 s0, s7
	v_mov_b32_e32 v12, 0
	v_mov_b32_e32 v13, 0
	;; [unrolled: 1-line block ×8, first 2 shown]
	s_ashr_i32 s7, s6, 31
	s_ashr_i32 s1, s0, 31
	s_lshl_b64 s[28:29], s[6:7], 5
	s_lshl_b64 s[30:31], s[0:1], 5
	s_waitcnt lgkmcnt(0)
	v_cmp_lt_i64_e64 s2, s[12:13], 1
	s_and_b32 vcc_lo, exec_lo, s2
	s_cbranch_vccnz .LBB106_3
; %bb.1:
	v_lshl_add_u32 v7, v1, 4, v0
	v_and_b32_e32 v8, 7, v0
	s_mul_i32 s1, s21, s8
	s_mul_hi_u32 s2, s20, s8
	s_mul_hi_u32 s3, s26, s8
	v_lshrrev_b32_e32 v9, 3, v7
	v_and_b32_e32 v10, 31, v7
	v_lshlrev_b32_e32 v13, 3, v8
	v_lshrrev_b32_e32 v18, 5, v7
	s_add_i32 s1, s2, s1
	v_add_co_u32 v2, s0, v9, s30
	v_add_co_ci_u32_e64 v3, null, 0, s31, s0
	v_add_co_u32 v4, s0, s28, v10
	v_add_co_ci_u32_e64 v5, null, s29, 0, s0
	v_mad_u64_u32 v[2:3], null, s24, v8, v[2:3]
	v_mul_lo_u32 v11, s19, v4
	v_mul_lo_u32 v12, s18, v5
	v_mad_u64_u32 v[4:5], null, s18, v4, 0
	s_mul_i32 s0, s20, s8
	s_mul_i32 s2, s27, s8
	s_lshl_b64 s[0:1], s[0:1], 3
	s_add_i32 s3, s3, s2
	s_mul_i32 s2, s26, s8
	v_lshlrev_b32_e32 v10, 3, v10
	v_mad_u64_u32 v[7:8], null, s25, v8, v[3:4]
	v_add3_u32 v5, v5, v12, v11
	v_lshl_or_b32 v3, v9, 6, v13
	v_mov_b32_e32 v6, 0
	v_lshlrev_b32_e32 v14, 3, v0
	v_lshl_add_u32 v15, v1, 6, 0x800
	v_lshlrev_b64 v[4:5], 3, v[4:5]
	v_add_nc_u32_e32 v17, 0x800, v3
	v_mov_b32_e32 v3, v7
	v_lshlrev_b32_e32 v7, 3, v18
	v_lshl_or_b32 v16, v18, 8, v10
	v_mov_b32_e32 v9, 0
	v_add_co_u32 v4, vcc_lo, v4, s0
	v_lshlrev_b64 v[2:3], 3, v[2:3]
	v_add_co_ci_u32_e64 v5, null, s1, v5, vcc_lo
	s_lshl_b64 s[0:1], s[2:3], 3
	v_add_co_u32 v4, vcc_lo, v4, v7
	s_add_u32 s0, s22, s0
	v_add_co_ci_u32_e64 v5, null, 0, v5, vcc_lo
	s_addc_u32 s1, s23, s1
	v_add_co_u32 v7, vcc_lo, s0, v2
	v_add_co_ci_u32_e64 v8, null, s1, v3, vcc_lo
	v_add_co_u32 v2, vcc_lo, s16, v4
	v_add_co_ci_u32_e64 v3, null, s17, v5, vcc_lo
	;; [unrolled: 2-line block ×3, first 2 shown]
	v_mov_b32_e32 v7, 0
	v_mov_b32_e32 v8, 0
	;; [unrolled: 1-line block ×6, first 2 shown]
	s_lshl_b64 s[0:1], s[24:25], 6
	s_mov_b64 s[2:3], 0
.LBB106_2:                              ; =>This Inner Loop Header: Depth=1
	global_load_dwordx2 v[18:19], v[4:5], off offset:-4
	global_load_dwordx2 v[20:21], v[2:3], off
	s_add_u32 s2, s2, 8
	s_addc_u32 s3, s3, 0
	v_add_co_u32 v2, vcc_lo, v2, 64
	v_cmp_lt_i64_e64 s6, s[2:3], s[12:13]
	v_add_co_ci_u32_e64 v3, null, 0, v3, vcc_lo
	v_add_co_u32 v4, vcc_lo, v4, s0
	v_add_co_ci_u32_e64 v5, null, s1, v5, vcc_lo
	s_and_b32 vcc_lo, exec_lo, s6
	s_waitcnt vmcnt(1)
	v_xor_b32_e32 v19, 0x80000000, v19
	s_waitcnt vmcnt(0)
	ds_write_b64 v16, v[20:21]
	ds_write_b64 v17, v[18:19]
	s_waitcnt lgkmcnt(0)
	s_barrier
	buffer_gl0_inv
	ds_read_b128 v[18:21], v15
	ds_read2_b64 v[22:25], v14 offset1:16
	ds_read_b128 v[26:29], v15 offset:1024
	ds_read2_b64 v[30:33], v14 offset0:32 offset1:48
	ds_read_b128 v[34:37], v15 offset:16
	ds_read2_b64 v[38:41], v14 offset0:64 offset1:80
	;; [unrolled: 2-line block ×3, first 2 shown]
	ds_read2_b64 v[50:53], v14 offset0:128 offset1:144
	ds_read2_b64 v[54:57], v14 offset0:160 offset1:176
	ds_read_b128 v[58:61], v15 offset:32
	ds_read_b128 v[62:65], v15 offset:48
	ds_read2_b64 v[66:69], v14 offset0:192 offset1:208
	ds_read_b128 v[70:73], v15 offset:1056
	ds_read_b128 v[74:77], v15 offset:1072
	ds_read2_b64 v[78:81], v14 offset0:224 offset1:240
	s_waitcnt lgkmcnt(0)
	s_barrier
	buffer_gl0_inv
	v_mul_f32_e32 v82, v19, v23
	v_mul_f32_e32 v83, v18, v23
	;; [unrolled: 1-line block ×12, first 2 shown]
	v_fma_f32 v82, v18, v22, -v82
	v_fmac_f32_e32 v83, v19, v22
	v_fma_f32 v18, v18, v24, -v84
	v_fmac_f32_e32 v85, v19, v24
	;; [unrolled: 2-line block ×4, first 2 shown]
	v_mul_f32_e32 v24, v29, v31
	v_mul_f32_e32 v26, v28, v31
	;; [unrolled: 1-line block ×4, first 2 shown]
	v_fma_f32 v33, v20, v30, -v88
	v_fmac_f32_e32 v89, v21, v30
	v_fma_f32 v20, v20, v32, -v90
	v_fmac_f32_e32 v91, v21, v32
	v_mul_f32_e32 v21, v35, v39
	v_mul_f32_e32 v84, v34, v39
	v_mul_f32_e32 v86, v35, v41
	v_mul_f32_e32 v87, v34, v41
	v_fma_f32 v24, v28, v30, -v24
	v_fmac_f32_e32 v26, v29, v30
	v_fma_f32 v27, v28, v32, -v27
	v_fmac_f32_e32 v31, v29, v32
	v_mul_f32_e32 v28, v43, v39
	v_mul_f32_e32 v29, v42, v39
	v_mul_f32_e32 v30, v43, v41
	v_mul_f32_e32 v32, v42, v41
	v_add_f32_e32 v12, v12, v82
	v_add_f32_e32 v13, v13, v83
	v_add_f32_e32 v10, v10, v18
	v_add_f32_e32 v11, v11, v85
	v_add_f32_e32 v8, v8, v19
	v_add_f32_e32 v9, v9, v23
	v_add_f32_e32 v7, v7, v22
	v_add_f32_e32 v6, v6, v25
	v_mul_f32_e32 v39, v37, v47
	v_mul_f32_e32 v41, v36, v47
	v_mul_f32_e32 v88, v37, v49
	v_mul_f32_e32 v90, v36, v49
	v_fma_f32 v21, v34, v38, -v21
	v_fmac_f32_e32 v84, v35, v38
	v_fma_f32 v34, v34, v40, -v86
	v_fmac_f32_e32 v87, v35, v40
	v_fma_f32 v28, v42, v38, -v28
	v_fmac_f32_e32 v29, v43, v38
	v_fma_f32 v30, v42, v40, -v30
	v_fmac_f32_e32 v32, v43, v40
	v_mul_f32_e32 v35, v45, v47
	v_mul_f32_e32 v38, v44, v47
	v_mul_f32_e32 v40, v45, v49
	v_mul_f32_e32 v42, v44, v49
	v_add_f32_e32 v12, v12, v33
	v_add_f32_e32 v13, v13, v89
	v_add_f32_e32 v10, v10, v20
	v_add_f32_e32 v11, v11, v91
	v_add_f32_e32 v8, v8, v24
	v_add_f32_e32 v9, v9, v26
	v_add_f32_e32 v7, v7, v27
	v_add_f32_e32 v6, v6, v31
	v_fma_f32 v39, v36, v46, -v39
	v_fmac_f32_e32 v41, v37, v46
	v_fma_f32 v36, v36, v48, -v88
	v_fmac_f32_e32 v90, v37, v48
	v_mul_f32_e32 v37, v59, v51
	v_mul_f32_e32 v43, v58, v51
	v_mul_f32_e32 v47, v59, v53
	v_mul_f32_e32 v49, v58, v53
	v_fma_f32 v35, v44, v46, -v35
	v_fmac_f32_e32 v38, v45, v46
	v_fma_f32 v40, v44, v48, -v40
	v_fmac_f32_e32 v42, v45, v48
	v_mul_f32_e32 v44, v71, v51
	v_mul_f32_e32 v45, v70, v51
	v_mul_f32_e32 v46, v71, v53
	v_mul_f32_e32 v48, v70, v53
	v_add_f32_e32 v12, v12, v21
	v_add_f32_e32 v13, v13, v84
	v_add_f32_e32 v10, v10, v34
	v_add_f32_e32 v11, v11, v87
	v_add_f32_e32 v8, v8, v28
	v_add_f32_e32 v9, v9, v29
	v_add_f32_e32 v7, v7, v30
	v_add_f32_e32 v6, v6, v32
	v_mul_f32_e32 v51, v61, v55
	v_mul_f32_e32 v53, v60, v55
	v_mul_f32_e32 v86, v61, v57
	v_mul_f32_e32 v88, v60, v57
	v_fma_f32 v37, v58, v50, -v37
	v_fmac_f32_e32 v43, v59, v50
	v_fma_f32 v47, v58, v52, -v47
	v_fmac_f32_e32 v49, v59, v52
	v_fma_f32 v44, v70, v50, -v44
	v_fmac_f32_e32 v45, v71, v50
	v_fma_f32 v46, v70, v52, -v46
	v_fmac_f32_e32 v48, v71, v52
	v_mul_f32_e32 v50, v73, v55
	v_mul_f32_e32 v52, v72, v55
	v_mul_f32_e32 v55, v73, v57
	v_mul_f32_e32 v57, v72, v57
	v_add_f32_e32 v12, v12, v39
	v_add_f32_e32 v13, v13, v41
	v_add_f32_e32 v10, v10, v36
	v_add_f32_e32 v11, v11, v90
	v_add_f32_e32 v8, v8, v35
	v_add_f32_e32 v9, v9, v38
	v_add_f32_e32 v7, v7, v40
	v_add_f32_e32 v6, v6, v42
	;; [unrolled: 48-line block ×3, first 2 shown]
	v_fma_f32 v71, v64, v78, -v71
	v_fmac_f32_e32 v72, v65, v78
	v_fma_f32 v64, v64, v80, -v73
	v_fmac_f32_e32 v86, v65, v80
	;; [unrolled: 2-line block ×4, first 2 shown]
	v_add_f32_e32 v12, v12, v59
	v_add_f32_e32 v13, v13, v60
	;; [unrolled: 1-line block ×16, first 2 shown]
	s_cbranch_vccnz .LBB106_2
.LBB106_3:
	s_clause 0x1
	s_load_dwordx4 s[16:19], s[4:5], 0x78
	s_load_dwordx8 s[0:7], s[4:5], 0x58
	s_waitcnt lgkmcnt(0)
	s_mul_i32 s9, s19, s8
	s_mul_hi_u32 s13, s18, s8
	s_mul_i32 s12, s18, s8
	s_add_i32 s13, s13, s9
	s_lshl_b64 s[12:13], s[12:13], 3
	s_add_u32 s6, s6, s12
	v_add_co_u32 v4, s12, s30, v1
	v_add_co_ci_u32_e64 v5, null, s31, 0, s12
	v_add_co_u32 v0, s12, s28, v0
	s_addc_u32 s7, s7, s13
	s_or_b32 s9, s10, s11
	v_add_co_ci_u32_e64 v1, null, s29, 0, s12
	s_bitset0_b32 s9, 31
	s_cmp_lg_u32 s9, 0
	s_mov_b32 s9, 0
	s_cbranch_scc1 .LBB106_5
; %bb.4:
	v_mul_lo_u32 v14, v5, s16
	v_mul_lo_u32 v15, v4, s17
	v_mad_u64_u32 v[2:3], null, v4, s16, 0
	v_lshlrev_b64 v[17:18], 3, v[0:1]
	s_lshl_b64 s[12:13], s[16:17], 7
	v_mul_f32_e32 v19, s15, v13
	v_mul_f32_e32 v16, s14, v13
	;; [unrolled: 1-line block ×4, first 2 shown]
	v_add3_u32 v3, v3, v15, v14
	v_mul_f32_e32 v14, s15, v11
	v_fma_f32 v15, v12, s14, -v19
	v_mul_f32_e32 v24, s14, v9
	v_mul_f32_e32 v25, s15, v6
	v_lshlrev_b64 v[2:3], 3, v[2:3]
	v_fma_f32 v19, v10, s14, -v14
	v_mul_f32_e32 v14, s14, v6
	v_fmac_f32_e32 v16, s15, v12
	v_fmac_f32_e32 v20, s15, v10
	v_fma_f32 v23, v8, s14, -v23
	v_add_co_u32 v2, vcc_lo, s6, v2
	v_add_co_ci_u32_e64 v3, null, s7, v3, vcc_lo
	v_fmac_f32_e32 v14, s15, v7
	v_add_co_u32 v21, vcc_lo, v2, v17
	v_add_co_ci_u32_e64 v22, null, v3, v18, vcc_lo
	v_add_co_u32 v2, vcc_lo, v2, s12
	v_add_co_ci_u32_e64 v3, null, s13, v3, vcc_lo
	v_fmac_f32_e32 v24, s15, v8
	v_add_co_u32 v17, vcc_lo, v2, v17
	v_add_co_ci_u32_e64 v18, null, v3, v18, vcc_lo
	v_fma_f32 v25, v7, s14, -v25
	v_add_co_u32 v2, vcc_lo, 0x80, v17
	v_add_co_ci_u32_e64 v3, null, 0, v18, vcc_lo
	global_store_dwordx2 v[21:22], v[15:16], off
	global_store_dwordx2 v[21:22], v[19:20], off offset:128
	global_store_dwordx2 v[17:18], v[23:24], off
	global_store_dword v[17:18], v25, off offset:128
	s_andn2_b32 vcc_lo, exec_lo, s9
	s_cbranch_vccz .LBB106_6
	s_branch .LBB106_7
.LBB106_5:
                                        ; implicit-def: $vgpr14
                                        ; implicit-def: $vgpr2_vgpr3
.LBB106_6:
	v_mul_lo_u32 v14, v5, s2
	v_mul_lo_u32 v15, v4, s3
	v_mad_u64_u32 v[2:3], null, v4, s2, 0
	s_mul_i32 s5, s5, s8
	s_mul_hi_u32 s9, s4, s8
	s_mul_i32 s4, s4, s8
	s_add_i32 s5, s9, s5
	v_lshlrev_b64 v[0:1], 3, v[0:1]
	s_lshl_b64 s[4:5], s[4:5], 3
	v_add3_u32 v3, v3, v15, v14
	s_add_u32 s0, s0, s4
	s_addc_u32 s1, s1, s5
	v_mul_lo_u32 v18, v5, s16
	v_mul_lo_u32 v19, v4, s17
	v_lshlrev_b64 v[2:3], 3, v[2:3]
	v_mad_u64_u32 v[4:5], null, v4, s16, 0
	v_add_co_u32 v16, vcc_lo, s0, v2
	v_add_co_ci_u32_e64 v17, null, s1, v3, vcc_lo
	v_add3_u32 v5, v5, v19, v18
	v_add_co_u32 v2, vcc_lo, v16, v0
	v_add_co_ci_u32_e64 v3, null, v17, v1, vcc_lo
	v_mul_f32_e32 v18, s15, v13
	v_mul_f32_e32 v13, s14, v13
	v_lshlrev_b64 v[4:5], 3, v[4:5]
	global_load_dwordx2 v[14:15], v[2:3], off
	s_lshl_b64 s[0:1], s[2:3], 7
	v_fma_f32 v18, v12, s14, -v18
	v_fmac_f32_e32 v13, s15, v12
	v_add_co_u32 v19, vcc_lo, s6, v4
	v_add_co_ci_u32_e64 v20, null, s7, v5, vcc_lo
	v_add_co_u32 v4, vcc_lo, v19, v0
	v_add_co_ci_u32_e64 v5, null, v20, v1, vcc_lo
	s_waitcnt vmcnt(0)
	v_mul_f32_e32 v12, s11, v15
	v_mul_f32_e32 v15, s10, v15
	v_fma_f32 v12, v14, s10, -v12
	v_fmac_f32_e32 v15, s11, v14
	v_add_f32_e32 v12, v18, v12
	v_add_f32_e32 v13, v13, v15
	global_store_dwordx2 v[4:5], v[12:13], off
	global_load_dwordx2 v[2:3], v[2:3], off offset:128
	v_mul_f32_e32 v12, s15, v11
	v_mul_f32_e32 v11, s14, v11
	v_fma_f32 v12, v10, s14, -v12
	v_fmac_f32_e32 v11, s15, v10
	s_waitcnt vmcnt(0)
	v_mul_f32_e32 v13, s11, v3
	v_mul_f32_e32 v3, s10, v3
	v_fma_f32 v10, v2, s10, -v13
	v_add_co_u32 v13, vcc_lo, v16, s0
	v_fmac_f32_e32 v3, s11, v2
	v_add_co_ci_u32_e64 v14, null, s1, v17, vcc_lo
	v_add_f32_e32 v2, v12, v10
	v_add_co_u32 v10, vcc_lo, v13, v0
	v_add_f32_e32 v3, v11, v3
	v_add_co_ci_u32_e64 v11, null, v14, v1, vcc_lo
	s_lshl_b64 s[0:1], s[16:17], 7
	global_store_dwordx2 v[4:5], v[2:3], off offset:128
	global_load_dwordx2 v[2:3], v[10:11], off
	v_mul_f32_e32 v4, s15, v9
	v_mul_f32_e32 v5, s14, v9
	v_add_co_u32 v9, vcc_lo, v19, s0
	v_add_co_ci_u32_e64 v12, null, s1, v20, vcc_lo
	v_fma_f32 v4, v8, s14, -v4
	v_fmac_f32_e32 v5, s15, v8
	v_add_co_u32 v0, vcc_lo, v9, v0
	v_add_co_ci_u32_e64 v1, null, v12, v1, vcc_lo
	s_waitcnt vmcnt(0)
	v_mul_f32_e32 v8, s11, v3
	v_mul_f32_e32 v3, s10, v3
	v_fma_f32 v8, v2, s10, -v8
	v_fmac_f32_e32 v3, s11, v2
	v_add_f32_e32 v2, v4, v8
	v_add_f32_e32 v3, v5, v3
	v_mul_f32_e32 v4, s15, v6
	v_mul_f32_e32 v5, s14, v6
	global_store_dwordx2 v[0:1], v[2:3], off
	global_load_dwordx2 v[2:3], v[10:11], off offset:128
	v_fma_f32 v4, v7, s14, -v4
	v_fmac_f32_e32 v5, s15, v7
	s_waitcnt vmcnt(0)
	v_mul_f32_e32 v6, s11, v3
	v_mul_f32_e32 v3, s10, v3
	v_fma_f32 v6, v2, s10, -v6
	v_fmac_f32_e32 v3, s11, v2
	v_add_co_u32 v2, vcc_lo, 0x80, v0
	v_add_f32_e32 v4, v4, v6
	v_add_f32_e32 v14, v5, v3
	v_add_co_ci_u32_e64 v3, null, 0, v1, vcc_lo
	global_store_dword v[0:1], v4, off offset:128
.LBB106_7:
	global_store_dword v[2:3], v14, off offset:4
	s_endpgm
	.section	.rodata,"a",@progbits
	.p2align	6, 0x0
	.amdhsa_kernel _ZN12_GLOBAL__N_127rocblas_gemm_batched_kernelI19rocblas_complex_numIfELi16ELi16ELi32ELi32ELi8ELi32ELi8ELi8ELi32ELc84ELc67EKS2_S3_S2_EEvlllT_PT11_llS6_llS4_PT12_llPT13_lli
		.amdhsa_group_segment_fixed_size 4096
		.amdhsa_private_segment_fixed_size 0
		.amdhsa_kernarg_size 140
		.amdhsa_user_sgpr_count 6
		.amdhsa_user_sgpr_private_segment_buffer 1
		.amdhsa_user_sgpr_dispatch_ptr 0
		.amdhsa_user_sgpr_queue_ptr 0
		.amdhsa_user_sgpr_kernarg_segment_ptr 1
		.amdhsa_user_sgpr_dispatch_id 0
		.amdhsa_user_sgpr_flat_scratch_init 0
		.amdhsa_user_sgpr_private_segment_size 0
		.amdhsa_wavefront_size32 1
		.amdhsa_uses_dynamic_stack 0
		.amdhsa_system_sgpr_private_segment_wavefront_offset 0
		.amdhsa_system_sgpr_workgroup_id_x 1
		.amdhsa_system_sgpr_workgroup_id_y 1
		.amdhsa_system_sgpr_workgroup_id_z 1
		.amdhsa_system_sgpr_workgroup_info 0
		.amdhsa_system_vgpr_workitem_id 1
		.amdhsa_next_free_vgpr 92
		.amdhsa_next_free_sgpr 32
		.amdhsa_reserve_vcc 1
		.amdhsa_reserve_flat_scratch 0
		.amdhsa_float_round_mode_32 0
		.amdhsa_float_round_mode_16_64 0
		.amdhsa_float_denorm_mode_32 3
		.amdhsa_float_denorm_mode_16_64 3
		.amdhsa_dx10_clamp 1
		.amdhsa_ieee_mode 1
		.amdhsa_fp16_overflow 0
		.amdhsa_workgroup_processor_mode 1
		.amdhsa_memory_ordered 1
		.amdhsa_forward_progress 1
		.amdhsa_shared_vgpr_count 0
		.amdhsa_exception_fp_ieee_invalid_op 0
		.amdhsa_exception_fp_denorm_src 0
		.amdhsa_exception_fp_ieee_div_zero 0
		.amdhsa_exception_fp_ieee_overflow 0
		.amdhsa_exception_fp_ieee_underflow 0
		.amdhsa_exception_fp_ieee_inexact 0
		.amdhsa_exception_int_div_zero 0
	.end_amdhsa_kernel
	.section	.text._ZN12_GLOBAL__N_127rocblas_gemm_batched_kernelI19rocblas_complex_numIfELi16ELi16ELi32ELi32ELi8ELi32ELi8ELi8ELi32ELc84ELc67EKS2_S3_S2_EEvlllT_PT11_llS6_llS4_PT12_llPT13_lli,"axG",@progbits,_ZN12_GLOBAL__N_127rocblas_gemm_batched_kernelI19rocblas_complex_numIfELi16ELi16ELi32ELi32ELi8ELi32ELi8ELi8ELi32ELc84ELc67EKS2_S3_S2_EEvlllT_PT11_llS6_llS4_PT12_llPT13_lli,comdat
.Lfunc_end106:
	.size	_ZN12_GLOBAL__N_127rocblas_gemm_batched_kernelI19rocblas_complex_numIfELi16ELi16ELi32ELi32ELi8ELi32ELi8ELi8ELi32ELc84ELc67EKS2_S3_S2_EEvlllT_PT11_llS6_llS4_PT12_llPT13_lli, .Lfunc_end106-_ZN12_GLOBAL__N_127rocblas_gemm_batched_kernelI19rocblas_complex_numIfELi16ELi16ELi32ELi32ELi8ELi32ELi8ELi8ELi32ELc84ELc67EKS2_S3_S2_EEvlllT_PT11_llS6_llS4_PT12_llPT13_lli
                                        ; -- End function
	.set _ZN12_GLOBAL__N_127rocblas_gemm_batched_kernelI19rocblas_complex_numIfELi16ELi16ELi32ELi32ELi8ELi32ELi8ELi8ELi32ELc84ELc67EKS2_S3_S2_EEvlllT_PT11_llS6_llS4_PT12_llPT13_lli.num_vgpr, 92
	.set _ZN12_GLOBAL__N_127rocblas_gemm_batched_kernelI19rocblas_complex_numIfELi16ELi16ELi32ELi32ELi8ELi32ELi8ELi8ELi32ELc84ELc67EKS2_S3_S2_EEvlllT_PT11_llS6_llS4_PT12_llPT13_lli.num_agpr, 0
	.set _ZN12_GLOBAL__N_127rocblas_gemm_batched_kernelI19rocblas_complex_numIfELi16ELi16ELi32ELi32ELi8ELi32ELi8ELi8ELi32ELc84ELc67EKS2_S3_S2_EEvlllT_PT11_llS6_llS4_PT12_llPT13_lli.numbered_sgpr, 32
	.set _ZN12_GLOBAL__N_127rocblas_gemm_batched_kernelI19rocblas_complex_numIfELi16ELi16ELi32ELi32ELi8ELi32ELi8ELi8ELi32ELc84ELc67EKS2_S3_S2_EEvlllT_PT11_llS6_llS4_PT12_llPT13_lli.num_named_barrier, 0
	.set _ZN12_GLOBAL__N_127rocblas_gemm_batched_kernelI19rocblas_complex_numIfELi16ELi16ELi32ELi32ELi8ELi32ELi8ELi8ELi32ELc84ELc67EKS2_S3_S2_EEvlllT_PT11_llS6_llS4_PT12_llPT13_lli.private_seg_size, 0
	.set _ZN12_GLOBAL__N_127rocblas_gemm_batched_kernelI19rocblas_complex_numIfELi16ELi16ELi32ELi32ELi8ELi32ELi8ELi8ELi32ELc84ELc67EKS2_S3_S2_EEvlllT_PT11_llS6_llS4_PT12_llPT13_lli.uses_vcc, 1
	.set _ZN12_GLOBAL__N_127rocblas_gemm_batched_kernelI19rocblas_complex_numIfELi16ELi16ELi32ELi32ELi8ELi32ELi8ELi8ELi32ELc84ELc67EKS2_S3_S2_EEvlllT_PT11_llS6_llS4_PT12_llPT13_lli.uses_flat_scratch, 0
	.set _ZN12_GLOBAL__N_127rocblas_gemm_batched_kernelI19rocblas_complex_numIfELi16ELi16ELi32ELi32ELi8ELi32ELi8ELi8ELi32ELc84ELc67EKS2_S3_S2_EEvlllT_PT11_llS6_llS4_PT12_llPT13_lli.has_dyn_sized_stack, 0
	.set _ZN12_GLOBAL__N_127rocblas_gemm_batched_kernelI19rocblas_complex_numIfELi16ELi16ELi32ELi32ELi8ELi32ELi8ELi8ELi32ELc84ELc67EKS2_S3_S2_EEvlllT_PT11_llS6_llS4_PT12_llPT13_lli.has_recursion, 0
	.set _ZN12_GLOBAL__N_127rocblas_gemm_batched_kernelI19rocblas_complex_numIfELi16ELi16ELi32ELi32ELi8ELi32ELi8ELi8ELi32ELc84ELc67EKS2_S3_S2_EEvlllT_PT11_llS6_llS4_PT12_llPT13_lli.has_indirect_call, 0
	.section	.AMDGPU.csdata,"",@progbits
; Kernel info:
; codeLenInByte = 2516
; TotalNumSgprs: 34
; NumVgprs: 92
; ScratchSize: 0
; MemoryBound: 0
; FloatMode: 240
; IeeeMode: 1
; LDSByteSize: 4096 bytes/workgroup (compile time only)
; SGPRBlocks: 0
; VGPRBlocks: 11
; NumSGPRsForWavesPerEU: 34
; NumVGPRsForWavesPerEU: 92
; Occupancy: 10
; WaveLimiterHint : 1
; COMPUTE_PGM_RSRC2:SCRATCH_EN: 0
; COMPUTE_PGM_RSRC2:USER_SGPR: 6
; COMPUTE_PGM_RSRC2:TRAP_HANDLER: 0
; COMPUTE_PGM_RSRC2:TGID_X_EN: 1
; COMPUTE_PGM_RSRC2:TGID_Y_EN: 1
; COMPUTE_PGM_RSRC2:TGID_Z_EN: 1
; COMPUTE_PGM_RSRC2:TIDIG_COMP_CNT: 1
	.section	.text._ZN12_GLOBAL__N_135rocblas_gemm_batched_general_kernelI19rocblas_complex_numIfELi16ELi16ELi32ELi32ELi8ELi32ELi8ELi8ELi32ELc78ELc78EKS2_S3_S2_EEvlllT_PT11_llS6_llS4_PT12_llPT13_lli,"axG",@progbits,_ZN12_GLOBAL__N_135rocblas_gemm_batched_general_kernelI19rocblas_complex_numIfELi16ELi16ELi32ELi32ELi8ELi32ELi8ELi8ELi32ELc78ELc78EKS2_S3_S2_EEvlllT_PT11_llS6_llS4_PT12_llPT13_lli,comdat
	.globl	_ZN12_GLOBAL__N_135rocblas_gemm_batched_general_kernelI19rocblas_complex_numIfELi16ELi16ELi32ELi32ELi8ELi32ELi8ELi8ELi32ELc78ELc78EKS2_S3_S2_EEvlllT_PT11_llS6_llS4_PT12_llPT13_lli ; -- Begin function _ZN12_GLOBAL__N_135rocblas_gemm_batched_general_kernelI19rocblas_complex_numIfELi16ELi16ELi32ELi32ELi8ELi32ELi8ELi8ELi32ELc78ELc78EKS2_S3_S2_EEvlllT_PT11_llS6_llS4_PT12_llPT13_lli
	.p2align	8
	.type	_ZN12_GLOBAL__N_135rocblas_gemm_batched_general_kernelI19rocblas_complex_numIfELi16ELi16ELi32ELi32ELi8ELi32ELi8ELi8ELi32ELc78ELc78EKS2_S3_S2_EEvlllT_PT11_llS6_llS4_PT12_llPT13_lli,@function
_ZN12_GLOBAL__N_135rocblas_gemm_batched_general_kernelI19rocblas_complex_numIfELi16ELi16ELi32ELi32ELi8ELi32ELi8ELi8ELi32ELc78ELc78EKS2_S3_S2_EEvlllT_PT11_llS6_llS4_PT12_llPT13_lli: ; @_ZN12_GLOBAL__N_135rocblas_gemm_batched_general_kernelI19rocblas_complex_numIfELi16ELi16ELi32ELi32ELi8ELi32ELi8ELi8ELi32ELc78ELc78EKS2_S3_S2_EEvlllT_PT11_llS6_llS4_PT12_llPT13_lli
; %bb.0:
	s_clause 0x1
	s_load_dwordx16 s[12:27], s[4:5], 0x0
	s_load_dwordx2 s[10:11], s[4:5], 0x50
	s_mov_b32 s0, s7
	v_mov_b32_e32 v20, 0
	v_mov_b32_e32 v21, 0
	;; [unrolled: 1-line block ×8, first 2 shown]
	s_ashr_i32 s7, s6, 31
	s_ashr_i32 s1, s0, 31
	s_lshl_b64 s[34:35], s[6:7], 5
	s_lshl_b64 s[36:37], s[0:1], 5
	s_waitcnt lgkmcnt(0)
	v_cmp_lt_i64_e64 s2, s[16:17], 1
	s_and_b32 vcc_lo, exec_lo, s2
	s_cbranch_vccnz .LBB107_11
; %bb.1:
	s_load_dwordx4 s[0:3], s[4:5], 0x40
	v_lshl_add_u32 v2, v1, 4, v0
	v_mov_b32_e32 v4, s35
	v_and_b32_e32 v8, 7, v0
	s_lshl_b64 s[6:7], s[6:7], 8
	v_mov_b32_e32 v21, 0
	v_lshrrev_b32_e32 v9, 5, v2
	v_lshrrev_b32_e32 v7, 3, v2
	v_and_b32_e32 v2, 31, v2
	v_lshlrev_b32_e32 v12, 3, v8
	v_mov_b32_e32 v20, 0
	v_mad_u64_u32 v[10:11], null, s22, v9, 0
	v_add_co_u32 v5, s9, v7, s36
	v_or_b32_e32 v3, s34, v2
	v_add_co_ci_u32_e64 v6, null, 0, s37, s9
	v_lshl_or_b32 v7, v7, 6, v12
	s_mul_hi_u32 s9, s24, s8
	v_cmp_gt_i64_e32 vcc_lo, s[12:13], v[3:4]
	v_mov_b32_e32 v3, v11
	s_waitcnt lgkmcnt(0)
	v_mul_lo_u32 v16, s1, v5
	v_mul_lo_u32 v17, s0, v6
	v_mad_u64_u32 v[18:19], null, s0, v5, 0
	v_mad_u64_u32 v[3:4], null, s23, v9, v[3:4]
	v_cmp_gt_i64_e64 s0, s[14:15], v[5:6]
	s_mul_i32 s1, s3, s8
	s_mul_hi_u32 s3, s2, s8
	s_mul_i32 s2, s2, s8
	v_add3_u32 v19, v19, v17, v16
	s_add_i32 s3, s3, s1
	v_mov_b32_e32 v11, v3
	s_mul_i32 s1, s25, s8
	v_add_nc_u32_e32 v15, 0x800, v7
	v_lshlrev_b64 v[4:5], 3, v[18:19]
	s_lshl_b64 s[2:3], s[2:3], 3
	s_add_i32 s25, s9, s1
	s_mul_i32 s24, s24, s8
	v_lshlrev_b64 v[6:7], 3, v[10:11]
	s_lshl_b64 s[24:25], s[24:25], 3
	v_add_co_u32 v3, s1, v4, s2
	v_add_co_ci_u32_e64 v4, null, s3, v5, s1
	s_add_u32 s1, s6, s24
	v_lshlrev_b32_e32 v14, 3, v2
	s_addc_u32 s2, s7, s25
	v_add_co_u32 v5, s1, s1, v6
	v_add_co_ci_u32_e64 v6, null, s2, v7, s1
	v_add_co_u32 v3, s1, v3, v12
	v_add_co_ci_u32_e64 v7, null, 0, v4, s1
	v_add_co_u32 v10, s1, v5, v14
	v_add_co_ci_u32_e64 v11, null, 0, v6, s1
	v_add_co_u32 v4, s1, s26, v3
	v_add_co_ci_u32_e64 v5, null, s27, v7, s1
	v_add_co_u32 v6, s1, s20, v10
	v_mov_b32_e32 v2, 0
	v_lshl_or_b32 v13, v9, 8, v14
	v_lshlrev_b32_e32 v16, 3, v0
	v_lshl_add_u32 v17, v1, 6, 0x800
	v_add_co_ci_u32_e64 v7, null, s21, v11, s1
	v_mov_b32_e32 v11, 0
	v_mov_b32_e32 v10, 0
	;; [unrolled: 1-line block ×6, first 2 shown]
	s_lshl_b64 s[2:3], s[22:23], 6
	s_mov_b64 s[6:7], 0
	s_xor_b32 s1, vcc_lo, -1
	s_xor_b32 s0, s0, -1
	s_branch .LBB107_3
.LBB107_2:                              ;   in Loop: Header=BB107_3 Depth=1
	s_or_b32 exec_lo, exec_lo, s9
	s_waitcnt lgkmcnt(0)
	s_barrier
	buffer_gl0_inv
	ds_read_b128 v[22:25], v17
	ds_read2_b64 v[26:29], v16 offset1:16
	ds_read_b128 v[30:33], v17 offset:1024
	ds_read_b128 v[34:37], v17 offset:16
	;; [unrolled: 1-line block ×4, first 2 shown]
	ds_read2_b64 v[46:49], v16 offset0:32 offset1:48
	ds_read_b128 v[50:53], v17 offset:1040
	s_add_u32 s6, s6, 8
	s_addc_u32 s7, s7, 0
	v_add_co_u32 v4, vcc_lo, v4, 64
	v_cmp_lt_i64_e64 s9, s[6:7], s[16:17]
	v_add_co_ci_u32_e64 v5, null, 0, v5, vcc_lo
	v_add_co_u32 v6, vcc_lo, v6, s2
	v_add_co_ci_u32_e64 v7, null, s3, v7, vcc_lo
	s_and_b32 vcc_lo, exec_lo, s9
	s_waitcnt lgkmcnt(6)
	v_mul_f32_e32 v3, v23, v27
	v_mul_f32_e32 v54, v22, v27
	;; [unrolled: 1-line block ×4, first 2 shown]
	s_waitcnt lgkmcnt(5)
	v_mul_f32_e32 v57, v31, v27
	v_mul_f32_e32 v27, v30, v27
	;; [unrolled: 1-line block ×3, first 2 shown]
	v_fma_f32 v3, v22, v26, -v3
	v_fmac_f32_e32 v54, v23, v26
	v_fma_f32 v22, v22, v28, -v55
	v_fmac_f32_e32 v56, v23, v28
	v_fma_f32 v23, v30, v26, -v57
	v_mul_f32_e32 v29, v30, v29
	v_fmac_f32_e32 v27, v31, v26
	v_fma_f32 v26, v30, v28, -v58
	v_add_f32_e32 v3, v20, v3
	v_add_f32_e32 v30, v21, v54
	;; [unrolled: 1-line block ×5, first 2 shown]
	s_waitcnt lgkmcnt(1)
	v_mul_f32_e32 v23, v25, v47
	ds_read2_b64 v[18:21], v16 offset0:64 offset1:80
	v_add_f32_e32 v14, v14, v27
	v_mul_f32_e32 v27, v25, v49
	v_fmac_f32_e32 v29, v31, v28
	v_fma_f32 v23, v24, v46, -v23
	v_add_f32_e32 v10, v10, v26
	v_mul_f32_e32 v26, v24, v47
	v_mul_f32_e32 v28, v24, v49
	v_add_f32_e32 v11, v11, v29
	v_add_f32_e32 v3, v3, v23
	v_fma_f32 v23, v24, v48, -v27
	v_mul_f32_e32 v24, v33, v47
	v_fmac_f32_e32 v26, v25, v46
	v_fmac_f32_e32 v28, v25, v48
	v_mul_f32_e32 v25, v32, v47
	v_add_f32_e32 v27, v22, v23
	v_fma_f32 v22, v32, v46, -v24
	v_mul_f32_e32 v23, v33, v49
	v_add_f32_e32 v26, v30, v26
	v_fmac_f32_e32 v25, v33, v46
	v_mul_f32_e32 v29, v32, v49
	v_add_f32_e32 v12, v12, v22
	v_fma_f32 v22, v32, v48, -v23
	s_waitcnt lgkmcnt(0)
	v_mul_f32_e32 v23, v35, v19
	v_mul_f32_e32 v30, v34, v19
	;; [unrolled: 1-line block ×3, first 2 shown]
	v_add_f32_e32 v14, v14, v25
	v_add_f32_e32 v10, v10, v22
	v_fma_f32 v31, v34, v18, -v23
	ds_read2_b64 v[22:25], v16 offset0:96 offset1:112
	v_fmac_f32_e32 v30, v35, v18
	v_fmac_f32_e32 v29, v33, v48
	v_add_f32_e32 v28, v54, v28
	v_add_f32_e32 v3, v3, v31
	v_fma_f32 v31, v34, v20, -v32
	v_add_f32_e32 v26, v26, v30
	v_mul_f32_e32 v30, v51, v19
	v_mul_f32_e32 v19, v50, v19
	v_add_f32_e32 v11, v11, v29
	v_add_f32_e32 v27, v27, v31
	v_mul_f32_e32 v31, v51, v21
	v_mul_f32_e32 v29, v34, v21
	v_fma_f32 v30, v50, v18, -v30
	v_fmac_f32_e32 v19, v51, v18
	v_mul_f32_e32 v32, v50, v21
	v_fma_f32 v18, v50, v20, -v31
	v_fmac_f32_e32 v29, v35, v20
	v_add_f32_e32 v12, v12, v30
	v_add_f32_e32 v14, v14, v19
	v_fmac_f32_e32 v32, v51, v20
	v_add_f32_e32 v10, v10, v18
	ds_read2_b64 v[18:21], v16 offset0:128 offset1:144
	v_add_f32_e32 v33, v28, v29
	s_waitcnt lgkmcnt(1)
	v_mul_f32_e32 v28, v37, v23
	v_mul_f32_e32 v29, v36, v23
	v_mul_f32_e32 v30, v37, v25
	v_mul_f32_e32 v31, v36, v25
	v_add_f32_e32 v11, v11, v32
	v_fma_f32 v28, v36, v22, -v28
	v_fmac_f32_e32 v29, v37, v22
	v_fma_f32 v30, v36, v24, -v30
	v_fmac_f32_e32 v31, v37, v24
	v_mul_f32_e32 v32, v53, v25
	v_add_f32_e32 v3, v3, v28
	v_mul_f32_e32 v28, v53, v23
	v_mul_f32_e32 v23, v52, v23
	v_add_f32_e32 v34, v26, v29
	v_add_f32_e32 v35, v27, v30
	;; [unrolled: 1-line block ×3, first 2 shown]
	v_fma_f32 v30, v52, v22, -v28
	ds_read_b128 v[26:29], v17 offset:1056
	v_fmac_f32_e32 v23, v53, v22
	v_mul_f32_e32 v31, v52, v25
	v_fma_f32 v22, v52, v24, -v32
	s_waitcnt lgkmcnt(1)
	v_mul_f32_e32 v25, v39, v19
	v_add_f32_e32 v12, v12, v30
	v_add_f32_e32 v14, v14, v23
	v_fmac_f32_e32 v31, v53, v24
	v_add_f32_e32 v10, v10, v22
	v_fma_f32 v30, v38, v18, -v25
	ds_read2_b64 v[22:25], v16 offset0:160 offset1:176
	v_mul_f32_e32 v32, v39, v21
	v_mul_f32_e32 v37, v38, v19
	;; [unrolled: 1-line block ×3, first 2 shown]
	v_add_f32_e32 v11, v11, v31
	v_add_f32_e32 v3, v3, v30
	v_fma_f32 v38, v38, v20, -v32
	v_fmac_f32_e32 v37, v39, v18
	ds_read_b128 v[30:33], v17 offset:1072
	v_fmac_f32_e32 v46, v39, v20
	s_waitcnt lgkmcnt(2)
	v_mul_f32_e32 v47, v27, v19
	v_mul_f32_e32 v19, v26, v19
	v_add_f32_e32 v35, v35, v38
	v_mul_f32_e32 v38, v27, v21
	v_add_f32_e32 v34, v34, v37
	v_fma_f32 v37, v26, v18, -v47
	v_fmac_f32_e32 v19, v27, v18
	v_mul_f32_e32 v39, v26, v21
	v_fma_f32 v18, v26, v20, -v38
	v_add_f32_e32 v36, v36, v46
	s_waitcnt lgkmcnt(1)
	v_mul_f32_e32 v21, v41, v23
	v_add_f32_e32 v12, v12, v37
	v_add_f32_e32 v14, v14, v19
	v_fmac_f32_e32 v39, v27, v20
	v_mul_f32_e32 v26, v40, v23
	v_add_f32_e32 v10, v10, v18
	v_fma_f32 v27, v40, v22, -v21
	ds_read2_b64 v[18:21], v16 offset0:192 offset1:208
	v_mul_f32_e32 v37, v41, v25
	v_fmac_f32_e32 v26, v41, v22
	v_add_f32_e32 v11, v11, v39
	v_add_f32_e32 v3, v3, v27
	v_mul_f32_e32 v27, v40, v25
	v_fma_f32 v37, v40, v24, -v37
	v_add_f32_e32 v26, v34, v26
	v_mul_f32_e32 v34, v29, v23
	v_mul_f32_e32 v23, v28, v23
	v_fmac_f32_e32 v27, v41, v24
	v_add_f32_e32 v35, v35, v37
	v_mul_f32_e32 v37, v29, v25
	v_fma_f32 v34, v28, v22, -v34
	v_fmac_f32_e32 v23, v29, v22
	v_add_f32_e32 v27, v36, v27
	v_mul_f32_e32 v36, v28, v25
	v_fma_f32 v22, v28, v24, -v37
	v_add_f32_e32 v12, v12, v34
	v_add_f32_e32 v14, v14, v23
	s_waitcnt lgkmcnt(0)
	v_mul_f32_e32 v28, v43, v19
	v_fmac_f32_e32 v36, v29, v24
	v_add_f32_e32 v10, v10, v22
	ds_read2_b64 v[22:25], v16 offset0:224 offset1:240
	v_mul_f32_e32 v29, v42, v19
	v_fma_f32 v28, v42, v18, -v28
	v_mul_f32_e32 v34, v43, v21
	v_add_f32_e32 v11, v11, v36
	v_mul_f32_e32 v36, v42, v21
	v_fmac_f32_e32 v29, v43, v18
	v_add_f32_e32 v3, v3, v28
	v_mul_f32_e32 v28, v31, v19
	v_fma_f32 v34, v42, v20, -v34
	v_mul_f32_e32 v19, v30, v19
	v_add_f32_e32 v26, v26, v29
	v_fmac_f32_e32 v36, v43, v20
	v_fma_f32 v28, v30, v18, -v28
	v_add_f32_e32 v29, v35, v34
	v_mul_f32_e32 v34, v31, v21
	v_fmac_f32_e32 v19, v31, v18
	v_mul_f32_e32 v18, v30, v21
	v_add_f32_e32 v12, v12, v28
	v_add_f32_e32 v27, v27, v36
	v_fma_f32 v21, v30, v20, -v34
	s_waitcnt lgkmcnt(0)
	v_mul_f32_e32 v28, v45, v23
	v_mul_f32_e32 v30, v44, v23
	v_add_f32_e32 v14, v14, v19
	v_fmac_f32_e32 v18, v31, v20
	v_add_f32_e32 v10, v10, v21
	v_fma_f32 v19, v44, v22, -v28
	v_fmac_f32_e32 v30, v45, v22
	v_mul_f32_e32 v28, v45, v25
	v_mul_f32_e32 v31, v44, v25
	v_add_f32_e32 v11, v11, v18
	v_add_f32_e32 v20, v3, v19
	;; [unrolled: 1-line block ×3, first 2 shown]
	v_fma_f32 v3, v44, v24, -v28
	v_mul_f32_e32 v19, v33, v23
	v_mul_f32_e32 v23, v32, v23
	;; [unrolled: 1-line block ×4, first 2 shown]
	v_fmac_f32_e32 v31, v45, v24
	v_add_f32_e32 v18, v29, v3
	v_fma_f32 v3, v32, v22, -v19
	v_fmac_f32_e32 v23, v33, v22
	v_fma_f32 v22, v32, v24, -v26
	v_fmac_f32_e32 v25, v33, v24
	v_add_f32_e32 v19, v27, v31
	v_add_f32_e32 v12, v12, v3
	;; [unrolled: 1-line block ×5, first 2 shown]
	s_barrier
	buffer_gl0_inv
	s_cbranch_vccz .LBB107_11
.LBB107_3:                              ; =>This Inner Loop Header: Depth=1
	v_add_co_u32 v22, s9, v9, s6
	v_add_co_ci_u32_e64 v23, null, 0, s7, s9
	v_cmp_le_i64_e32 vcc_lo, s[16:17], v[22:23]
	s_or_b32 s9, s1, vcc_lo
	s_and_saveexec_b32 s20, s9
	s_xor_b32 s9, exec_lo, s20
; %bb.4:                                ;   in Loop: Header=BB107_3 Depth=1
	v_mov_b32_e32 v3, v2
	ds_write_b64 v13, v[2:3]
; %bb.5:                                ;   in Loop: Header=BB107_3 Depth=1
	s_andn2_saveexec_b32 s9, s9
	s_cbranch_execz .LBB107_7
; %bb.6:                                ;   in Loop: Header=BB107_3 Depth=1
	global_load_dwordx2 v[22:23], v[6:7], off
	s_waitcnt vmcnt(0)
	ds_write_b64 v13, v[22:23]
.LBB107_7:                              ;   in Loop: Header=BB107_3 Depth=1
	s_or_b32 exec_lo, exec_lo, s9
	v_add_co_u32 v22, s9, v8, s6
	v_add_co_ci_u32_e64 v23, null, 0, s7, s9
	v_cmp_le_i64_e32 vcc_lo, s[16:17], v[22:23]
	s_or_b32 s9, vcc_lo, s0
	s_and_saveexec_b32 s20, s9
	s_xor_b32 s9, exec_lo, s20
; %bb.8:                                ;   in Loop: Header=BB107_3 Depth=1
	v_mov_b32_e32 v3, v2
	ds_write_b64 v15, v[2:3]
; %bb.9:                                ;   in Loop: Header=BB107_3 Depth=1
	s_andn2_saveexec_b32 s9, s9
	s_cbranch_execz .LBB107_2
; %bb.10:                               ;   in Loop: Header=BB107_3 Depth=1
	global_load_dwordx2 v[22:23], v[4:5], off
	s_waitcnt vmcnt(0)
	ds_write_b64 v15, v[22:23]
	s_branch .LBB107_2
.LBB107_11:
	s_clause 0x1
	s_load_dwordx4 s[28:31], s[4:5], 0x78
	s_load_dwordx8 s[20:27], s[4:5], 0x58
	s_waitcnt lgkmcnt(0)
	s_mul_i32 s1, s31, s8
	s_mul_hi_u32 s2, s30, s8
	s_mul_i32 s0, s30, s8
	s_add_i32 s1, s2, s1
	v_add_co_u32 v1, s2, s36, v1
	v_add_co_ci_u32_e64 v2, null, s37, 0, s2
	s_lshl_b64 s[0:1], s[0:1], 3
	s_add_u32 s3, s26, s0
	s_addc_u32 s4, s27, s1
	s_or_b32 s1, s10, s11
	v_cmp_gt_i64_e64 s0, s[14:15], v[1:2]
	s_bitset0_b32 s1, 31
	s_cmp_lg_u32 s1, 0
	s_mov_b32 s1, -1
	s_cbranch_scc1 .LBB107_23
; %bb.12:
	s_and_saveexec_b32 s5, s0
	s_cbranch_execz .LBB107_22
; %bb.13:
	v_mul_lo_u32 v5, v2, s28
	v_mul_lo_u32 v6, v1, s29
	v_mad_u64_u32 v[3:4], null, v1, s28, 0
	v_add3_u32 v4, v4, v6, v5
	v_add_co_u32 v5, s1, s34, v0
	v_add_co_ci_u32_e64 v6, null, s35, 0, s1
	v_lshlrev_b64 v[7:8], 3, v[3:4]
	v_cmp_gt_i64_e32 vcc_lo, s[12:13], v[5:6]
	v_lshlrev_b64 v[3:4], 3, v[5:6]
	v_add_co_u32 v7, s1, s3, v7
	v_add_co_ci_u32_e64 v8, null, s4, v8, s1
	s_and_saveexec_b32 s2, vcc_lo
	s_cbranch_execz .LBB107_15
; %bb.14:
	v_mul_f32_e32 v9, s19, v21
	v_mul_f32_e32 v16, s18, v21
	v_add_co_u32 v22, s1, v7, v3
	v_add_co_ci_u32_e64 v23, null, v8, v4, s1
	v_fma_f32 v15, v20, s18, -v9
	v_fmac_f32_e32 v16, s19, v20
	global_store_dwordx2 v[22:23], v[15:16], off
.LBB107_15:
	s_or_b32 exec_lo, exec_lo, s2
	v_add_co_u32 v5, s1, v5, 16
	v_add_co_ci_u32_e64 v6, null, 0, v6, s1
	v_cmp_gt_i64_e64 s1, s[12:13], v[5:6]
	s_and_saveexec_b32 s6, s1
	s_cbranch_execz .LBB107_17
; %bb.16:
	v_mul_f32_e32 v5, s19, v19
	v_mul_f32_e32 v6, s18, v19
	v_add_co_u32 v15, s2, v7, v3
	v_add_co_ci_u32_e64 v16, null, v8, v4, s2
	v_fma_f32 v5, v18, s18, -v5
	v_fmac_f32_e32 v6, s19, v18
	global_store_dwordx2 v[15:16], v[5:6], off offset:128
.LBB107_17:
	s_or_b32 exec_lo, exec_lo, s6
	v_add_co_u32 v5, s2, v1, 16
	v_add_co_ci_u32_e64 v6, null, 0, v2, s2
	v_cmp_gt_i64_e64 s2, s[14:15], v[5:6]
	s_and_b32 exec_lo, exec_lo, s2
	s_cbranch_execz .LBB107_22
; %bb.18:
	s_lshl_b64 s[6:7], s[28:29], 7
	v_add_co_u32 v5, s2, v7, s6
	v_add_co_ci_u32_e64 v6, null, s7, v8, s2
	v_add_co_u32 v3, s2, v5, v3
	v_add_co_ci_u32_e64 v4, null, v6, v4, s2
	s_and_saveexec_b32 s2, vcc_lo
	s_cbranch_execz .LBB107_20
; %bb.19:
	v_mul_f32_e32 v5, s19, v14
	v_mul_f32_e32 v6, s18, v14
	v_fma_f32 v5, v12, s18, -v5
	v_fmac_f32_e32 v6, s19, v12
	global_store_dwordx2 v[3:4], v[5:6], off
.LBB107_20:
	s_or_b32 exec_lo, exec_lo, s2
	s_and_b32 exec_lo, exec_lo, s1
	s_cbranch_execz .LBB107_22
; %bb.21:
	v_mul_f32_e32 v5, s19, v11
	v_mul_f32_e32 v6, s18, v11
	v_fma_f32 v5, v10, s18, -v5
	v_fmac_f32_e32 v6, s19, v10
	global_store_dwordx2 v[3:4], v[5:6], off offset:128
.LBB107_22:
	s_or_b32 exec_lo, exec_lo, s5
	s_mov_b32 s1, 0
.LBB107_23:
	s_andn2_b32 vcc_lo, exec_lo, s1
	s_cbranch_vccnz .LBB107_34
; %bb.24:
	s_and_saveexec_b32 s1, s0
	s_cbranch_execz .LBB107_34
; %bb.25:
	v_mul_lo_u32 v5, v2, s22
	v_mul_lo_u32 v6, v1, s23
	v_mad_u64_u32 v[3:4], null, v1, s22, 0
	v_mul_lo_u32 v9, v2, s28
	v_mul_lo_u32 v13, v1, s29
	v_mad_u64_u32 v[7:8], null, v1, s28, 0
	s_mul_i32 s0, s25, s8
	s_mul_hi_u32 s1, s24, s8
	v_add3_u32 v4, v4, v6, v5
	s_add_i32 s1, s1, s0
	s_mul_i32 s0, s24, s8
	v_add_co_u32 v5, s2, s34, v0
	v_add3_u32 v8, v8, v13, v9
	v_lshlrev_b64 v[3:4], 3, v[3:4]
	s_lshl_b64 s[0:1], s[0:1], 3
	v_add_co_ci_u32_e64 v6, null, s35, 0, s2
	v_lshlrev_b64 v[8:9], 3, v[7:8]
	s_add_u32 s0, s20, s0
	s_addc_u32 s1, s21, s1
	v_add_co_u32 v0, s0, s0, v3
	v_add_co_ci_u32_e64 v7, null, s1, v4, s0
	v_add_co_u32 v8, s0, s3, v8
	v_cmp_gt_i64_e32 vcc_lo, s[12:13], v[5:6]
	v_lshlrev_b64 v[3:4], 3, v[5:6]
	v_add_co_ci_u32_e64 v9, null, s4, v9, s0
	s_and_saveexec_b32 s1, vcc_lo
	s_cbranch_execz .LBB107_27
; %bb.26:
	v_add_co_u32 v15, s0, v0, v3
	v_add_co_ci_u32_e64 v16, null, v7, v4, s0
	v_mul_f32_e32 v13, s19, v21
	v_mul_f32_e32 v17, s18, v21
	global_load_dwordx2 v[15:16], v[15:16], off
	v_fma_f32 v13, v20, s18, -v13
	v_fmac_f32_e32 v17, s19, v20
	s_waitcnt vmcnt(0)
	v_mul_f32_e32 v21, s11, v16
	v_mul_f32_e32 v16, s10, v16
	v_fma_f32 v20, v15, s10, -v21
	v_fmac_f32_e32 v16, s11, v15
	v_add_f32_e32 v15, v13, v20
	v_add_co_u32 v20, s0, v8, v3
	v_add_f32_e32 v16, v17, v16
	v_add_co_ci_u32_e64 v21, null, v9, v4, s0
	global_store_dwordx2 v[20:21], v[15:16], off
.LBB107_27:
	s_or_b32 exec_lo, exec_lo, s1
	v_add_co_u32 v5, s0, v5, 16
	v_add_co_ci_u32_e64 v6, null, 0, v6, s0
	v_cmp_gt_i64_e64 s0, s[12:13], v[5:6]
	s_and_saveexec_b32 s2, s0
	s_cbranch_execz .LBB107_29
; %bb.28:
	v_add_co_u32 v5, s1, v0, v3
	v_add_co_ci_u32_e64 v6, null, v7, v4, s1
	v_mul_f32_e32 v15, s18, v19
	v_mul_f32_e32 v13, s19, v19
	global_load_dwordx2 v[5:6], v[5:6], off offset:128
	v_fmac_f32_e32 v15, s19, v18
	v_fma_f32 v13, v18, s18, -v13
	s_waitcnt vmcnt(0)
	v_mul_f32_e32 v16, s11, v6
	v_mul_f32_e32 v6, s10, v6
	v_fma_f32 v16, v5, s10, -v16
	v_fmac_f32_e32 v6, s11, v5
	v_add_f32_e32 v5, v13, v16
	v_add_f32_e32 v6, v15, v6
	v_add_co_u32 v15, s1, v8, v3
	v_add_co_ci_u32_e64 v16, null, v9, v4, s1
	global_store_dwordx2 v[15:16], v[5:6], off offset:128
.LBB107_29:
	s_or_b32 exec_lo, exec_lo, s2
	v_add_co_u32 v1, s1, v1, 16
	v_add_co_ci_u32_e64 v2, null, 0, v2, s1
	v_cmp_gt_i64_e64 s1, s[14:15], v[1:2]
	s_and_b32 exec_lo, exec_lo, s1
	s_cbranch_execz .LBB107_34
; %bb.30:
	s_lshl_b64 s[2:3], s[22:23], 7
	v_add_co_u32 v0, s1, v0, s2
	v_add_co_ci_u32_e64 v1, null, s3, v7, s1
	s_lshl_b64 s[2:3], s[28:29], 7
	v_add_co_u32 v2, s1, v8, s2
	v_add_co_ci_u32_e64 v7, null, s3, v9, s1
	v_add_co_u32 v5, s1, v0, v3
	v_add_co_ci_u32_e64 v6, null, v1, v4, s1
	;; [unrolled: 2-line block ×3, first 2 shown]
	s_and_saveexec_b32 s1, vcc_lo
	s_cbranch_execz .LBB107_32
; %bb.31:
	global_load_dwordx2 v[2:3], v[5:6], off
	v_mul_f32_e32 v4, s19, v14
	v_mul_f32_e32 v7, s18, v14
	v_fma_f32 v4, v12, s18, -v4
	v_fmac_f32_e32 v7, s19, v12
	s_waitcnt vmcnt(0)
	v_mul_f32_e32 v8, s11, v3
	v_mul_f32_e32 v3, s10, v3
	v_fma_f32 v8, v2, s10, -v8
	v_fmac_f32_e32 v3, s11, v2
	v_add_f32_e32 v2, v4, v8
	v_add_f32_e32 v3, v7, v3
	global_store_dwordx2 v[0:1], v[2:3], off
.LBB107_32:
	s_or_b32 exec_lo, exec_lo, s1
	s_and_b32 exec_lo, exec_lo, s0
	s_cbranch_execz .LBB107_34
; %bb.33:
	global_load_dwordx2 v[2:3], v[5:6], off offset:128
	v_mul_f32_e32 v4, s19, v11
	v_mul_f32_e32 v5, s18, v11
	v_fma_f32 v4, v10, s18, -v4
	v_fmac_f32_e32 v5, s19, v10
	s_waitcnt vmcnt(0)
	v_mul_f32_e32 v6, s11, v3
	v_mul_f32_e32 v3, s10, v3
	v_fma_f32 v6, v2, s10, -v6
	v_fmac_f32_e32 v3, s11, v2
	v_add_f32_e32 v2, v4, v6
	v_add_f32_e32 v3, v5, v3
	global_store_dwordx2 v[0:1], v[2:3], off offset:128
.LBB107_34:
	s_endpgm
	.section	.rodata,"a",@progbits
	.p2align	6, 0x0
	.amdhsa_kernel _ZN12_GLOBAL__N_135rocblas_gemm_batched_general_kernelI19rocblas_complex_numIfELi16ELi16ELi32ELi32ELi8ELi32ELi8ELi8ELi32ELc78ELc78EKS2_S3_S2_EEvlllT_PT11_llS6_llS4_PT12_llPT13_lli
		.amdhsa_group_segment_fixed_size 4096
		.amdhsa_private_segment_fixed_size 0
		.amdhsa_kernarg_size 140
		.amdhsa_user_sgpr_count 6
		.amdhsa_user_sgpr_private_segment_buffer 1
		.amdhsa_user_sgpr_dispatch_ptr 0
		.amdhsa_user_sgpr_queue_ptr 0
		.amdhsa_user_sgpr_kernarg_segment_ptr 1
		.amdhsa_user_sgpr_dispatch_id 0
		.amdhsa_user_sgpr_flat_scratch_init 0
		.amdhsa_user_sgpr_private_segment_size 0
		.amdhsa_wavefront_size32 1
		.amdhsa_uses_dynamic_stack 0
		.amdhsa_system_sgpr_private_segment_wavefront_offset 0
		.amdhsa_system_sgpr_workgroup_id_x 1
		.amdhsa_system_sgpr_workgroup_id_y 1
		.amdhsa_system_sgpr_workgroup_id_z 1
		.amdhsa_system_sgpr_workgroup_info 0
		.amdhsa_system_vgpr_workitem_id 1
		.amdhsa_next_free_vgpr 59
		.amdhsa_next_free_sgpr 38
		.amdhsa_reserve_vcc 1
		.amdhsa_reserve_flat_scratch 0
		.amdhsa_float_round_mode_32 0
		.amdhsa_float_round_mode_16_64 0
		.amdhsa_float_denorm_mode_32 3
		.amdhsa_float_denorm_mode_16_64 3
		.amdhsa_dx10_clamp 1
		.amdhsa_ieee_mode 1
		.amdhsa_fp16_overflow 0
		.amdhsa_workgroup_processor_mode 1
		.amdhsa_memory_ordered 1
		.amdhsa_forward_progress 1
		.amdhsa_shared_vgpr_count 0
		.amdhsa_exception_fp_ieee_invalid_op 0
		.amdhsa_exception_fp_denorm_src 0
		.amdhsa_exception_fp_ieee_div_zero 0
		.amdhsa_exception_fp_ieee_overflow 0
		.amdhsa_exception_fp_ieee_underflow 0
		.amdhsa_exception_fp_ieee_inexact 0
		.amdhsa_exception_int_div_zero 0
	.end_amdhsa_kernel
	.section	.text._ZN12_GLOBAL__N_135rocblas_gemm_batched_general_kernelI19rocblas_complex_numIfELi16ELi16ELi32ELi32ELi8ELi32ELi8ELi8ELi32ELc78ELc78EKS2_S3_S2_EEvlllT_PT11_llS6_llS4_PT12_llPT13_lli,"axG",@progbits,_ZN12_GLOBAL__N_135rocblas_gemm_batched_general_kernelI19rocblas_complex_numIfELi16ELi16ELi32ELi32ELi8ELi32ELi8ELi8ELi32ELc78ELc78EKS2_S3_S2_EEvlllT_PT11_llS6_llS4_PT12_llPT13_lli,comdat
.Lfunc_end107:
	.size	_ZN12_GLOBAL__N_135rocblas_gemm_batched_general_kernelI19rocblas_complex_numIfELi16ELi16ELi32ELi32ELi8ELi32ELi8ELi8ELi32ELc78ELc78EKS2_S3_S2_EEvlllT_PT11_llS6_llS4_PT12_llPT13_lli, .Lfunc_end107-_ZN12_GLOBAL__N_135rocblas_gemm_batched_general_kernelI19rocblas_complex_numIfELi16ELi16ELi32ELi32ELi8ELi32ELi8ELi8ELi32ELc78ELc78EKS2_S3_S2_EEvlllT_PT11_llS6_llS4_PT12_llPT13_lli
                                        ; -- End function
	.set _ZN12_GLOBAL__N_135rocblas_gemm_batched_general_kernelI19rocblas_complex_numIfELi16ELi16ELi32ELi32ELi8ELi32ELi8ELi8ELi32ELc78ELc78EKS2_S3_S2_EEvlllT_PT11_llS6_llS4_PT12_llPT13_lli.num_vgpr, 59
	.set _ZN12_GLOBAL__N_135rocblas_gemm_batched_general_kernelI19rocblas_complex_numIfELi16ELi16ELi32ELi32ELi8ELi32ELi8ELi8ELi32ELc78ELc78EKS2_S3_S2_EEvlllT_PT11_llS6_llS4_PT12_llPT13_lli.num_agpr, 0
	.set _ZN12_GLOBAL__N_135rocblas_gemm_batched_general_kernelI19rocblas_complex_numIfELi16ELi16ELi32ELi32ELi8ELi32ELi8ELi8ELi32ELc78ELc78EKS2_S3_S2_EEvlllT_PT11_llS6_llS4_PT12_llPT13_lli.numbered_sgpr, 38
	.set _ZN12_GLOBAL__N_135rocblas_gemm_batched_general_kernelI19rocblas_complex_numIfELi16ELi16ELi32ELi32ELi8ELi32ELi8ELi8ELi32ELc78ELc78EKS2_S3_S2_EEvlllT_PT11_llS6_llS4_PT12_llPT13_lli.num_named_barrier, 0
	.set _ZN12_GLOBAL__N_135rocblas_gemm_batched_general_kernelI19rocblas_complex_numIfELi16ELi16ELi32ELi32ELi8ELi32ELi8ELi8ELi32ELc78ELc78EKS2_S3_S2_EEvlllT_PT11_llS6_llS4_PT12_llPT13_lli.private_seg_size, 0
	.set _ZN12_GLOBAL__N_135rocblas_gemm_batched_general_kernelI19rocblas_complex_numIfELi16ELi16ELi32ELi32ELi8ELi32ELi8ELi8ELi32ELc78ELc78EKS2_S3_S2_EEvlllT_PT11_llS6_llS4_PT12_llPT13_lli.uses_vcc, 1
	.set _ZN12_GLOBAL__N_135rocblas_gemm_batched_general_kernelI19rocblas_complex_numIfELi16ELi16ELi32ELi32ELi8ELi32ELi8ELi8ELi32ELc78ELc78EKS2_S3_S2_EEvlllT_PT11_llS6_llS4_PT12_llPT13_lli.uses_flat_scratch, 0
	.set _ZN12_GLOBAL__N_135rocblas_gemm_batched_general_kernelI19rocblas_complex_numIfELi16ELi16ELi32ELi32ELi8ELi32ELi8ELi8ELi32ELc78ELc78EKS2_S3_S2_EEvlllT_PT11_llS6_llS4_PT12_llPT13_lli.has_dyn_sized_stack, 0
	.set _ZN12_GLOBAL__N_135rocblas_gemm_batched_general_kernelI19rocblas_complex_numIfELi16ELi16ELi32ELi32ELi8ELi32ELi8ELi8ELi32ELc78ELc78EKS2_S3_S2_EEvlllT_PT11_llS6_llS4_PT12_llPT13_lli.has_recursion, 0
	.set _ZN12_GLOBAL__N_135rocblas_gemm_batched_general_kernelI19rocblas_complex_numIfELi16ELi16ELi32ELi32ELi8ELi32ELi8ELi8ELi32ELc78ELc78EKS2_S3_S2_EEvlllT_PT11_llS6_llS4_PT12_llPT13_lli.has_indirect_call, 0
	.section	.AMDGPU.csdata,"",@progbits
; Kernel info:
; codeLenInByte = 2964
; TotalNumSgprs: 40
; NumVgprs: 59
; ScratchSize: 0
; MemoryBound: 1
; FloatMode: 240
; IeeeMode: 1
; LDSByteSize: 4096 bytes/workgroup (compile time only)
; SGPRBlocks: 0
; VGPRBlocks: 7
; NumSGPRsForWavesPerEU: 40
; NumVGPRsForWavesPerEU: 59
; Occupancy: 16
; WaveLimiterHint : 1
; COMPUTE_PGM_RSRC2:SCRATCH_EN: 0
; COMPUTE_PGM_RSRC2:USER_SGPR: 6
; COMPUTE_PGM_RSRC2:TRAP_HANDLER: 0
; COMPUTE_PGM_RSRC2:TGID_X_EN: 1
; COMPUTE_PGM_RSRC2:TGID_Y_EN: 1
; COMPUTE_PGM_RSRC2:TGID_Z_EN: 1
; COMPUTE_PGM_RSRC2:TIDIG_COMP_CNT: 1
	.section	.text._ZN12_GLOBAL__N_135rocblas_gemm_batched_general_kernelI19rocblas_complex_numIfELi16ELi16ELi32ELi32ELi8ELi32ELi8ELi8ELi32ELc84ELc78EKS2_S3_S2_EEvlllT_PT11_llS6_llS4_PT12_llPT13_lli,"axG",@progbits,_ZN12_GLOBAL__N_135rocblas_gemm_batched_general_kernelI19rocblas_complex_numIfELi16ELi16ELi32ELi32ELi8ELi32ELi8ELi8ELi32ELc84ELc78EKS2_S3_S2_EEvlllT_PT11_llS6_llS4_PT12_llPT13_lli,comdat
	.globl	_ZN12_GLOBAL__N_135rocblas_gemm_batched_general_kernelI19rocblas_complex_numIfELi16ELi16ELi32ELi32ELi8ELi32ELi8ELi8ELi32ELc84ELc78EKS2_S3_S2_EEvlllT_PT11_llS6_llS4_PT12_llPT13_lli ; -- Begin function _ZN12_GLOBAL__N_135rocblas_gemm_batched_general_kernelI19rocblas_complex_numIfELi16ELi16ELi32ELi32ELi8ELi32ELi8ELi8ELi32ELc84ELc78EKS2_S3_S2_EEvlllT_PT11_llS6_llS4_PT12_llPT13_lli
	.p2align	8
	.type	_ZN12_GLOBAL__N_135rocblas_gemm_batched_general_kernelI19rocblas_complex_numIfELi16ELi16ELi32ELi32ELi8ELi32ELi8ELi8ELi32ELc84ELc78EKS2_S3_S2_EEvlllT_PT11_llS6_llS4_PT12_llPT13_lli,@function
_ZN12_GLOBAL__N_135rocblas_gemm_batched_general_kernelI19rocblas_complex_numIfELi16ELi16ELi32ELi32ELi8ELi32ELi8ELi8ELi32ELc84ELc78EKS2_S3_S2_EEvlllT_PT11_llS6_llS4_PT12_llPT13_lli: ; @_ZN12_GLOBAL__N_135rocblas_gemm_batched_general_kernelI19rocblas_complex_numIfELi16ELi16ELi32ELi32ELi8ELi32ELi8ELi8ELi32ELc84ELc78EKS2_S3_S2_EEvlllT_PT11_llS6_llS4_PT12_llPT13_lli
; %bb.0:
	s_clause 0x1
	s_load_dwordx16 s[12:27], s[4:5], 0x0
	s_load_dwordx2 s[10:11], s[4:5], 0x50
	s_mov_b32 s0, s7
	v_mov_b32_e32 v20, 0
	v_mov_b32_e32 v21, 0
	;; [unrolled: 1-line block ×8, first 2 shown]
	s_ashr_i32 s7, s6, 31
	s_ashr_i32 s1, s0, 31
	s_lshl_b64 s[6:7], s[6:7], 5
	s_lshl_b64 s[34:35], s[0:1], 5
	s_waitcnt lgkmcnt(0)
	v_cmp_lt_i64_e64 s2, s[16:17], 1
	s_and_b32 vcc_lo, exec_lo, s2
	s_cbranch_vccnz .LBB108_11
; %bb.1:
	s_load_dwordx4 s[0:3], s[4:5], 0x40
	v_lshl_add_u32 v3, v1, 4, v0
	v_and_b32_e32 v8, 7, v0
	v_mov_b32_e32 v4, s7
	v_mov_b32_e32 v2, 0
	v_lshl_add_u32 v17, v1, 6, 0x800
	v_lshrrev_b32_e32 v10, 3, v3
	v_and_b32_e32 v7, 31, v3
	v_lshlrev_b32_e32 v11, 3, v8
	v_lshrrev_b32_e32 v9, 5, v3
	v_mov_b32_e32 v19, 0
	v_add_co_u32 v5, s9, v10, s34
	v_or_b32_e32 v3, s6, v7
	v_add_co_ci_u32_e64 v6, null, 0, s35, s9
	v_lshlrev_b32_e32 v12, 3, v7
	v_lshl_or_b32 v10, v10, 6, v11
	v_cmp_gt_i64_e32 vcc_lo, s[12:13], v[3:4]
	s_mul_hi_u32 s9, s24, s8
	s_waitcnt lgkmcnt(0)
	v_mul_lo_u32 v13, s1, v5
	v_add_co_u32 v7, s1, s6, v7
	v_add_co_ci_u32_e64 v16, null, s7, 0, s1
	v_mul_lo_u32 v14, s0, v6
	v_mad_u64_u32 v[3:4], null, s0, v5, 0
	v_cmp_gt_i64_e64 s0, s[14:15], v[5:6]
	v_add_nc_u32_e32 v15, 0x800, v10
	v_mul_lo_u32 v10, s23, v7
	v_mul_lo_u32 v18, s22, v16
	v_mad_u64_u32 v[5:6], null, s22, v7, 0
	v_add3_u32 v4, v4, v14, v13
	s_mul_i32 s1, s3, s8
	s_mul_hi_u32 s3, s2, s8
	s_mul_i32 s2, s2, s8
	s_add_i32 s3, s3, s1
	v_lshlrev_b64 v[3:4], 3, v[3:4]
	v_add3_u32 v6, v6, v18, v10
	s_lshl_b64 s[2:3], s[2:3], 3
	s_mul_i32 s1, s25, s8
	s_mul_i32 s22, s24, s8
	s_add_i32 s23, s9, s1
	v_lshlrev_b64 v[5:6], 3, v[5:6]
	v_add_co_u32 v3, s1, v3, s2
	v_add_co_ci_u32_e64 v4, null, s3, v4, s1
	s_lshl_b64 s[2:3], s[22:23], 3
	v_lshlrev_b32_e32 v7, 3, v9
	v_add_co_u32 v5, s1, v5, s2
	v_add_co_ci_u32_e64 v6, null, s3, v6, s1
	v_add_co_u32 v3, s1, v3, v11
	v_add_co_ci_u32_e64 v10, null, 0, v4, s1
	;; [unrolled: 2-line block ×4, first 2 shown]
	v_add_co_u32 v6, s1, s20, v7
	v_lshl_or_b32 v12, v9, 8, v12
	v_lshlrev_b32_e32 v16, 3, v0
	v_add_co_ci_u32_e64 v7, null, s21, v11, s1
	v_mov_b32_e32 v11, 0
	v_mov_b32_e32 v10, 0
	v_mov_b32_e32 v14, 0
	v_mov_b32_e32 v13, 0
	v_mov_b32_e32 v18, 0
	v_mov_b32_e32 v21, 0
	v_mov_b32_e32 v20, 0
	s_mov_b64 s[2:3], 0
	s_xor_b32 s1, vcc_lo, -1
	s_xor_b32 s0, s0, -1
	s_branch .LBB108_3
.LBB108_2:                              ;   in Loop: Header=BB108_3 Depth=1
	s_or_b32 exec_lo, exec_lo, s9
	s_waitcnt lgkmcnt(0)
	s_barrier
	buffer_gl0_inv
	ds_read_b128 v[22:25], v17
	ds_read2_b64 v[26:29], v16 offset1:16
	ds_read_b128 v[30:33], v17 offset:1024
	ds_read_b128 v[34:37], v17 offset:16
	ds_read_b128 v[38:41], v17 offset:32
	ds_read_b128 v[42:45], v17 offset:48
	ds_read2_b64 v[46:49], v16 offset0:32 offset1:48
	ds_read_b128 v[50:53], v17 offset:1040
	s_add_u32 s2, s2, 8
	s_addc_u32 s3, s3, 0
	v_add_co_u32 v4, vcc_lo, v4, 64
	v_cmp_lt_i64_e64 s9, s[2:3], s[16:17]
	v_add_co_ci_u32_e64 v5, null, 0, v5, vcc_lo
	v_add_co_u32 v6, vcc_lo, v6, 64
	v_add_co_ci_u32_e64 v7, null, 0, v7, vcc_lo
	s_and_b32 vcc_lo, exec_lo, s9
	s_waitcnt lgkmcnt(6)
	v_mul_f32_e32 v3, v23, v27
	v_mul_f32_e32 v54, v22, v27
	v_mul_f32_e32 v55, v23, v29
	v_mul_f32_e32 v56, v22, v29
	s_waitcnt lgkmcnt(5)
	v_mul_f32_e32 v57, v31, v27
	v_mul_f32_e32 v27, v30, v27
	;; [unrolled: 1-line block ×3, first 2 shown]
	v_fma_f32 v3, v22, v26, -v3
	v_fmac_f32_e32 v54, v23, v26
	v_fma_f32 v22, v22, v28, -v55
	v_fmac_f32_e32 v56, v23, v28
	v_fma_f32 v23, v30, v26, -v57
	v_mul_f32_e32 v29, v30, v29
	v_fmac_f32_e32 v27, v31, v26
	v_fma_f32 v26, v30, v28, -v58
	v_add_f32_e32 v3, v20, v3
	v_add_f32_e32 v30, v21, v54
	;; [unrolled: 1-line block ×5, first 2 shown]
	s_waitcnt lgkmcnt(1)
	v_mul_f32_e32 v23, v25, v47
	ds_read2_b64 v[18:21], v16 offset0:64 offset1:80
	v_add_f32_e32 v14, v14, v27
	v_mul_f32_e32 v27, v25, v49
	v_fmac_f32_e32 v29, v31, v28
	v_fma_f32 v23, v24, v46, -v23
	v_add_f32_e32 v10, v10, v26
	v_mul_f32_e32 v26, v24, v47
	v_mul_f32_e32 v28, v24, v49
	v_add_f32_e32 v11, v11, v29
	v_add_f32_e32 v3, v3, v23
	v_fma_f32 v23, v24, v48, -v27
	v_mul_f32_e32 v24, v33, v47
	v_fmac_f32_e32 v26, v25, v46
	v_fmac_f32_e32 v28, v25, v48
	v_mul_f32_e32 v25, v32, v47
	v_add_f32_e32 v27, v22, v23
	v_fma_f32 v22, v32, v46, -v24
	v_mul_f32_e32 v23, v33, v49
	v_add_f32_e32 v26, v30, v26
	v_fmac_f32_e32 v25, v33, v46
	v_mul_f32_e32 v29, v32, v49
	v_add_f32_e32 v13, v13, v22
	v_fma_f32 v22, v32, v48, -v23
	s_waitcnt lgkmcnt(0)
	v_mul_f32_e32 v23, v35, v19
	v_mul_f32_e32 v30, v34, v19
	v_mul_f32_e32 v32, v35, v21
	v_add_f32_e32 v14, v14, v25
	v_add_f32_e32 v10, v10, v22
	v_fma_f32 v31, v34, v18, -v23
	ds_read2_b64 v[22:25], v16 offset0:96 offset1:112
	v_fmac_f32_e32 v30, v35, v18
	v_fmac_f32_e32 v29, v33, v48
	v_add_f32_e32 v28, v54, v28
	v_add_f32_e32 v3, v3, v31
	v_fma_f32 v31, v34, v20, -v32
	v_add_f32_e32 v26, v26, v30
	v_mul_f32_e32 v30, v51, v19
	v_mul_f32_e32 v19, v50, v19
	v_add_f32_e32 v11, v11, v29
	v_add_f32_e32 v27, v27, v31
	v_mul_f32_e32 v31, v51, v21
	v_mul_f32_e32 v29, v34, v21
	v_fma_f32 v30, v50, v18, -v30
	v_fmac_f32_e32 v19, v51, v18
	v_mul_f32_e32 v32, v50, v21
	v_fma_f32 v18, v50, v20, -v31
	v_fmac_f32_e32 v29, v35, v20
	v_add_f32_e32 v13, v13, v30
	v_add_f32_e32 v14, v14, v19
	v_fmac_f32_e32 v32, v51, v20
	v_add_f32_e32 v10, v10, v18
	ds_read2_b64 v[18:21], v16 offset0:128 offset1:144
	v_add_f32_e32 v33, v28, v29
	s_waitcnt lgkmcnt(1)
	v_mul_f32_e32 v28, v37, v23
	v_mul_f32_e32 v29, v36, v23
	;; [unrolled: 1-line block ×4, first 2 shown]
	v_add_f32_e32 v11, v11, v32
	v_fma_f32 v28, v36, v22, -v28
	v_fmac_f32_e32 v29, v37, v22
	v_fma_f32 v30, v36, v24, -v30
	v_fmac_f32_e32 v31, v37, v24
	v_mul_f32_e32 v32, v53, v25
	v_add_f32_e32 v3, v3, v28
	v_mul_f32_e32 v28, v53, v23
	v_mul_f32_e32 v23, v52, v23
	v_add_f32_e32 v34, v26, v29
	v_add_f32_e32 v35, v27, v30
	;; [unrolled: 1-line block ×3, first 2 shown]
	v_fma_f32 v30, v52, v22, -v28
	ds_read_b128 v[26:29], v17 offset:1056
	v_fmac_f32_e32 v23, v53, v22
	v_mul_f32_e32 v31, v52, v25
	v_fma_f32 v22, v52, v24, -v32
	s_waitcnt lgkmcnt(1)
	v_mul_f32_e32 v25, v39, v19
	v_add_f32_e32 v13, v13, v30
	v_add_f32_e32 v14, v14, v23
	v_fmac_f32_e32 v31, v53, v24
	v_add_f32_e32 v10, v10, v22
	v_fma_f32 v30, v38, v18, -v25
	ds_read2_b64 v[22:25], v16 offset0:160 offset1:176
	v_mul_f32_e32 v32, v39, v21
	v_mul_f32_e32 v37, v38, v19
	;; [unrolled: 1-line block ×3, first 2 shown]
	v_add_f32_e32 v11, v11, v31
	v_add_f32_e32 v3, v3, v30
	v_fma_f32 v38, v38, v20, -v32
	v_fmac_f32_e32 v37, v39, v18
	ds_read_b128 v[30:33], v17 offset:1072
	v_fmac_f32_e32 v46, v39, v20
	s_waitcnt lgkmcnt(2)
	v_mul_f32_e32 v47, v27, v19
	v_mul_f32_e32 v19, v26, v19
	v_add_f32_e32 v35, v35, v38
	v_mul_f32_e32 v38, v27, v21
	v_add_f32_e32 v34, v34, v37
	v_fma_f32 v37, v26, v18, -v47
	v_fmac_f32_e32 v19, v27, v18
	v_mul_f32_e32 v39, v26, v21
	v_fma_f32 v18, v26, v20, -v38
	v_add_f32_e32 v36, v36, v46
	s_waitcnt lgkmcnt(1)
	v_mul_f32_e32 v21, v41, v23
	v_add_f32_e32 v13, v13, v37
	v_add_f32_e32 v14, v14, v19
	v_fmac_f32_e32 v39, v27, v20
	v_mul_f32_e32 v26, v40, v23
	v_add_f32_e32 v10, v10, v18
	v_fma_f32 v27, v40, v22, -v21
	ds_read2_b64 v[18:21], v16 offset0:192 offset1:208
	v_mul_f32_e32 v37, v41, v25
	v_fmac_f32_e32 v26, v41, v22
	v_add_f32_e32 v11, v11, v39
	v_add_f32_e32 v3, v3, v27
	v_mul_f32_e32 v27, v40, v25
	v_fma_f32 v37, v40, v24, -v37
	v_add_f32_e32 v26, v34, v26
	v_mul_f32_e32 v34, v29, v23
	v_mul_f32_e32 v23, v28, v23
	v_fmac_f32_e32 v27, v41, v24
	v_add_f32_e32 v35, v35, v37
	v_mul_f32_e32 v37, v29, v25
	v_fma_f32 v34, v28, v22, -v34
	v_fmac_f32_e32 v23, v29, v22
	v_add_f32_e32 v27, v36, v27
	v_mul_f32_e32 v36, v28, v25
	v_fma_f32 v22, v28, v24, -v37
	v_add_f32_e32 v13, v13, v34
	v_add_f32_e32 v14, v14, v23
	s_waitcnt lgkmcnt(0)
	v_mul_f32_e32 v28, v43, v19
	v_fmac_f32_e32 v36, v29, v24
	v_add_f32_e32 v10, v10, v22
	ds_read2_b64 v[22:25], v16 offset0:224 offset1:240
	v_mul_f32_e32 v29, v42, v19
	v_fma_f32 v28, v42, v18, -v28
	v_mul_f32_e32 v34, v43, v21
	v_add_f32_e32 v11, v11, v36
	v_mul_f32_e32 v36, v42, v21
	v_fmac_f32_e32 v29, v43, v18
	v_add_f32_e32 v3, v3, v28
	v_mul_f32_e32 v28, v31, v19
	v_fma_f32 v34, v42, v20, -v34
	v_mul_f32_e32 v19, v30, v19
	v_add_f32_e32 v26, v26, v29
	v_fmac_f32_e32 v36, v43, v20
	v_fma_f32 v28, v30, v18, -v28
	v_add_f32_e32 v29, v35, v34
	v_mul_f32_e32 v34, v31, v21
	v_fmac_f32_e32 v19, v31, v18
	v_mul_f32_e32 v18, v30, v21
	v_add_f32_e32 v13, v13, v28
	v_add_f32_e32 v27, v27, v36
	v_fma_f32 v21, v30, v20, -v34
	s_waitcnt lgkmcnt(0)
	v_mul_f32_e32 v28, v45, v23
	v_mul_f32_e32 v30, v44, v23
	v_add_f32_e32 v14, v14, v19
	v_fmac_f32_e32 v18, v31, v20
	v_add_f32_e32 v10, v10, v21
	v_fma_f32 v19, v44, v22, -v28
	v_fmac_f32_e32 v30, v45, v22
	v_mul_f32_e32 v28, v45, v25
	v_mul_f32_e32 v31, v44, v25
	v_add_f32_e32 v11, v11, v18
	v_add_f32_e32 v20, v3, v19
	;; [unrolled: 1-line block ×3, first 2 shown]
	v_fma_f32 v3, v44, v24, -v28
	v_mul_f32_e32 v19, v33, v23
	v_mul_f32_e32 v23, v32, v23
	;; [unrolled: 1-line block ×4, first 2 shown]
	v_fmac_f32_e32 v31, v45, v24
	v_add_f32_e32 v18, v29, v3
	v_fma_f32 v3, v32, v22, -v19
	v_fmac_f32_e32 v23, v33, v22
	v_fma_f32 v22, v32, v24, -v26
	v_fmac_f32_e32 v25, v33, v24
	v_add_f32_e32 v19, v27, v31
	v_add_f32_e32 v13, v13, v3
	v_add_f32_e32 v14, v14, v23
	v_add_f32_e32 v10, v10, v22
	v_add_f32_e32 v11, v11, v25
	s_barrier
	buffer_gl0_inv
	s_cbranch_vccz .LBB108_11
.LBB108_3:                              ; =>This Inner Loop Header: Depth=1
	v_add_co_u32 v22, s9, v9, s2
	v_add_co_ci_u32_e64 v23, null, 0, s3, s9
	v_cmp_le_i64_e32 vcc_lo, s[16:17], v[22:23]
	s_or_b32 s9, s1, vcc_lo
	s_and_saveexec_b32 s20, s9
	s_xor_b32 s9, exec_lo, s20
; %bb.4:                                ;   in Loop: Header=BB108_3 Depth=1
	v_mov_b32_e32 v3, v2
	ds_write_b64 v12, v[2:3]
; %bb.5:                                ;   in Loop: Header=BB108_3 Depth=1
	s_andn2_saveexec_b32 s9, s9
	s_cbranch_execz .LBB108_7
; %bb.6:                                ;   in Loop: Header=BB108_3 Depth=1
	global_load_dwordx2 v[22:23], v[6:7], off
	s_waitcnt vmcnt(0)
	ds_write_b64 v12, v[22:23]
.LBB108_7:                              ;   in Loop: Header=BB108_3 Depth=1
	s_or_b32 exec_lo, exec_lo, s9
	v_add_co_u32 v22, s9, v8, s2
	v_add_co_ci_u32_e64 v23, null, 0, s3, s9
	v_cmp_le_i64_e32 vcc_lo, s[16:17], v[22:23]
	s_or_b32 s9, vcc_lo, s0
	s_and_saveexec_b32 s20, s9
	s_xor_b32 s9, exec_lo, s20
; %bb.8:                                ;   in Loop: Header=BB108_3 Depth=1
	v_mov_b32_e32 v3, v2
	ds_write_b64 v15, v[2:3]
; %bb.9:                                ;   in Loop: Header=BB108_3 Depth=1
	s_andn2_saveexec_b32 s9, s9
	s_cbranch_execz .LBB108_2
; %bb.10:                               ;   in Loop: Header=BB108_3 Depth=1
	global_load_dwordx2 v[22:23], v[4:5], off
	s_waitcnt vmcnt(0)
	ds_write_b64 v15, v[22:23]
	s_branch .LBB108_2
.LBB108_11:
	s_clause 0x1
	s_load_dwordx4 s[28:31], s[4:5], 0x78
	s_load_dwordx8 s[20:27], s[4:5], 0x58
	s_waitcnt lgkmcnt(0)
	s_mul_i32 s1, s31, s8
	s_mul_hi_u32 s2, s30, s8
	s_mul_i32 s0, s30, s8
	s_add_i32 s1, s2, s1
	v_add_co_u32 v1, s2, s34, v1
	v_add_co_ci_u32_e64 v2, null, s35, 0, s2
	s_lshl_b64 s[0:1], s[0:1], 3
	s_add_u32 s3, s26, s0
	s_addc_u32 s4, s27, s1
	s_or_b32 s1, s10, s11
	v_cmp_gt_i64_e64 s0, s[14:15], v[1:2]
	s_bitset0_b32 s1, 31
	s_cmp_lg_u32 s1, 0
	s_mov_b32 s1, -1
	s_cbranch_scc1 .LBB108_23
; %bb.12:
	s_and_saveexec_b32 s5, s0
	s_cbranch_execz .LBB108_22
; %bb.13:
	v_mul_lo_u32 v5, v2, s28
	v_mul_lo_u32 v6, v1, s29
	v_mad_u64_u32 v[3:4], null, v1, s28, 0
	v_add3_u32 v4, v4, v6, v5
	v_add_co_u32 v5, s1, s6, v0
	v_add_co_ci_u32_e64 v6, null, s7, 0, s1
	v_lshlrev_b64 v[7:8], 3, v[3:4]
	v_cmp_gt_i64_e32 vcc_lo, s[12:13], v[5:6]
	v_lshlrev_b64 v[3:4], 3, v[5:6]
	v_add_co_u32 v7, s1, s3, v7
	v_add_co_ci_u32_e64 v8, null, s4, v8, s1
	s_and_saveexec_b32 s2, vcc_lo
	s_cbranch_execz .LBB108_15
; %bb.14:
	v_mul_f32_e32 v9, s19, v21
	v_mul_f32_e32 v16, s18, v21
	v_add_co_u32 v22, s1, v7, v3
	v_add_co_ci_u32_e64 v23, null, v8, v4, s1
	v_fma_f32 v15, v20, s18, -v9
	v_fmac_f32_e32 v16, s19, v20
	global_store_dwordx2 v[22:23], v[15:16], off
.LBB108_15:
	s_or_b32 exec_lo, exec_lo, s2
	v_add_co_u32 v5, s1, v5, 16
	v_add_co_ci_u32_e64 v6, null, 0, v6, s1
	v_cmp_gt_i64_e64 s1, s[12:13], v[5:6]
	s_and_saveexec_b32 s9, s1
	s_cbranch_execz .LBB108_17
; %bb.16:
	v_mul_f32_e32 v5, s19, v19
	v_mul_f32_e32 v6, s18, v19
	v_add_co_u32 v15, s2, v7, v3
	v_add_co_ci_u32_e64 v16, null, v8, v4, s2
	v_fma_f32 v5, v18, s18, -v5
	v_fmac_f32_e32 v6, s19, v18
	global_store_dwordx2 v[15:16], v[5:6], off offset:128
.LBB108_17:
	s_or_b32 exec_lo, exec_lo, s9
	v_add_co_u32 v5, s2, v1, 16
	v_add_co_ci_u32_e64 v6, null, 0, v2, s2
	v_cmp_gt_i64_e64 s2, s[14:15], v[5:6]
	s_and_b32 exec_lo, exec_lo, s2
	s_cbranch_execz .LBB108_22
; %bb.18:
	s_lshl_b64 s[16:17], s[28:29], 7
	v_add_co_u32 v5, s2, v7, s16
	v_add_co_ci_u32_e64 v6, null, s17, v8, s2
	v_add_co_u32 v3, s2, v5, v3
	v_add_co_ci_u32_e64 v4, null, v6, v4, s2
	s_and_saveexec_b32 s2, vcc_lo
	s_cbranch_execz .LBB108_20
; %bb.19:
	v_mul_f32_e32 v5, s19, v14
	v_mul_f32_e32 v6, s18, v14
	v_fma_f32 v5, v13, s18, -v5
	v_fmac_f32_e32 v6, s19, v13
	global_store_dwordx2 v[3:4], v[5:6], off
.LBB108_20:
	s_or_b32 exec_lo, exec_lo, s2
	s_and_b32 exec_lo, exec_lo, s1
	s_cbranch_execz .LBB108_22
; %bb.21:
	v_mul_f32_e32 v5, s19, v11
	v_mul_f32_e32 v6, s18, v11
	v_fma_f32 v5, v10, s18, -v5
	v_fmac_f32_e32 v6, s19, v10
	global_store_dwordx2 v[3:4], v[5:6], off offset:128
.LBB108_22:
	s_or_b32 exec_lo, exec_lo, s5
	s_mov_b32 s1, 0
.LBB108_23:
	s_andn2_b32 vcc_lo, exec_lo, s1
	s_cbranch_vccnz .LBB108_34
; %bb.24:
	s_and_saveexec_b32 s1, s0
	s_cbranch_execz .LBB108_34
; %bb.25:
	v_mul_lo_u32 v5, v2, s22
	v_mul_lo_u32 v6, v1, s23
	v_mad_u64_u32 v[3:4], null, v1, s22, 0
	v_mul_lo_u32 v9, v2, s28
	v_mul_lo_u32 v12, v1, s29
	v_mad_u64_u32 v[7:8], null, v1, s28, 0
	s_mul_i32 s0, s25, s8
	s_mul_hi_u32 s1, s24, s8
	v_add3_u32 v4, v4, v6, v5
	s_add_i32 s1, s1, s0
	s_mul_i32 s0, s24, s8
	v_add_co_u32 v5, s2, s6, v0
	v_add3_u32 v8, v8, v12, v9
	v_lshlrev_b64 v[3:4], 3, v[3:4]
	s_lshl_b64 s[0:1], s[0:1], 3
	v_add_co_ci_u32_e64 v6, null, s7, 0, s2
	v_lshlrev_b64 v[8:9], 3, v[7:8]
	s_add_u32 s0, s20, s0
	s_addc_u32 s1, s21, s1
	v_add_co_u32 v0, s0, s0, v3
	v_add_co_ci_u32_e64 v7, null, s1, v4, s0
	v_add_co_u32 v8, s0, s3, v8
	v_cmp_gt_i64_e32 vcc_lo, s[12:13], v[5:6]
	v_lshlrev_b64 v[3:4], 3, v[5:6]
	v_add_co_ci_u32_e64 v9, null, s4, v9, s0
	s_and_saveexec_b32 s1, vcc_lo
	s_cbranch_execz .LBB108_27
; %bb.26:
	v_add_co_u32 v15, s0, v0, v3
	v_add_co_ci_u32_e64 v16, null, v7, v4, s0
	v_mul_f32_e32 v12, s19, v21
	v_mul_f32_e32 v17, s18, v21
	global_load_dwordx2 v[15:16], v[15:16], off
	v_fma_f32 v12, v20, s18, -v12
	v_fmac_f32_e32 v17, s19, v20
	s_waitcnt vmcnt(0)
	v_mul_f32_e32 v21, s11, v16
	v_mul_f32_e32 v16, s10, v16
	v_fma_f32 v20, v15, s10, -v21
	v_fmac_f32_e32 v16, s11, v15
	v_add_f32_e32 v15, v12, v20
	v_add_co_u32 v20, s0, v8, v3
	v_add_f32_e32 v16, v17, v16
	v_add_co_ci_u32_e64 v21, null, v9, v4, s0
	global_store_dwordx2 v[20:21], v[15:16], off
.LBB108_27:
	s_or_b32 exec_lo, exec_lo, s1
	v_add_co_u32 v5, s0, v5, 16
	v_add_co_ci_u32_e64 v6, null, 0, v6, s0
	v_cmp_gt_i64_e64 s0, s[12:13], v[5:6]
	s_and_saveexec_b32 s2, s0
	s_cbranch_execz .LBB108_29
; %bb.28:
	v_add_co_u32 v5, s1, v0, v3
	v_add_co_ci_u32_e64 v6, null, v7, v4, s1
	v_mul_f32_e32 v15, s18, v19
	v_mul_f32_e32 v12, s19, v19
	global_load_dwordx2 v[5:6], v[5:6], off offset:128
	v_fmac_f32_e32 v15, s19, v18
	v_fma_f32 v12, v18, s18, -v12
	s_waitcnt vmcnt(0)
	v_mul_f32_e32 v16, s11, v6
	v_mul_f32_e32 v6, s10, v6
	v_fma_f32 v16, v5, s10, -v16
	v_fmac_f32_e32 v6, s11, v5
	v_add_f32_e32 v5, v12, v16
	v_add_f32_e32 v6, v15, v6
	v_add_co_u32 v15, s1, v8, v3
	v_add_co_ci_u32_e64 v16, null, v9, v4, s1
	global_store_dwordx2 v[15:16], v[5:6], off offset:128
.LBB108_29:
	s_or_b32 exec_lo, exec_lo, s2
	v_add_co_u32 v1, s1, v1, 16
	v_add_co_ci_u32_e64 v2, null, 0, v2, s1
	v_cmp_gt_i64_e64 s1, s[14:15], v[1:2]
	s_and_b32 exec_lo, exec_lo, s1
	s_cbranch_execz .LBB108_34
; %bb.30:
	s_lshl_b64 s[2:3], s[22:23], 7
	v_add_co_u32 v0, s1, v0, s2
	v_add_co_ci_u32_e64 v1, null, s3, v7, s1
	s_lshl_b64 s[2:3], s[28:29], 7
	v_add_co_u32 v2, s1, v8, s2
	v_add_co_ci_u32_e64 v7, null, s3, v9, s1
	v_add_co_u32 v5, s1, v0, v3
	v_add_co_ci_u32_e64 v6, null, v1, v4, s1
	;; [unrolled: 2-line block ×3, first 2 shown]
	s_and_saveexec_b32 s1, vcc_lo
	s_cbranch_execz .LBB108_32
; %bb.31:
	global_load_dwordx2 v[2:3], v[5:6], off
	v_mul_f32_e32 v4, s19, v14
	v_mul_f32_e32 v7, s18, v14
	v_fma_f32 v4, v13, s18, -v4
	v_fmac_f32_e32 v7, s19, v13
	s_waitcnt vmcnt(0)
	v_mul_f32_e32 v8, s11, v3
	v_mul_f32_e32 v3, s10, v3
	v_fma_f32 v8, v2, s10, -v8
	v_fmac_f32_e32 v3, s11, v2
	v_add_f32_e32 v2, v4, v8
	v_add_f32_e32 v3, v7, v3
	global_store_dwordx2 v[0:1], v[2:3], off
.LBB108_32:
	s_or_b32 exec_lo, exec_lo, s1
	s_and_b32 exec_lo, exec_lo, s0
	s_cbranch_execz .LBB108_34
; %bb.33:
	global_load_dwordx2 v[2:3], v[5:6], off offset:128
	v_mul_f32_e32 v4, s19, v11
	v_mul_f32_e32 v5, s18, v11
	v_fma_f32 v4, v10, s18, -v4
	v_fmac_f32_e32 v5, s19, v10
	s_waitcnt vmcnt(0)
	v_mul_f32_e32 v6, s11, v3
	v_mul_f32_e32 v3, s10, v3
	v_fma_f32 v6, v2, s10, -v6
	v_fmac_f32_e32 v3, s11, v2
	v_add_f32_e32 v2, v4, v6
	v_add_f32_e32 v3, v5, v3
	global_store_dwordx2 v[0:1], v[2:3], off offset:128
.LBB108_34:
	s_endpgm
	.section	.rodata,"a",@progbits
	.p2align	6, 0x0
	.amdhsa_kernel _ZN12_GLOBAL__N_135rocblas_gemm_batched_general_kernelI19rocblas_complex_numIfELi16ELi16ELi32ELi32ELi8ELi32ELi8ELi8ELi32ELc84ELc78EKS2_S3_S2_EEvlllT_PT11_llS6_llS4_PT12_llPT13_lli
		.amdhsa_group_segment_fixed_size 4096
		.amdhsa_private_segment_fixed_size 0
		.amdhsa_kernarg_size 140
		.amdhsa_user_sgpr_count 6
		.amdhsa_user_sgpr_private_segment_buffer 1
		.amdhsa_user_sgpr_dispatch_ptr 0
		.amdhsa_user_sgpr_queue_ptr 0
		.amdhsa_user_sgpr_kernarg_segment_ptr 1
		.amdhsa_user_sgpr_dispatch_id 0
		.amdhsa_user_sgpr_flat_scratch_init 0
		.amdhsa_user_sgpr_private_segment_size 0
		.amdhsa_wavefront_size32 1
		.amdhsa_uses_dynamic_stack 0
		.amdhsa_system_sgpr_private_segment_wavefront_offset 0
		.amdhsa_system_sgpr_workgroup_id_x 1
		.amdhsa_system_sgpr_workgroup_id_y 1
		.amdhsa_system_sgpr_workgroup_id_z 1
		.amdhsa_system_sgpr_workgroup_info 0
		.amdhsa_system_vgpr_workitem_id 1
		.amdhsa_next_free_vgpr 59
		.amdhsa_next_free_sgpr 36
		.amdhsa_reserve_vcc 1
		.amdhsa_reserve_flat_scratch 0
		.amdhsa_float_round_mode_32 0
		.amdhsa_float_round_mode_16_64 0
		.amdhsa_float_denorm_mode_32 3
		.amdhsa_float_denorm_mode_16_64 3
		.amdhsa_dx10_clamp 1
		.amdhsa_ieee_mode 1
		.amdhsa_fp16_overflow 0
		.amdhsa_workgroup_processor_mode 1
		.amdhsa_memory_ordered 1
		.amdhsa_forward_progress 1
		.amdhsa_shared_vgpr_count 0
		.amdhsa_exception_fp_ieee_invalid_op 0
		.amdhsa_exception_fp_denorm_src 0
		.amdhsa_exception_fp_ieee_div_zero 0
		.amdhsa_exception_fp_ieee_overflow 0
		.amdhsa_exception_fp_ieee_underflow 0
		.amdhsa_exception_fp_ieee_inexact 0
		.amdhsa_exception_int_div_zero 0
	.end_amdhsa_kernel
	.section	.text._ZN12_GLOBAL__N_135rocblas_gemm_batched_general_kernelI19rocblas_complex_numIfELi16ELi16ELi32ELi32ELi8ELi32ELi8ELi8ELi32ELc84ELc78EKS2_S3_S2_EEvlllT_PT11_llS6_llS4_PT12_llPT13_lli,"axG",@progbits,_ZN12_GLOBAL__N_135rocblas_gemm_batched_general_kernelI19rocblas_complex_numIfELi16ELi16ELi32ELi32ELi8ELi32ELi8ELi8ELi32ELc84ELc78EKS2_S3_S2_EEvlllT_PT11_llS6_llS4_PT12_llPT13_lli,comdat
.Lfunc_end108:
	.size	_ZN12_GLOBAL__N_135rocblas_gemm_batched_general_kernelI19rocblas_complex_numIfELi16ELi16ELi32ELi32ELi8ELi32ELi8ELi8ELi32ELc84ELc78EKS2_S3_S2_EEvlllT_PT11_llS6_llS4_PT12_llPT13_lli, .Lfunc_end108-_ZN12_GLOBAL__N_135rocblas_gemm_batched_general_kernelI19rocblas_complex_numIfELi16ELi16ELi32ELi32ELi8ELi32ELi8ELi8ELi32ELc84ELc78EKS2_S3_S2_EEvlllT_PT11_llS6_llS4_PT12_llPT13_lli
                                        ; -- End function
	.set _ZN12_GLOBAL__N_135rocblas_gemm_batched_general_kernelI19rocblas_complex_numIfELi16ELi16ELi32ELi32ELi8ELi32ELi8ELi8ELi32ELc84ELc78EKS2_S3_S2_EEvlllT_PT11_llS6_llS4_PT12_llPT13_lli.num_vgpr, 59
	.set _ZN12_GLOBAL__N_135rocblas_gemm_batched_general_kernelI19rocblas_complex_numIfELi16ELi16ELi32ELi32ELi8ELi32ELi8ELi8ELi32ELc84ELc78EKS2_S3_S2_EEvlllT_PT11_llS6_llS4_PT12_llPT13_lli.num_agpr, 0
	.set _ZN12_GLOBAL__N_135rocblas_gemm_batched_general_kernelI19rocblas_complex_numIfELi16ELi16ELi32ELi32ELi8ELi32ELi8ELi8ELi32ELc84ELc78EKS2_S3_S2_EEvlllT_PT11_llS6_llS4_PT12_llPT13_lli.numbered_sgpr, 36
	.set _ZN12_GLOBAL__N_135rocblas_gemm_batched_general_kernelI19rocblas_complex_numIfELi16ELi16ELi32ELi32ELi8ELi32ELi8ELi8ELi32ELc84ELc78EKS2_S3_S2_EEvlllT_PT11_llS6_llS4_PT12_llPT13_lli.num_named_barrier, 0
	.set _ZN12_GLOBAL__N_135rocblas_gemm_batched_general_kernelI19rocblas_complex_numIfELi16ELi16ELi32ELi32ELi8ELi32ELi8ELi8ELi32ELc84ELc78EKS2_S3_S2_EEvlllT_PT11_llS6_llS4_PT12_llPT13_lli.private_seg_size, 0
	.set _ZN12_GLOBAL__N_135rocblas_gemm_batched_general_kernelI19rocblas_complex_numIfELi16ELi16ELi32ELi32ELi8ELi32ELi8ELi8ELi32ELc84ELc78EKS2_S3_S2_EEvlllT_PT11_llS6_llS4_PT12_llPT13_lli.uses_vcc, 1
	.set _ZN12_GLOBAL__N_135rocblas_gemm_batched_general_kernelI19rocblas_complex_numIfELi16ELi16ELi32ELi32ELi8ELi32ELi8ELi8ELi32ELc84ELc78EKS2_S3_S2_EEvlllT_PT11_llS6_llS4_PT12_llPT13_lli.uses_flat_scratch, 0
	.set _ZN12_GLOBAL__N_135rocblas_gemm_batched_general_kernelI19rocblas_complex_numIfELi16ELi16ELi32ELi32ELi8ELi32ELi8ELi8ELi32ELc84ELc78EKS2_S3_S2_EEvlllT_PT11_llS6_llS4_PT12_llPT13_lli.has_dyn_sized_stack, 0
	.set _ZN12_GLOBAL__N_135rocblas_gemm_batched_general_kernelI19rocblas_complex_numIfELi16ELi16ELi32ELi32ELi8ELi32ELi8ELi8ELi32ELc84ELc78EKS2_S3_S2_EEvlllT_PT11_llS6_llS4_PT12_llPT13_lli.has_recursion, 0
	.set _ZN12_GLOBAL__N_135rocblas_gemm_batched_general_kernelI19rocblas_complex_numIfELi16ELi16ELi32ELi32ELi8ELi32ELi8ELi8ELi32ELc84ELc78EKS2_S3_S2_EEvlllT_PT11_llS6_llS4_PT12_llPT13_lli.has_indirect_call, 0
	.section	.AMDGPU.csdata,"",@progbits
; Kernel info:
; codeLenInByte = 2976
; TotalNumSgprs: 38
; NumVgprs: 59
; ScratchSize: 0
; MemoryBound: 1
; FloatMode: 240
; IeeeMode: 1
; LDSByteSize: 4096 bytes/workgroup (compile time only)
; SGPRBlocks: 0
; VGPRBlocks: 7
; NumSGPRsForWavesPerEU: 38
; NumVGPRsForWavesPerEU: 59
; Occupancy: 16
; WaveLimiterHint : 1
; COMPUTE_PGM_RSRC2:SCRATCH_EN: 0
; COMPUTE_PGM_RSRC2:USER_SGPR: 6
; COMPUTE_PGM_RSRC2:TRAP_HANDLER: 0
; COMPUTE_PGM_RSRC2:TGID_X_EN: 1
; COMPUTE_PGM_RSRC2:TGID_Y_EN: 1
; COMPUTE_PGM_RSRC2:TGID_Z_EN: 1
; COMPUTE_PGM_RSRC2:TIDIG_COMP_CNT: 1
	.section	.text._ZN12_GLOBAL__N_135rocblas_gemm_batched_general_kernelI19rocblas_complex_numIfELi16ELi16ELi32ELi32ELi8ELi32ELi8ELi8ELi32ELc78ELc84EKS2_S3_S2_EEvlllT_PT11_llS6_llS4_PT12_llPT13_lli,"axG",@progbits,_ZN12_GLOBAL__N_135rocblas_gemm_batched_general_kernelI19rocblas_complex_numIfELi16ELi16ELi32ELi32ELi8ELi32ELi8ELi8ELi32ELc78ELc84EKS2_S3_S2_EEvlllT_PT11_llS6_llS4_PT12_llPT13_lli,comdat
	.globl	_ZN12_GLOBAL__N_135rocblas_gemm_batched_general_kernelI19rocblas_complex_numIfELi16ELi16ELi32ELi32ELi8ELi32ELi8ELi8ELi32ELc78ELc84EKS2_S3_S2_EEvlllT_PT11_llS6_llS4_PT12_llPT13_lli ; -- Begin function _ZN12_GLOBAL__N_135rocblas_gemm_batched_general_kernelI19rocblas_complex_numIfELi16ELi16ELi32ELi32ELi8ELi32ELi8ELi8ELi32ELc78ELc84EKS2_S3_S2_EEvlllT_PT11_llS6_llS4_PT12_llPT13_lli
	.p2align	8
	.type	_ZN12_GLOBAL__N_135rocblas_gemm_batched_general_kernelI19rocblas_complex_numIfELi16ELi16ELi32ELi32ELi8ELi32ELi8ELi8ELi32ELc78ELc84EKS2_S3_S2_EEvlllT_PT11_llS6_llS4_PT12_llPT13_lli,@function
_ZN12_GLOBAL__N_135rocblas_gemm_batched_general_kernelI19rocblas_complex_numIfELi16ELi16ELi32ELi32ELi8ELi32ELi8ELi8ELi32ELc78ELc84EKS2_S3_S2_EEvlllT_PT11_llS6_llS4_PT12_llPT13_lli: ; @_ZN12_GLOBAL__N_135rocblas_gemm_batched_general_kernelI19rocblas_complex_numIfELi16ELi16ELi32ELi32ELi8ELi32ELi8ELi8ELi32ELc78ELc84EKS2_S3_S2_EEvlllT_PT11_llS6_llS4_PT12_llPT13_lli
; %bb.0:
	s_clause 0x1
	s_load_dwordx16 s[12:27], s[4:5], 0x0
	s_load_dwordx2 s[10:11], s[4:5], 0x50
	s_mov_b32 s0, s7
	v_mov_b32_e32 v20, 0
	v_mov_b32_e32 v21, 0
	;; [unrolled: 1-line block ×8, first 2 shown]
	s_ashr_i32 s7, s6, 31
	s_ashr_i32 s1, s0, 31
	s_lshl_b64 s[34:35], s[6:7], 5
	s_waitcnt lgkmcnt(0)
	v_cmp_lt_i64_e64 s2, s[16:17], 1
	s_and_b32 vcc_lo, exec_lo, s2
	s_lshl_b64 s[2:3], s[0:1], 5
	s_cbranch_vccnz .LBB109_11
; %bb.1:
	s_load_dwordx4 s[28:31], s[4:5], 0x40
	v_lshl_add_u32 v3, v1, 4, v0
	v_and_b32_e32 v8, 7, v0
	v_mov_b32_e32 v4, s35
	s_lshl_b64 s[36:37], s[0:1], 8
	s_mul_i32 s1, s25, s8
	v_lshrrev_b32_e32 v13, 5, v3
	v_and_b32_e32 v7, 31, v3
	v_lshrrev_b32_e32 v16, 3, v3
	v_and_b32_e32 v18, 0x1ff8, v3
	s_mul_hi_u32 s9, s24, s8
	v_mad_u64_u32 v[11:12], null, s22, v13, 0
	v_or_b32_e32 v3, s34, v7
	v_lshlrev_b32_e32 v19, 3, v7
	s_mul_i32 s24, s24, s8
	v_lshlrev_b32_e32 v17, 3, v8
	v_add_co_u32 v14, s0, v16, s2
	v_cmp_gt_i64_e32 vcc_lo, s[12:13], v[3:4]
	s_waitcnt lgkmcnt(0)
	v_mad_u64_u32 v[5:6], null, s28, v8, 0
	v_mov_b32_e32 v3, v12
	s_mul_i32 s25, s31, s8
	s_mul_hi_u32 s31, s30, s8
	s_mul_i32 s30, s30, s8
	s_add_i32 s31, s31, s25
	v_mad_u64_u32 v[3:4], null, s23, v13, v[3:4]
	v_mad_u64_u32 v[6:7], null, s29, v8, v[6:7]
	s_lshl_b64 s[30:31], s[30:31], 3
	v_add_co_ci_u32_e64 v15, null, 0, s3, s0
	s_add_u32 s30, s36, s30
	v_mov_b32_e32 v12, v3
	s_addc_u32 s31, s37, s31
	v_lshlrev_b64 v[3:4], 3, v[5:6]
	s_add_i32 s25, s9, s1
	v_lshl_or_b32 v17, v16, 6, v17
	v_lshlrev_b64 v[5:6], 3, v[11:12]
	s_lshl_b64 s[24:25], s[24:25], 3
	v_cmp_gt_i64_e64 s0, s[14:15], v[14:15]
	v_add_co_u32 v3, s1, s30, v3
	v_add_co_ci_u32_e64 v4, null, s31, v4, s1
	s_lshl_b64 s[30:31], s[6:7], 8
	s_lshl_b64 s[6:7], s[28:29], 6
	s_add_u32 s1, s30, s24
	s_addc_u32 s9, s31, s25
	v_add_co_u32 v5, s1, s1, v5
	v_add_co_ci_u32_e64 v6, null, s9, v6, s1
	v_add_co_u32 v3, s1, v3, v18
	v_add_co_ci_u32_e64 v7, null, 0, v4, s1
	;; [unrolled: 2-line block ×4, first 2 shown]
	v_add_co_u32 v6, s1, s20, v11
	v_mov_b32_e32 v2, 0
	v_lshlrev_b32_e32 v9, 3, v0
	v_lshl_add_u32 v10, v1, 6, 0x800
	v_lshl_or_b32 v16, v13, 8, v19
	v_add_nc_u32_e32 v17, 0x800, v17
	v_add_co_ci_u32_e64 v7, null, s21, v12, s1
	v_mov_b32_e32 v12, 0
	v_mov_b32_e32 v11, 0
	;; [unrolled: 1-line block ×8, first 2 shown]
	s_lshl_b64 s[20:21], s[22:23], 6
	s_mov_b64 s[22:23], 0
	s_xor_b32 s1, vcc_lo, -1
	s_xor_b32 s0, s0, -1
	s_branch .LBB109_3
.LBB109_2:                              ;   in Loop: Header=BB109_3 Depth=1
	s_or_b32 exec_lo, exec_lo, s9
	s_waitcnt lgkmcnt(0)
	s_barrier
	buffer_gl0_inv
	ds_read_b128 v[22:25], v10
	ds_read2_b64 v[26:29], v9 offset1:16
	ds_read_b128 v[30:33], v10 offset:1024
	ds_read_b128 v[34:37], v10 offset:16
	;; [unrolled: 1-line block ×4, first 2 shown]
	ds_read2_b64 v[46:49], v9 offset0:32 offset1:48
	ds_read_b128 v[50:53], v10 offset:1040
	s_add_u32 s22, s22, 8
	s_addc_u32 s23, s23, 0
	v_add_co_u32 v4, vcc_lo, v4, s6
	v_cmp_lt_i64_e64 s9, s[22:23], s[16:17]
	v_add_co_ci_u32_e64 v5, null, s7, v5, vcc_lo
	v_add_co_u32 v6, vcc_lo, v6, s20
	v_add_co_ci_u32_e64 v7, null, s21, v7, vcc_lo
	s_and_b32 vcc_lo, exec_lo, s9
	s_waitcnt lgkmcnt(6)
	v_mul_f32_e32 v3, v23, v27
	v_mul_f32_e32 v54, v22, v27
	;; [unrolled: 1-line block ×4, first 2 shown]
	s_waitcnt lgkmcnt(5)
	v_mul_f32_e32 v57, v31, v27
	v_mul_f32_e32 v27, v30, v27
	;; [unrolled: 1-line block ×3, first 2 shown]
	v_fma_f32 v3, v22, v26, -v3
	v_fmac_f32_e32 v54, v23, v26
	v_fma_f32 v22, v22, v28, -v55
	v_fmac_f32_e32 v56, v23, v28
	v_fma_f32 v23, v30, v26, -v57
	v_mul_f32_e32 v29, v30, v29
	v_fmac_f32_e32 v27, v31, v26
	v_fma_f32 v26, v30, v28, -v58
	v_add_f32_e32 v3, v20, v3
	v_add_f32_e32 v30, v21, v54
	;; [unrolled: 1-line block ×5, first 2 shown]
	s_waitcnt lgkmcnt(1)
	v_mul_f32_e32 v23, v25, v47
	ds_read2_b64 v[18:21], v9 offset0:64 offset1:80
	v_add_f32_e32 v15, v15, v27
	v_mul_f32_e32 v27, v25, v49
	v_fmac_f32_e32 v29, v31, v28
	v_fma_f32 v23, v24, v46, -v23
	v_add_f32_e32 v11, v11, v26
	v_mul_f32_e32 v26, v24, v47
	v_mul_f32_e32 v28, v24, v49
	v_add_f32_e32 v12, v12, v29
	v_add_f32_e32 v3, v3, v23
	v_fma_f32 v23, v24, v48, -v27
	v_mul_f32_e32 v24, v33, v47
	v_fmac_f32_e32 v26, v25, v46
	v_fmac_f32_e32 v28, v25, v48
	v_mul_f32_e32 v25, v32, v47
	v_add_f32_e32 v27, v22, v23
	v_fma_f32 v22, v32, v46, -v24
	v_mul_f32_e32 v23, v33, v49
	v_add_f32_e32 v26, v30, v26
	v_fmac_f32_e32 v25, v33, v46
	v_mul_f32_e32 v29, v32, v49
	v_add_f32_e32 v14, v14, v22
	v_fma_f32 v22, v32, v48, -v23
	s_waitcnt lgkmcnt(0)
	v_mul_f32_e32 v23, v35, v19
	v_mul_f32_e32 v30, v34, v19
	;; [unrolled: 1-line block ×3, first 2 shown]
	v_add_f32_e32 v15, v15, v25
	v_add_f32_e32 v11, v11, v22
	v_fma_f32 v31, v34, v18, -v23
	ds_read2_b64 v[22:25], v9 offset0:96 offset1:112
	v_fmac_f32_e32 v30, v35, v18
	v_fmac_f32_e32 v29, v33, v48
	v_add_f32_e32 v28, v54, v28
	v_add_f32_e32 v3, v3, v31
	v_fma_f32 v31, v34, v20, -v32
	v_add_f32_e32 v26, v26, v30
	v_mul_f32_e32 v30, v51, v19
	v_mul_f32_e32 v19, v50, v19
	v_add_f32_e32 v12, v12, v29
	v_add_f32_e32 v27, v27, v31
	v_mul_f32_e32 v31, v51, v21
	v_mul_f32_e32 v29, v34, v21
	v_fma_f32 v30, v50, v18, -v30
	v_fmac_f32_e32 v19, v51, v18
	v_mul_f32_e32 v32, v50, v21
	v_fma_f32 v18, v50, v20, -v31
	v_fmac_f32_e32 v29, v35, v20
	v_add_f32_e32 v14, v14, v30
	v_add_f32_e32 v15, v15, v19
	v_fmac_f32_e32 v32, v51, v20
	v_add_f32_e32 v11, v11, v18
	ds_read2_b64 v[18:21], v9 offset0:128 offset1:144
	v_add_f32_e32 v33, v28, v29
	s_waitcnt lgkmcnt(1)
	v_mul_f32_e32 v28, v37, v23
	v_mul_f32_e32 v29, v36, v23
	;; [unrolled: 1-line block ×4, first 2 shown]
	v_add_f32_e32 v12, v12, v32
	v_fma_f32 v28, v36, v22, -v28
	v_fmac_f32_e32 v29, v37, v22
	v_fma_f32 v30, v36, v24, -v30
	v_fmac_f32_e32 v31, v37, v24
	v_mul_f32_e32 v32, v53, v25
	v_add_f32_e32 v3, v3, v28
	v_mul_f32_e32 v28, v53, v23
	v_mul_f32_e32 v23, v52, v23
	v_add_f32_e32 v34, v26, v29
	v_add_f32_e32 v35, v27, v30
	;; [unrolled: 1-line block ×3, first 2 shown]
	v_fma_f32 v30, v52, v22, -v28
	ds_read_b128 v[26:29], v10 offset:1056
	v_fmac_f32_e32 v23, v53, v22
	v_mul_f32_e32 v31, v52, v25
	v_fma_f32 v22, v52, v24, -v32
	s_waitcnt lgkmcnt(1)
	v_mul_f32_e32 v25, v39, v19
	v_add_f32_e32 v14, v14, v30
	v_add_f32_e32 v15, v15, v23
	v_fmac_f32_e32 v31, v53, v24
	v_add_f32_e32 v11, v11, v22
	v_fma_f32 v30, v38, v18, -v25
	ds_read2_b64 v[22:25], v9 offset0:160 offset1:176
	v_mul_f32_e32 v32, v39, v21
	v_mul_f32_e32 v37, v38, v19
	;; [unrolled: 1-line block ×3, first 2 shown]
	v_add_f32_e32 v12, v12, v31
	v_add_f32_e32 v3, v3, v30
	v_fma_f32 v38, v38, v20, -v32
	v_fmac_f32_e32 v37, v39, v18
	ds_read_b128 v[30:33], v10 offset:1072
	v_fmac_f32_e32 v46, v39, v20
	s_waitcnt lgkmcnt(2)
	v_mul_f32_e32 v47, v27, v19
	v_mul_f32_e32 v19, v26, v19
	v_add_f32_e32 v35, v35, v38
	v_mul_f32_e32 v38, v27, v21
	v_add_f32_e32 v34, v34, v37
	v_fma_f32 v37, v26, v18, -v47
	v_fmac_f32_e32 v19, v27, v18
	v_mul_f32_e32 v39, v26, v21
	v_fma_f32 v18, v26, v20, -v38
	v_add_f32_e32 v36, v36, v46
	s_waitcnt lgkmcnt(1)
	v_mul_f32_e32 v21, v41, v23
	v_add_f32_e32 v14, v14, v37
	v_add_f32_e32 v15, v15, v19
	v_fmac_f32_e32 v39, v27, v20
	v_mul_f32_e32 v26, v40, v23
	v_add_f32_e32 v11, v11, v18
	v_fma_f32 v27, v40, v22, -v21
	ds_read2_b64 v[18:21], v9 offset0:192 offset1:208
	v_mul_f32_e32 v37, v41, v25
	v_fmac_f32_e32 v26, v41, v22
	v_add_f32_e32 v12, v12, v39
	v_add_f32_e32 v3, v3, v27
	v_mul_f32_e32 v27, v40, v25
	v_fma_f32 v37, v40, v24, -v37
	v_add_f32_e32 v26, v34, v26
	v_mul_f32_e32 v34, v29, v23
	v_mul_f32_e32 v23, v28, v23
	v_fmac_f32_e32 v27, v41, v24
	v_add_f32_e32 v35, v35, v37
	v_mul_f32_e32 v37, v29, v25
	v_fma_f32 v34, v28, v22, -v34
	v_fmac_f32_e32 v23, v29, v22
	v_add_f32_e32 v27, v36, v27
	v_mul_f32_e32 v36, v28, v25
	v_fma_f32 v22, v28, v24, -v37
	v_add_f32_e32 v14, v14, v34
	v_add_f32_e32 v15, v15, v23
	s_waitcnt lgkmcnt(0)
	v_mul_f32_e32 v28, v43, v19
	v_fmac_f32_e32 v36, v29, v24
	v_add_f32_e32 v11, v11, v22
	ds_read2_b64 v[22:25], v9 offset0:224 offset1:240
	v_mul_f32_e32 v29, v42, v19
	v_fma_f32 v28, v42, v18, -v28
	v_mul_f32_e32 v34, v43, v21
	v_add_f32_e32 v12, v12, v36
	v_mul_f32_e32 v36, v42, v21
	v_fmac_f32_e32 v29, v43, v18
	v_add_f32_e32 v3, v3, v28
	v_mul_f32_e32 v28, v31, v19
	v_fma_f32 v34, v42, v20, -v34
	v_mul_f32_e32 v19, v30, v19
	v_add_f32_e32 v26, v26, v29
	v_fmac_f32_e32 v36, v43, v20
	v_fma_f32 v28, v30, v18, -v28
	v_add_f32_e32 v29, v35, v34
	v_mul_f32_e32 v34, v31, v21
	v_fmac_f32_e32 v19, v31, v18
	v_mul_f32_e32 v18, v30, v21
	v_add_f32_e32 v14, v14, v28
	v_add_f32_e32 v27, v27, v36
	v_fma_f32 v21, v30, v20, -v34
	s_waitcnt lgkmcnt(0)
	v_mul_f32_e32 v28, v45, v23
	v_mul_f32_e32 v30, v44, v23
	v_add_f32_e32 v15, v15, v19
	v_fmac_f32_e32 v18, v31, v20
	v_add_f32_e32 v11, v11, v21
	v_fma_f32 v19, v44, v22, -v28
	v_fmac_f32_e32 v30, v45, v22
	v_mul_f32_e32 v28, v45, v25
	v_mul_f32_e32 v31, v44, v25
	v_add_f32_e32 v12, v12, v18
	v_add_f32_e32 v20, v3, v19
	v_add_f32_e32 v21, v26, v30
	v_fma_f32 v3, v44, v24, -v28
	v_mul_f32_e32 v19, v33, v23
	v_mul_f32_e32 v23, v32, v23
	;; [unrolled: 1-line block ×4, first 2 shown]
	v_fmac_f32_e32 v31, v45, v24
	v_add_f32_e32 v18, v29, v3
	v_fma_f32 v3, v32, v22, -v19
	v_fmac_f32_e32 v23, v33, v22
	v_fma_f32 v22, v32, v24, -v26
	v_fmac_f32_e32 v25, v33, v24
	v_add_f32_e32 v19, v27, v31
	v_add_f32_e32 v14, v14, v3
	;; [unrolled: 1-line block ×5, first 2 shown]
	s_barrier
	buffer_gl0_inv
	s_cbranch_vccz .LBB109_11
.LBB109_3:                              ; =>This Inner Loop Header: Depth=1
	v_add_co_u32 v22, s9, v13, s22
	v_add_co_ci_u32_e64 v23, null, 0, s23, s9
	v_cmp_le_i64_e32 vcc_lo, s[16:17], v[22:23]
	s_or_b32 s9, s1, vcc_lo
	s_and_saveexec_b32 s24, s9
	s_xor_b32 s9, exec_lo, s24
; %bb.4:                                ;   in Loop: Header=BB109_3 Depth=1
	v_mov_b32_e32 v3, v2
	ds_write_b64 v16, v[2:3]
; %bb.5:                                ;   in Loop: Header=BB109_3 Depth=1
	s_andn2_saveexec_b32 s9, s9
	s_cbranch_execz .LBB109_7
; %bb.6:                                ;   in Loop: Header=BB109_3 Depth=1
	global_load_dwordx2 v[22:23], v[6:7], off
	s_waitcnt vmcnt(0)
	ds_write_b64 v16, v[22:23]
.LBB109_7:                              ;   in Loop: Header=BB109_3 Depth=1
	s_or_b32 exec_lo, exec_lo, s9
	v_add_co_u32 v22, s9, v8, s22
	v_add_co_ci_u32_e64 v23, null, 0, s23, s9
	v_cmp_le_i64_e32 vcc_lo, s[16:17], v[22:23]
	s_or_b32 s9, vcc_lo, s0
	s_and_saveexec_b32 s24, s9
	s_xor_b32 s9, exec_lo, s24
; %bb.8:                                ;   in Loop: Header=BB109_3 Depth=1
	v_mov_b32_e32 v3, v2
	ds_write_b64 v17, v[2:3]
; %bb.9:                                ;   in Loop: Header=BB109_3 Depth=1
	s_andn2_saveexec_b32 s9, s9
	s_cbranch_execz .LBB109_2
; %bb.10:                               ;   in Loop: Header=BB109_3 Depth=1
	global_load_dwordx2 v[22:23], v[4:5], off
	s_waitcnt vmcnt(0)
	ds_write_b64 v17, v[22:23]
	s_branch .LBB109_2
.LBB109_11:
	s_clause 0x1
	s_load_dwordx4 s[28:31], s[4:5], 0x78
	s_load_dwordx8 s[20:27], s[4:5], 0x58
	v_add_co_u32 v1, s2, s2, v1
	v_add_co_ci_u32_e64 v2, null, s3, 0, s2
	s_waitcnt lgkmcnt(0)
	s_mul_i32 s1, s31, s8
	s_mul_hi_u32 s4, s30, s8
	s_mul_i32 s0, s30, s8
	s_add_i32 s1, s4, s1
	s_lshl_b64 s[0:1], s[0:1], 3
	s_add_u32 s3, s26, s0
	s_addc_u32 s4, s27, s1
	s_or_b32 s1, s10, s11
	v_cmp_gt_i64_e64 s0, s[14:15], v[1:2]
	s_bitset0_b32 s1, 31
	s_cmp_lg_u32 s1, 0
	s_mov_b32 s1, -1
	s_cbranch_scc1 .LBB109_23
; %bb.12:
	s_and_saveexec_b32 s5, s0
	s_cbranch_execz .LBB109_22
; %bb.13:
	v_mul_lo_u32 v5, v2, s28
	v_mul_lo_u32 v6, v1, s29
	v_mad_u64_u32 v[3:4], null, v1, s28, 0
	v_add3_u32 v4, v4, v6, v5
	v_add_co_u32 v5, s1, s34, v0
	v_add_co_ci_u32_e64 v6, null, s35, 0, s1
	v_lshlrev_b64 v[7:8], 3, v[3:4]
	v_cmp_gt_i64_e32 vcc_lo, s[12:13], v[5:6]
	v_lshlrev_b64 v[3:4], 3, v[5:6]
	v_add_co_u32 v7, s1, s3, v7
	v_add_co_ci_u32_e64 v8, null, s4, v8, s1
	s_and_saveexec_b32 s2, vcc_lo
	s_cbranch_execz .LBB109_15
; %bb.14:
	v_mul_f32_e32 v9, s19, v21
	v_mul_f32_e32 v10, s18, v21
	v_add_co_u32 v16, s1, v7, v3
	v_add_co_ci_u32_e64 v17, null, v8, v4, s1
	v_fma_f32 v9, v20, s18, -v9
	v_fmac_f32_e32 v10, s19, v20
	global_store_dwordx2 v[16:17], v[9:10], off
.LBB109_15:
	s_or_b32 exec_lo, exec_lo, s2
	v_add_co_u32 v5, s1, v5, 16
	v_add_co_ci_u32_e64 v6, null, 0, v6, s1
	v_cmp_gt_i64_e64 s1, s[12:13], v[5:6]
	s_and_saveexec_b32 s6, s1
	s_cbranch_execz .LBB109_17
; %bb.16:
	v_mul_f32_e32 v5, s19, v19
	v_mul_f32_e32 v6, s18, v19
	v_add_co_u32 v9, s2, v7, v3
	v_add_co_ci_u32_e64 v10, null, v8, v4, s2
	v_fma_f32 v5, v18, s18, -v5
	v_fmac_f32_e32 v6, s19, v18
	global_store_dwordx2 v[9:10], v[5:6], off offset:128
.LBB109_17:
	s_or_b32 exec_lo, exec_lo, s6
	v_add_co_u32 v5, s2, v1, 16
	v_add_co_ci_u32_e64 v6, null, 0, v2, s2
	v_cmp_gt_i64_e64 s2, s[14:15], v[5:6]
	s_and_b32 exec_lo, exec_lo, s2
	s_cbranch_execz .LBB109_22
; %bb.18:
	s_lshl_b64 s[6:7], s[28:29], 7
	v_add_co_u32 v5, s2, v7, s6
	v_add_co_ci_u32_e64 v6, null, s7, v8, s2
	v_add_co_u32 v3, s2, v5, v3
	v_add_co_ci_u32_e64 v4, null, v6, v4, s2
	s_and_saveexec_b32 s2, vcc_lo
	s_cbranch_execz .LBB109_20
; %bb.19:
	v_mul_f32_e32 v5, s19, v15
	v_mul_f32_e32 v6, s18, v15
	v_fma_f32 v5, v14, s18, -v5
	v_fmac_f32_e32 v6, s19, v14
	global_store_dwordx2 v[3:4], v[5:6], off
.LBB109_20:
	s_or_b32 exec_lo, exec_lo, s2
	s_and_b32 exec_lo, exec_lo, s1
	s_cbranch_execz .LBB109_22
; %bb.21:
	v_mul_f32_e32 v5, s19, v12
	v_mul_f32_e32 v6, s18, v12
	v_fma_f32 v5, v11, s18, -v5
	v_fmac_f32_e32 v6, s19, v11
	global_store_dwordx2 v[3:4], v[5:6], off offset:128
.LBB109_22:
	s_or_b32 exec_lo, exec_lo, s5
	s_mov_b32 s1, 0
.LBB109_23:
	s_andn2_b32 vcc_lo, exec_lo, s1
	s_cbranch_vccnz .LBB109_34
; %bb.24:
	s_and_saveexec_b32 s1, s0
	s_cbranch_execz .LBB109_34
; %bb.25:
	v_mul_lo_u32 v5, v2, s22
	v_mul_lo_u32 v6, v1, s23
	v_mad_u64_u32 v[3:4], null, v1, s22, 0
	v_mul_lo_u32 v9, v2, s28
	v_mul_lo_u32 v10, v1, s29
	v_mad_u64_u32 v[7:8], null, v1, s28, 0
	s_mul_i32 s0, s25, s8
	s_mul_hi_u32 s1, s24, s8
	v_add3_u32 v4, v4, v6, v5
	s_add_i32 s1, s1, s0
	s_mul_i32 s0, s24, s8
	v_add_co_u32 v5, s2, s34, v0
	v_add3_u32 v8, v8, v10, v9
	v_lshlrev_b64 v[3:4], 3, v[3:4]
	s_lshl_b64 s[0:1], s[0:1], 3
	v_add_co_ci_u32_e64 v6, null, s35, 0, s2
	v_lshlrev_b64 v[8:9], 3, v[7:8]
	s_add_u32 s0, s20, s0
	s_addc_u32 s1, s21, s1
	v_add_co_u32 v0, s0, s0, v3
	v_add_co_ci_u32_e64 v7, null, s1, v4, s0
	v_add_co_u32 v8, s0, s3, v8
	v_cmp_gt_i64_e32 vcc_lo, s[12:13], v[5:6]
	v_lshlrev_b64 v[3:4], 3, v[5:6]
	v_add_co_ci_u32_e64 v9, null, s4, v9, s0
	s_and_saveexec_b32 s1, vcc_lo
	s_cbranch_execz .LBB109_27
; %bb.26:
	v_add_co_u32 v16, s0, v0, v3
	v_add_co_ci_u32_e64 v17, null, v7, v4, s0
	v_mul_f32_e32 v10, s19, v21
	v_mul_f32_e32 v13, s18, v21
	global_load_dwordx2 v[16:17], v[16:17], off
	v_fma_f32 v10, v20, s18, -v10
	v_fmac_f32_e32 v13, s19, v20
	s_waitcnt vmcnt(0)
	v_mul_f32_e32 v21, s11, v17
	v_mul_f32_e32 v17, s10, v17
	v_fma_f32 v20, v16, s10, -v21
	v_fmac_f32_e32 v17, s11, v16
	v_add_f32_e32 v16, v10, v20
	v_add_co_u32 v20, s0, v8, v3
	v_add_f32_e32 v17, v13, v17
	v_add_co_ci_u32_e64 v21, null, v9, v4, s0
	global_store_dwordx2 v[20:21], v[16:17], off
.LBB109_27:
	s_or_b32 exec_lo, exec_lo, s1
	v_add_co_u32 v5, s0, v5, 16
	v_add_co_ci_u32_e64 v6, null, 0, v6, s0
	v_cmp_gt_i64_e64 s0, s[12:13], v[5:6]
	s_and_saveexec_b32 s2, s0
	s_cbranch_execz .LBB109_29
; %bb.28:
	v_add_co_u32 v5, s1, v0, v3
	v_add_co_ci_u32_e64 v6, null, v7, v4, s1
	v_mul_f32_e32 v10, s19, v19
	v_mul_f32_e32 v13, s18, v19
	global_load_dwordx2 v[5:6], v[5:6], off offset:128
	v_fma_f32 v10, v18, s18, -v10
	v_fmac_f32_e32 v13, s19, v18
	s_waitcnt vmcnt(0)
	v_mul_f32_e32 v16, s11, v6
	v_mul_f32_e32 v6, s10, v6
	v_fma_f32 v16, v5, s10, -v16
	v_fmac_f32_e32 v6, s11, v5
	v_add_f32_e32 v5, v10, v16
	v_add_co_u32 v16, s1, v8, v3
	v_add_f32_e32 v6, v13, v6
	v_add_co_ci_u32_e64 v17, null, v9, v4, s1
	global_store_dwordx2 v[16:17], v[5:6], off offset:128
.LBB109_29:
	s_or_b32 exec_lo, exec_lo, s2
	v_add_co_u32 v1, s1, v1, 16
	v_add_co_ci_u32_e64 v2, null, 0, v2, s1
	v_cmp_gt_i64_e64 s1, s[14:15], v[1:2]
	s_and_b32 exec_lo, exec_lo, s1
	s_cbranch_execz .LBB109_34
; %bb.30:
	s_lshl_b64 s[2:3], s[22:23], 7
	v_add_co_u32 v0, s1, v0, s2
	v_add_co_ci_u32_e64 v1, null, s3, v7, s1
	s_lshl_b64 s[2:3], s[28:29], 7
	v_add_co_u32 v2, s1, v8, s2
	v_add_co_ci_u32_e64 v7, null, s3, v9, s1
	v_add_co_u32 v5, s1, v0, v3
	v_add_co_ci_u32_e64 v6, null, v1, v4, s1
	v_add_co_u32 v0, s1, v2, v3
	v_add_co_ci_u32_e64 v1, null, v7, v4, s1
	s_and_saveexec_b32 s1, vcc_lo
	s_cbranch_execz .LBB109_32
; %bb.31:
	global_load_dwordx2 v[2:3], v[5:6], off
	v_mul_f32_e32 v4, s19, v15
	v_mul_f32_e32 v7, s18, v15
	v_fma_f32 v4, v14, s18, -v4
	v_fmac_f32_e32 v7, s19, v14
	s_waitcnt vmcnt(0)
	v_mul_f32_e32 v8, s11, v3
	v_mul_f32_e32 v3, s10, v3
	v_fma_f32 v8, v2, s10, -v8
	v_fmac_f32_e32 v3, s11, v2
	v_add_f32_e32 v2, v4, v8
	v_add_f32_e32 v3, v7, v3
	global_store_dwordx2 v[0:1], v[2:3], off
.LBB109_32:
	s_or_b32 exec_lo, exec_lo, s1
	s_and_b32 exec_lo, exec_lo, s0
	s_cbranch_execz .LBB109_34
; %bb.33:
	global_load_dwordx2 v[2:3], v[5:6], off offset:128
	v_mul_f32_e32 v4, s19, v12
	v_mul_f32_e32 v5, s18, v12
	v_fma_f32 v4, v11, s18, -v4
	v_fmac_f32_e32 v5, s19, v11
	s_waitcnt vmcnt(0)
	v_mul_f32_e32 v6, s11, v3
	v_mul_f32_e32 v3, s10, v3
	v_fma_f32 v6, v2, s10, -v6
	v_fmac_f32_e32 v3, s11, v2
	v_add_f32_e32 v2, v4, v6
	v_add_f32_e32 v3, v5, v3
	global_store_dwordx2 v[0:1], v[2:3], off offset:128
.LBB109_34:
	s_endpgm
	.section	.rodata,"a",@progbits
	.p2align	6, 0x0
	.amdhsa_kernel _ZN12_GLOBAL__N_135rocblas_gemm_batched_general_kernelI19rocblas_complex_numIfELi16ELi16ELi32ELi32ELi8ELi32ELi8ELi8ELi32ELc78ELc84EKS2_S3_S2_EEvlllT_PT11_llS6_llS4_PT12_llPT13_lli
		.amdhsa_group_segment_fixed_size 4096
		.amdhsa_private_segment_fixed_size 0
		.amdhsa_kernarg_size 140
		.amdhsa_user_sgpr_count 6
		.amdhsa_user_sgpr_private_segment_buffer 1
		.amdhsa_user_sgpr_dispatch_ptr 0
		.amdhsa_user_sgpr_queue_ptr 0
		.amdhsa_user_sgpr_kernarg_segment_ptr 1
		.amdhsa_user_sgpr_dispatch_id 0
		.amdhsa_user_sgpr_flat_scratch_init 0
		.amdhsa_user_sgpr_private_segment_size 0
		.amdhsa_wavefront_size32 1
		.amdhsa_uses_dynamic_stack 0
		.amdhsa_system_sgpr_private_segment_wavefront_offset 0
		.amdhsa_system_sgpr_workgroup_id_x 1
		.amdhsa_system_sgpr_workgroup_id_y 1
		.amdhsa_system_sgpr_workgroup_id_z 1
		.amdhsa_system_sgpr_workgroup_info 0
		.amdhsa_system_vgpr_workitem_id 1
		.amdhsa_next_free_vgpr 59
		.amdhsa_next_free_sgpr 38
		.amdhsa_reserve_vcc 1
		.amdhsa_reserve_flat_scratch 0
		.amdhsa_float_round_mode_32 0
		.amdhsa_float_round_mode_16_64 0
		.amdhsa_float_denorm_mode_32 3
		.amdhsa_float_denorm_mode_16_64 3
		.amdhsa_dx10_clamp 1
		.amdhsa_ieee_mode 1
		.amdhsa_fp16_overflow 0
		.amdhsa_workgroup_processor_mode 1
		.amdhsa_memory_ordered 1
		.amdhsa_forward_progress 1
		.amdhsa_shared_vgpr_count 0
		.amdhsa_exception_fp_ieee_invalid_op 0
		.amdhsa_exception_fp_denorm_src 0
		.amdhsa_exception_fp_ieee_div_zero 0
		.amdhsa_exception_fp_ieee_overflow 0
		.amdhsa_exception_fp_ieee_underflow 0
		.amdhsa_exception_fp_ieee_inexact 0
		.amdhsa_exception_int_div_zero 0
	.end_amdhsa_kernel
	.section	.text._ZN12_GLOBAL__N_135rocblas_gemm_batched_general_kernelI19rocblas_complex_numIfELi16ELi16ELi32ELi32ELi8ELi32ELi8ELi8ELi32ELc78ELc84EKS2_S3_S2_EEvlllT_PT11_llS6_llS4_PT12_llPT13_lli,"axG",@progbits,_ZN12_GLOBAL__N_135rocblas_gemm_batched_general_kernelI19rocblas_complex_numIfELi16ELi16ELi32ELi32ELi8ELi32ELi8ELi8ELi32ELc78ELc84EKS2_S3_S2_EEvlllT_PT11_llS6_llS4_PT12_llPT13_lli,comdat
.Lfunc_end109:
	.size	_ZN12_GLOBAL__N_135rocblas_gemm_batched_general_kernelI19rocblas_complex_numIfELi16ELi16ELi32ELi32ELi8ELi32ELi8ELi8ELi32ELc78ELc84EKS2_S3_S2_EEvlllT_PT11_llS6_llS4_PT12_llPT13_lli, .Lfunc_end109-_ZN12_GLOBAL__N_135rocblas_gemm_batched_general_kernelI19rocblas_complex_numIfELi16ELi16ELi32ELi32ELi8ELi32ELi8ELi8ELi32ELc78ELc84EKS2_S3_S2_EEvlllT_PT11_llS6_llS4_PT12_llPT13_lli
                                        ; -- End function
	.set _ZN12_GLOBAL__N_135rocblas_gemm_batched_general_kernelI19rocblas_complex_numIfELi16ELi16ELi32ELi32ELi8ELi32ELi8ELi8ELi32ELc78ELc84EKS2_S3_S2_EEvlllT_PT11_llS6_llS4_PT12_llPT13_lli.num_vgpr, 59
	.set _ZN12_GLOBAL__N_135rocblas_gemm_batched_general_kernelI19rocblas_complex_numIfELi16ELi16ELi32ELi32ELi8ELi32ELi8ELi8ELi32ELc78ELc84EKS2_S3_S2_EEvlllT_PT11_llS6_llS4_PT12_llPT13_lli.num_agpr, 0
	.set _ZN12_GLOBAL__N_135rocblas_gemm_batched_general_kernelI19rocblas_complex_numIfELi16ELi16ELi32ELi32ELi8ELi32ELi8ELi8ELi32ELc78ELc84EKS2_S3_S2_EEvlllT_PT11_llS6_llS4_PT12_llPT13_lli.numbered_sgpr, 38
	.set _ZN12_GLOBAL__N_135rocblas_gemm_batched_general_kernelI19rocblas_complex_numIfELi16ELi16ELi32ELi32ELi8ELi32ELi8ELi8ELi32ELc78ELc84EKS2_S3_S2_EEvlllT_PT11_llS6_llS4_PT12_llPT13_lli.num_named_barrier, 0
	.set _ZN12_GLOBAL__N_135rocblas_gemm_batched_general_kernelI19rocblas_complex_numIfELi16ELi16ELi32ELi32ELi8ELi32ELi8ELi8ELi32ELc78ELc84EKS2_S3_S2_EEvlllT_PT11_llS6_llS4_PT12_llPT13_lli.private_seg_size, 0
	.set _ZN12_GLOBAL__N_135rocblas_gemm_batched_general_kernelI19rocblas_complex_numIfELi16ELi16ELi32ELi32ELi8ELi32ELi8ELi8ELi32ELc78ELc84EKS2_S3_S2_EEvlllT_PT11_llS6_llS4_PT12_llPT13_lli.uses_vcc, 1
	.set _ZN12_GLOBAL__N_135rocblas_gemm_batched_general_kernelI19rocblas_complex_numIfELi16ELi16ELi32ELi32ELi8ELi32ELi8ELi8ELi32ELc78ELc84EKS2_S3_S2_EEvlllT_PT11_llS6_llS4_PT12_llPT13_lli.uses_flat_scratch, 0
	.set _ZN12_GLOBAL__N_135rocblas_gemm_batched_general_kernelI19rocblas_complex_numIfELi16ELi16ELi32ELi32ELi8ELi32ELi8ELi8ELi32ELc78ELc84EKS2_S3_S2_EEvlllT_PT11_llS6_llS4_PT12_llPT13_lli.has_dyn_sized_stack, 0
	.set _ZN12_GLOBAL__N_135rocblas_gemm_batched_general_kernelI19rocblas_complex_numIfELi16ELi16ELi32ELi32ELi8ELi32ELi8ELi8ELi32ELc78ELc84EKS2_S3_S2_EEvlllT_PT11_llS6_llS4_PT12_llPT13_lli.has_recursion, 0
	.set _ZN12_GLOBAL__N_135rocblas_gemm_batched_general_kernelI19rocblas_complex_numIfELi16ELi16ELi32ELi32ELi8ELi32ELi8ELi8ELi32ELc78ELc84EKS2_S3_S2_EEvlllT_PT11_llS6_llS4_PT12_llPT13_lli.has_indirect_call, 0
	.section	.AMDGPU.csdata,"",@progbits
; Kernel info:
; codeLenInByte = 2972
; TotalNumSgprs: 40
; NumVgprs: 59
; ScratchSize: 0
; MemoryBound: 1
; FloatMode: 240
; IeeeMode: 1
; LDSByteSize: 4096 bytes/workgroup (compile time only)
; SGPRBlocks: 0
; VGPRBlocks: 7
; NumSGPRsForWavesPerEU: 40
; NumVGPRsForWavesPerEU: 59
; Occupancy: 16
; WaveLimiterHint : 1
; COMPUTE_PGM_RSRC2:SCRATCH_EN: 0
; COMPUTE_PGM_RSRC2:USER_SGPR: 6
; COMPUTE_PGM_RSRC2:TRAP_HANDLER: 0
; COMPUTE_PGM_RSRC2:TGID_X_EN: 1
; COMPUTE_PGM_RSRC2:TGID_Y_EN: 1
; COMPUTE_PGM_RSRC2:TGID_Z_EN: 1
; COMPUTE_PGM_RSRC2:TIDIG_COMP_CNT: 1
	.section	.text._ZN12_GLOBAL__N_135rocblas_gemm_batched_general_kernelI19rocblas_complex_numIfELi16ELi16ELi32ELi32ELi8ELi32ELi8ELi8ELi32ELc84ELc84EKS2_S3_S2_EEvlllT_PT11_llS6_llS4_PT12_llPT13_lli,"axG",@progbits,_ZN12_GLOBAL__N_135rocblas_gemm_batched_general_kernelI19rocblas_complex_numIfELi16ELi16ELi32ELi32ELi8ELi32ELi8ELi8ELi32ELc84ELc84EKS2_S3_S2_EEvlllT_PT11_llS6_llS4_PT12_llPT13_lli,comdat
	.globl	_ZN12_GLOBAL__N_135rocblas_gemm_batched_general_kernelI19rocblas_complex_numIfELi16ELi16ELi32ELi32ELi8ELi32ELi8ELi8ELi32ELc84ELc84EKS2_S3_S2_EEvlllT_PT11_llS6_llS4_PT12_llPT13_lli ; -- Begin function _ZN12_GLOBAL__N_135rocblas_gemm_batched_general_kernelI19rocblas_complex_numIfELi16ELi16ELi32ELi32ELi8ELi32ELi8ELi8ELi32ELc84ELc84EKS2_S3_S2_EEvlllT_PT11_llS6_llS4_PT12_llPT13_lli
	.p2align	8
	.type	_ZN12_GLOBAL__N_135rocblas_gemm_batched_general_kernelI19rocblas_complex_numIfELi16ELi16ELi32ELi32ELi8ELi32ELi8ELi8ELi32ELc84ELc84EKS2_S3_S2_EEvlllT_PT11_llS6_llS4_PT12_llPT13_lli,@function
_ZN12_GLOBAL__N_135rocblas_gemm_batched_general_kernelI19rocblas_complex_numIfELi16ELi16ELi32ELi32ELi8ELi32ELi8ELi8ELi32ELc84ELc84EKS2_S3_S2_EEvlllT_PT11_llS6_llS4_PT12_llPT13_lli: ; @_ZN12_GLOBAL__N_135rocblas_gemm_batched_general_kernelI19rocblas_complex_numIfELi16ELi16ELi32ELi32ELi8ELi32ELi8ELi8ELi32ELc84ELc84EKS2_S3_S2_EEvlllT_PT11_llS6_llS4_PT12_llPT13_lli
; %bb.0:
	s_clause 0x1
	s_load_dwordx16 s[12:27], s[4:5], 0x0
	s_load_dwordx2 s[10:11], s[4:5], 0x50
	s_mov_b32 s0, s7
	v_mov_b32_e32 v20, 0
	v_mov_b32_e32 v21, 0
	;; [unrolled: 1-line block ×8, first 2 shown]
	s_ashr_i32 s7, s6, 31
	s_ashr_i32 s1, s0, 31
	s_lshl_b64 s[6:7], s[6:7], 5
	s_waitcnt lgkmcnt(0)
	v_cmp_lt_i64_e64 s2, s[16:17], 1
	s_and_b32 vcc_lo, exec_lo, s2
	s_lshl_b64 s[2:3], s[0:1], 5
	s_cbranch_vccnz .LBB110_11
; %bb.1:
	s_load_dwordx4 s[28:31], s[4:5], 0x40
	v_lshl_add_u32 v3, v1, 4, v0
	v_and_b32_e32 v8, 7, v0
	v_mov_b32_e32 v4, s7
	s_lshl_b64 s[34:35], s[0:1], 8
	s_mul_i32 s1, s25, s8
	v_lshrrev_b32_e32 v7, 3, v3
	v_and_b32_e32 v14, 31, v3
	v_lshlrev_b32_e32 v15, 3, v8
	v_lshrrev_b32_e32 v13, 5, v3
	v_and_b32_e32 v18, 0x1ff8, v3
	v_add_co_u32 v11, s0, v7, s2
	v_or_b32_e32 v3, s6, v14
	v_lshl_or_b32 v7, v7, 6, v15
	v_add_co_ci_u32_e64 v12, null, 0, s3, s0
	v_lshlrev_b32_e32 v16, 3, v14
	v_cmp_gt_i64_e32 vcc_lo, s[12:13], v[3:4]
	v_add_co_u32 v14, s0, s6, v14
	s_waitcnt lgkmcnt(0)
	v_mad_u64_u32 v[5:6], null, s28, v8, 0
	v_add_co_ci_u32_e64 v15, null, s7, 0, s0
	v_cmp_gt_i64_e64 s0, s[14:15], v[11:12]
	v_mul_lo_u32 v19, s23, v14
	v_mad_u64_u32 v[11:12], null, s22, v14, 0
	v_mad_u64_u32 v[3:4], null, s29, v8, v[6:7]
	v_mul_lo_u32 v15, s22, v15
	s_mul_i32 s23, s31, s8
	s_mul_hi_u32 s25, s30, s8
	s_mul_i32 s22, s30, s8
	s_add_i32 s23, s25, s23
	s_mul_hi_u32 s9, s24, s8
	v_mov_b32_e32 v6, v3
	s_lshl_b64 s[22:23], s[22:23], 3
	v_add3_u32 v12, v12, v15, v19
	s_add_u32 s22, s34, s22
	s_addc_u32 s23, s35, s23
	v_lshlrev_b64 v[3:4], 3, v[5:6]
	s_add_i32 s25, s9, s1
	s_mul_i32 s24, s24, s8
	v_add_nc_u32_e32 v17, 0x800, v7
	v_mov_b32_e32 v2, 0
	v_lshlrev_b32_e32 v9, 3, v0
	v_add_co_u32 v5, s1, s22, v3
	v_add_co_ci_u32_e64 v6, null, s23, v4, s1
	v_lshlrev_b64 v[3:4], 3, v[11:12]
	v_add_co_u32 v5, s1, v5, v18
	s_lshl_b64 s[22:23], s[24:25], 3
	v_add_co_ci_u32_e64 v6, null, 0, v6, s1
	v_add_co_u32 v3, s1, v3, s22
	v_lshlrev_b32_e32 v11, 3, v13
	v_add_co_ci_u32_e64 v7, null, s23, v4, s1
	v_add_co_u32 v4, s1, s26, v5
	v_add_co_ci_u32_e64 v5, null, s27, v6, s1
	v_add_co_u32 v3, s1, v3, v11
	v_add_co_ci_u32_e64 v7, null, 0, v7, s1
	v_lshl_add_u32 v10, v1, 6, 0x800
	v_add_co_u32 v6, s1, s20, v3
	v_lshl_or_b32 v16, v13, 8, v16
	v_add_co_ci_u32_e64 v7, null, s21, v7, s1
	v_mov_b32_e32 v12, 0
	v_mov_b32_e32 v11, 0
	;; [unrolled: 1-line block ×8, first 2 shown]
	s_lshl_b64 s[22:23], s[28:29], 6
	s_mov_b64 s[20:21], 0
	s_xor_b32 s1, vcc_lo, -1
	s_xor_b32 s0, s0, -1
	s_branch .LBB110_3
.LBB110_2:                              ;   in Loop: Header=BB110_3 Depth=1
	s_or_b32 exec_lo, exec_lo, s9
	s_waitcnt lgkmcnt(0)
	s_barrier
	buffer_gl0_inv
	ds_read_b128 v[22:25], v10
	ds_read2_b64 v[26:29], v9 offset1:16
	ds_read_b128 v[30:33], v10 offset:1024
	ds_read_b128 v[34:37], v10 offset:16
	;; [unrolled: 1-line block ×4, first 2 shown]
	ds_read2_b64 v[46:49], v9 offset0:32 offset1:48
	ds_read_b128 v[50:53], v10 offset:1040
	s_add_u32 s20, s20, 8
	s_addc_u32 s21, s21, 0
	v_add_co_u32 v4, vcc_lo, v4, s22
	v_cmp_lt_i64_e64 s9, s[20:21], s[16:17]
	v_add_co_ci_u32_e64 v5, null, s23, v5, vcc_lo
	v_add_co_u32 v6, vcc_lo, v6, 64
	v_add_co_ci_u32_e64 v7, null, 0, v7, vcc_lo
	s_and_b32 vcc_lo, exec_lo, s9
	s_waitcnt lgkmcnt(6)
	v_mul_f32_e32 v3, v23, v27
	v_mul_f32_e32 v54, v22, v27
	;; [unrolled: 1-line block ×4, first 2 shown]
	s_waitcnt lgkmcnt(5)
	v_mul_f32_e32 v57, v31, v27
	v_mul_f32_e32 v27, v30, v27
	v_mul_f32_e32 v58, v31, v29
	v_fma_f32 v3, v22, v26, -v3
	v_fmac_f32_e32 v54, v23, v26
	v_fma_f32 v22, v22, v28, -v55
	v_fmac_f32_e32 v56, v23, v28
	v_fma_f32 v23, v30, v26, -v57
	v_mul_f32_e32 v29, v30, v29
	v_fmac_f32_e32 v27, v31, v26
	v_fma_f32 v26, v30, v28, -v58
	v_add_f32_e32 v3, v20, v3
	v_add_f32_e32 v30, v21, v54
	;; [unrolled: 1-line block ×5, first 2 shown]
	s_waitcnt lgkmcnt(1)
	v_mul_f32_e32 v23, v25, v47
	ds_read2_b64 v[18:21], v9 offset0:64 offset1:80
	v_add_f32_e32 v15, v15, v27
	v_mul_f32_e32 v27, v25, v49
	v_fmac_f32_e32 v29, v31, v28
	v_fma_f32 v23, v24, v46, -v23
	v_add_f32_e32 v11, v11, v26
	v_mul_f32_e32 v26, v24, v47
	v_mul_f32_e32 v28, v24, v49
	v_add_f32_e32 v12, v12, v29
	v_add_f32_e32 v3, v3, v23
	v_fma_f32 v23, v24, v48, -v27
	v_mul_f32_e32 v24, v33, v47
	v_fmac_f32_e32 v26, v25, v46
	v_fmac_f32_e32 v28, v25, v48
	v_mul_f32_e32 v25, v32, v47
	v_add_f32_e32 v27, v22, v23
	v_fma_f32 v22, v32, v46, -v24
	v_mul_f32_e32 v23, v33, v49
	v_add_f32_e32 v26, v30, v26
	v_fmac_f32_e32 v25, v33, v46
	v_mul_f32_e32 v29, v32, v49
	v_add_f32_e32 v14, v14, v22
	v_fma_f32 v22, v32, v48, -v23
	s_waitcnt lgkmcnt(0)
	v_mul_f32_e32 v23, v35, v19
	v_mul_f32_e32 v30, v34, v19
	;; [unrolled: 1-line block ×3, first 2 shown]
	v_add_f32_e32 v15, v15, v25
	v_add_f32_e32 v11, v11, v22
	v_fma_f32 v31, v34, v18, -v23
	ds_read2_b64 v[22:25], v9 offset0:96 offset1:112
	v_fmac_f32_e32 v30, v35, v18
	v_fmac_f32_e32 v29, v33, v48
	v_add_f32_e32 v28, v54, v28
	v_add_f32_e32 v3, v3, v31
	v_fma_f32 v31, v34, v20, -v32
	v_add_f32_e32 v26, v26, v30
	v_mul_f32_e32 v30, v51, v19
	v_mul_f32_e32 v19, v50, v19
	v_add_f32_e32 v12, v12, v29
	v_add_f32_e32 v27, v27, v31
	v_mul_f32_e32 v31, v51, v21
	v_mul_f32_e32 v29, v34, v21
	v_fma_f32 v30, v50, v18, -v30
	v_fmac_f32_e32 v19, v51, v18
	v_mul_f32_e32 v32, v50, v21
	v_fma_f32 v18, v50, v20, -v31
	v_fmac_f32_e32 v29, v35, v20
	v_add_f32_e32 v14, v14, v30
	v_add_f32_e32 v15, v15, v19
	v_fmac_f32_e32 v32, v51, v20
	v_add_f32_e32 v11, v11, v18
	ds_read2_b64 v[18:21], v9 offset0:128 offset1:144
	v_add_f32_e32 v33, v28, v29
	s_waitcnt lgkmcnt(1)
	v_mul_f32_e32 v28, v37, v23
	v_mul_f32_e32 v29, v36, v23
	v_mul_f32_e32 v30, v37, v25
	v_mul_f32_e32 v31, v36, v25
	v_add_f32_e32 v12, v12, v32
	v_fma_f32 v28, v36, v22, -v28
	v_fmac_f32_e32 v29, v37, v22
	v_fma_f32 v30, v36, v24, -v30
	v_fmac_f32_e32 v31, v37, v24
	v_mul_f32_e32 v32, v53, v25
	v_add_f32_e32 v3, v3, v28
	v_mul_f32_e32 v28, v53, v23
	v_mul_f32_e32 v23, v52, v23
	v_add_f32_e32 v34, v26, v29
	v_add_f32_e32 v35, v27, v30
	;; [unrolled: 1-line block ×3, first 2 shown]
	v_fma_f32 v30, v52, v22, -v28
	ds_read_b128 v[26:29], v10 offset:1056
	v_fmac_f32_e32 v23, v53, v22
	v_mul_f32_e32 v31, v52, v25
	v_fma_f32 v22, v52, v24, -v32
	s_waitcnt lgkmcnt(1)
	v_mul_f32_e32 v25, v39, v19
	v_add_f32_e32 v14, v14, v30
	v_add_f32_e32 v15, v15, v23
	v_fmac_f32_e32 v31, v53, v24
	v_add_f32_e32 v11, v11, v22
	v_fma_f32 v30, v38, v18, -v25
	ds_read2_b64 v[22:25], v9 offset0:160 offset1:176
	v_mul_f32_e32 v32, v39, v21
	v_mul_f32_e32 v37, v38, v19
	;; [unrolled: 1-line block ×3, first 2 shown]
	v_add_f32_e32 v12, v12, v31
	v_add_f32_e32 v3, v3, v30
	v_fma_f32 v38, v38, v20, -v32
	v_fmac_f32_e32 v37, v39, v18
	ds_read_b128 v[30:33], v10 offset:1072
	v_fmac_f32_e32 v46, v39, v20
	s_waitcnt lgkmcnt(2)
	v_mul_f32_e32 v47, v27, v19
	v_mul_f32_e32 v19, v26, v19
	v_add_f32_e32 v35, v35, v38
	v_mul_f32_e32 v38, v27, v21
	v_add_f32_e32 v34, v34, v37
	v_fma_f32 v37, v26, v18, -v47
	v_fmac_f32_e32 v19, v27, v18
	v_mul_f32_e32 v39, v26, v21
	v_fma_f32 v18, v26, v20, -v38
	v_add_f32_e32 v36, v36, v46
	s_waitcnt lgkmcnt(1)
	v_mul_f32_e32 v21, v41, v23
	v_add_f32_e32 v14, v14, v37
	v_add_f32_e32 v15, v15, v19
	v_fmac_f32_e32 v39, v27, v20
	v_mul_f32_e32 v26, v40, v23
	v_add_f32_e32 v11, v11, v18
	v_fma_f32 v27, v40, v22, -v21
	ds_read2_b64 v[18:21], v9 offset0:192 offset1:208
	v_mul_f32_e32 v37, v41, v25
	v_fmac_f32_e32 v26, v41, v22
	v_add_f32_e32 v12, v12, v39
	v_add_f32_e32 v3, v3, v27
	v_mul_f32_e32 v27, v40, v25
	v_fma_f32 v37, v40, v24, -v37
	v_add_f32_e32 v26, v34, v26
	v_mul_f32_e32 v34, v29, v23
	v_mul_f32_e32 v23, v28, v23
	v_fmac_f32_e32 v27, v41, v24
	v_add_f32_e32 v35, v35, v37
	v_mul_f32_e32 v37, v29, v25
	v_fma_f32 v34, v28, v22, -v34
	v_fmac_f32_e32 v23, v29, v22
	v_add_f32_e32 v27, v36, v27
	v_mul_f32_e32 v36, v28, v25
	v_fma_f32 v22, v28, v24, -v37
	v_add_f32_e32 v14, v14, v34
	v_add_f32_e32 v15, v15, v23
	s_waitcnt lgkmcnt(0)
	v_mul_f32_e32 v28, v43, v19
	v_fmac_f32_e32 v36, v29, v24
	v_add_f32_e32 v11, v11, v22
	ds_read2_b64 v[22:25], v9 offset0:224 offset1:240
	v_mul_f32_e32 v29, v42, v19
	v_fma_f32 v28, v42, v18, -v28
	v_mul_f32_e32 v34, v43, v21
	v_add_f32_e32 v12, v12, v36
	v_mul_f32_e32 v36, v42, v21
	v_fmac_f32_e32 v29, v43, v18
	v_add_f32_e32 v3, v3, v28
	v_mul_f32_e32 v28, v31, v19
	v_fma_f32 v34, v42, v20, -v34
	v_mul_f32_e32 v19, v30, v19
	v_add_f32_e32 v26, v26, v29
	v_fmac_f32_e32 v36, v43, v20
	v_fma_f32 v28, v30, v18, -v28
	v_add_f32_e32 v29, v35, v34
	v_mul_f32_e32 v34, v31, v21
	v_fmac_f32_e32 v19, v31, v18
	v_mul_f32_e32 v18, v30, v21
	v_add_f32_e32 v14, v14, v28
	v_add_f32_e32 v27, v27, v36
	v_fma_f32 v21, v30, v20, -v34
	s_waitcnt lgkmcnt(0)
	v_mul_f32_e32 v28, v45, v23
	v_mul_f32_e32 v30, v44, v23
	v_add_f32_e32 v15, v15, v19
	v_fmac_f32_e32 v18, v31, v20
	v_add_f32_e32 v11, v11, v21
	v_fma_f32 v19, v44, v22, -v28
	v_fmac_f32_e32 v30, v45, v22
	v_mul_f32_e32 v28, v45, v25
	v_mul_f32_e32 v31, v44, v25
	v_add_f32_e32 v12, v12, v18
	v_add_f32_e32 v20, v3, v19
	;; [unrolled: 1-line block ×3, first 2 shown]
	v_fma_f32 v3, v44, v24, -v28
	v_mul_f32_e32 v19, v33, v23
	v_mul_f32_e32 v23, v32, v23
	;; [unrolled: 1-line block ×4, first 2 shown]
	v_fmac_f32_e32 v31, v45, v24
	v_add_f32_e32 v18, v29, v3
	v_fma_f32 v3, v32, v22, -v19
	v_fmac_f32_e32 v23, v33, v22
	v_fma_f32 v22, v32, v24, -v26
	v_fmac_f32_e32 v25, v33, v24
	v_add_f32_e32 v19, v27, v31
	v_add_f32_e32 v14, v14, v3
	;; [unrolled: 1-line block ×5, first 2 shown]
	s_barrier
	buffer_gl0_inv
	s_cbranch_vccz .LBB110_11
.LBB110_3:                              ; =>This Inner Loop Header: Depth=1
	v_add_co_u32 v22, s9, v13, s20
	v_add_co_ci_u32_e64 v23, null, 0, s21, s9
	v_cmp_le_i64_e32 vcc_lo, s[16:17], v[22:23]
	s_or_b32 s9, s1, vcc_lo
	s_and_saveexec_b32 s24, s9
	s_xor_b32 s9, exec_lo, s24
; %bb.4:                                ;   in Loop: Header=BB110_3 Depth=1
	v_mov_b32_e32 v3, v2
	ds_write_b64 v16, v[2:3]
; %bb.5:                                ;   in Loop: Header=BB110_3 Depth=1
	s_andn2_saveexec_b32 s9, s9
	s_cbranch_execz .LBB110_7
; %bb.6:                                ;   in Loop: Header=BB110_3 Depth=1
	global_load_dwordx2 v[22:23], v[6:7], off
	s_waitcnt vmcnt(0)
	ds_write_b64 v16, v[22:23]
.LBB110_7:                              ;   in Loop: Header=BB110_3 Depth=1
	s_or_b32 exec_lo, exec_lo, s9
	v_add_co_u32 v22, s9, v8, s20
	v_add_co_ci_u32_e64 v23, null, 0, s21, s9
	v_cmp_le_i64_e32 vcc_lo, s[16:17], v[22:23]
	s_or_b32 s9, vcc_lo, s0
	s_and_saveexec_b32 s24, s9
	s_xor_b32 s9, exec_lo, s24
; %bb.8:                                ;   in Loop: Header=BB110_3 Depth=1
	v_mov_b32_e32 v3, v2
	ds_write_b64 v17, v[2:3]
; %bb.9:                                ;   in Loop: Header=BB110_3 Depth=1
	s_andn2_saveexec_b32 s9, s9
	s_cbranch_execz .LBB110_2
; %bb.10:                               ;   in Loop: Header=BB110_3 Depth=1
	global_load_dwordx2 v[22:23], v[4:5], off
	s_waitcnt vmcnt(0)
	ds_write_b64 v17, v[22:23]
	s_branch .LBB110_2
.LBB110_11:
	s_clause 0x1
	s_load_dwordx4 s[28:31], s[4:5], 0x78
	s_load_dwordx8 s[20:27], s[4:5], 0x58
	v_add_co_u32 v1, s2, s2, v1
	v_add_co_ci_u32_e64 v2, null, s3, 0, s2
	s_waitcnt lgkmcnt(0)
	s_mul_i32 s1, s31, s8
	s_mul_hi_u32 s4, s30, s8
	s_mul_i32 s0, s30, s8
	s_add_i32 s1, s4, s1
	s_lshl_b64 s[0:1], s[0:1], 3
	s_add_u32 s3, s26, s0
	s_addc_u32 s4, s27, s1
	s_or_b32 s1, s10, s11
	v_cmp_gt_i64_e64 s0, s[14:15], v[1:2]
	s_bitset0_b32 s1, 31
	s_cmp_lg_u32 s1, 0
	s_mov_b32 s1, -1
	s_cbranch_scc1 .LBB110_23
; %bb.12:
	s_and_saveexec_b32 s5, s0
	s_cbranch_execz .LBB110_22
; %bb.13:
	v_mul_lo_u32 v5, v2, s28
	v_mul_lo_u32 v6, v1, s29
	v_mad_u64_u32 v[3:4], null, v1, s28, 0
	v_add3_u32 v4, v4, v6, v5
	v_add_co_u32 v5, s1, s6, v0
	v_add_co_ci_u32_e64 v6, null, s7, 0, s1
	v_lshlrev_b64 v[7:8], 3, v[3:4]
	v_cmp_gt_i64_e32 vcc_lo, s[12:13], v[5:6]
	v_lshlrev_b64 v[3:4], 3, v[5:6]
	v_add_co_u32 v7, s1, s3, v7
	v_add_co_ci_u32_e64 v8, null, s4, v8, s1
	s_and_saveexec_b32 s2, vcc_lo
	s_cbranch_execz .LBB110_15
; %bb.14:
	v_mul_f32_e32 v9, s19, v21
	v_mul_f32_e32 v10, s18, v21
	v_add_co_u32 v16, s1, v7, v3
	v_add_co_ci_u32_e64 v17, null, v8, v4, s1
	v_fma_f32 v9, v20, s18, -v9
	v_fmac_f32_e32 v10, s19, v20
	global_store_dwordx2 v[16:17], v[9:10], off
.LBB110_15:
	s_or_b32 exec_lo, exec_lo, s2
	v_add_co_u32 v5, s1, v5, 16
	v_add_co_ci_u32_e64 v6, null, 0, v6, s1
	v_cmp_gt_i64_e64 s1, s[12:13], v[5:6]
	s_and_saveexec_b32 s9, s1
	s_cbranch_execz .LBB110_17
; %bb.16:
	v_mul_f32_e32 v5, s19, v19
	v_mul_f32_e32 v6, s18, v19
	v_add_co_u32 v9, s2, v7, v3
	v_add_co_ci_u32_e64 v10, null, v8, v4, s2
	v_fma_f32 v5, v18, s18, -v5
	v_fmac_f32_e32 v6, s19, v18
	global_store_dwordx2 v[9:10], v[5:6], off offset:128
.LBB110_17:
	s_or_b32 exec_lo, exec_lo, s9
	v_add_co_u32 v5, s2, v1, 16
	v_add_co_ci_u32_e64 v6, null, 0, v2, s2
	v_cmp_gt_i64_e64 s2, s[14:15], v[5:6]
	s_and_b32 exec_lo, exec_lo, s2
	s_cbranch_execz .LBB110_22
; %bb.18:
	s_lshl_b64 s[16:17], s[28:29], 7
	v_add_co_u32 v5, s2, v7, s16
	v_add_co_ci_u32_e64 v6, null, s17, v8, s2
	v_add_co_u32 v3, s2, v5, v3
	v_add_co_ci_u32_e64 v4, null, v6, v4, s2
	s_and_saveexec_b32 s2, vcc_lo
	s_cbranch_execz .LBB110_20
; %bb.19:
	v_mul_f32_e32 v5, s19, v15
	v_mul_f32_e32 v6, s18, v15
	v_fma_f32 v5, v14, s18, -v5
	v_fmac_f32_e32 v6, s19, v14
	global_store_dwordx2 v[3:4], v[5:6], off
.LBB110_20:
	s_or_b32 exec_lo, exec_lo, s2
	s_and_b32 exec_lo, exec_lo, s1
	s_cbranch_execz .LBB110_22
; %bb.21:
	v_mul_f32_e32 v5, s19, v12
	v_mul_f32_e32 v6, s18, v12
	v_fma_f32 v5, v11, s18, -v5
	v_fmac_f32_e32 v6, s19, v11
	global_store_dwordx2 v[3:4], v[5:6], off offset:128
.LBB110_22:
	s_or_b32 exec_lo, exec_lo, s5
	s_mov_b32 s1, 0
.LBB110_23:
	s_andn2_b32 vcc_lo, exec_lo, s1
	s_cbranch_vccnz .LBB110_34
; %bb.24:
	s_and_saveexec_b32 s1, s0
	s_cbranch_execz .LBB110_34
; %bb.25:
	v_mul_lo_u32 v5, v2, s22
	v_mul_lo_u32 v6, v1, s23
	v_mad_u64_u32 v[3:4], null, v1, s22, 0
	v_mul_lo_u32 v9, v2, s28
	v_mul_lo_u32 v10, v1, s29
	v_mad_u64_u32 v[7:8], null, v1, s28, 0
	s_mul_i32 s0, s25, s8
	s_mul_hi_u32 s1, s24, s8
	v_add3_u32 v4, v4, v6, v5
	s_add_i32 s1, s1, s0
	s_mul_i32 s0, s24, s8
	v_add_co_u32 v5, s2, s6, v0
	v_add3_u32 v8, v8, v10, v9
	v_lshlrev_b64 v[3:4], 3, v[3:4]
	s_lshl_b64 s[0:1], s[0:1], 3
	v_add_co_ci_u32_e64 v6, null, s7, 0, s2
	v_lshlrev_b64 v[8:9], 3, v[7:8]
	s_add_u32 s0, s20, s0
	s_addc_u32 s1, s21, s1
	v_add_co_u32 v0, s0, s0, v3
	v_add_co_ci_u32_e64 v7, null, s1, v4, s0
	v_add_co_u32 v8, s0, s3, v8
	v_cmp_gt_i64_e32 vcc_lo, s[12:13], v[5:6]
	v_lshlrev_b64 v[3:4], 3, v[5:6]
	v_add_co_ci_u32_e64 v9, null, s4, v9, s0
	s_and_saveexec_b32 s1, vcc_lo
	s_cbranch_execz .LBB110_27
; %bb.26:
	v_add_co_u32 v16, s0, v0, v3
	v_add_co_ci_u32_e64 v17, null, v7, v4, s0
	v_mul_f32_e32 v10, s19, v21
	v_mul_f32_e32 v13, s18, v21
	global_load_dwordx2 v[16:17], v[16:17], off
	v_fma_f32 v10, v20, s18, -v10
	v_fmac_f32_e32 v13, s19, v20
	s_waitcnt vmcnt(0)
	v_mul_f32_e32 v21, s11, v17
	v_mul_f32_e32 v17, s10, v17
	v_fma_f32 v20, v16, s10, -v21
	v_fmac_f32_e32 v17, s11, v16
	v_add_f32_e32 v16, v10, v20
	v_add_co_u32 v20, s0, v8, v3
	v_add_f32_e32 v17, v13, v17
	v_add_co_ci_u32_e64 v21, null, v9, v4, s0
	global_store_dwordx2 v[20:21], v[16:17], off
.LBB110_27:
	s_or_b32 exec_lo, exec_lo, s1
	v_add_co_u32 v5, s0, v5, 16
	v_add_co_ci_u32_e64 v6, null, 0, v6, s0
	v_cmp_gt_i64_e64 s0, s[12:13], v[5:6]
	s_and_saveexec_b32 s2, s0
	s_cbranch_execz .LBB110_29
; %bb.28:
	v_add_co_u32 v5, s1, v0, v3
	v_add_co_ci_u32_e64 v6, null, v7, v4, s1
	v_mul_f32_e32 v10, s19, v19
	v_mul_f32_e32 v13, s18, v19
	global_load_dwordx2 v[5:6], v[5:6], off offset:128
	v_fma_f32 v10, v18, s18, -v10
	v_fmac_f32_e32 v13, s19, v18
	s_waitcnt vmcnt(0)
	v_mul_f32_e32 v16, s11, v6
	v_mul_f32_e32 v6, s10, v6
	v_fma_f32 v16, v5, s10, -v16
	v_fmac_f32_e32 v6, s11, v5
	v_add_f32_e32 v5, v10, v16
	v_add_co_u32 v16, s1, v8, v3
	v_add_f32_e32 v6, v13, v6
	v_add_co_ci_u32_e64 v17, null, v9, v4, s1
	global_store_dwordx2 v[16:17], v[5:6], off offset:128
.LBB110_29:
	s_or_b32 exec_lo, exec_lo, s2
	v_add_co_u32 v1, s1, v1, 16
	v_add_co_ci_u32_e64 v2, null, 0, v2, s1
	v_cmp_gt_i64_e64 s1, s[14:15], v[1:2]
	s_and_b32 exec_lo, exec_lo, s1
	s_cbranch_execz .LBB110_34
; %bb.30:
	s_lshl_b64 s[2:3], s[22:23], 7
	v_add_co_u32 v0, s1, v0, s2
	v_add_co_ci_u32_e64 v1, null, s3, v7, s1
	s_lshl_b64 s[2:3], s[28:29], 7
	v_add_co_u32 v2, s1, v8, s2
	v_add_co_ci_u32_e64 v7, null, s3, v9, s1
	v_add_co_u32 v5, s1, v0, v3
	v_add_co_ci_u32_e64 v6, null, v1, v4, s1
	;; [unrolled: 2-line block ×3, first 2 shown]
	s_and_saveexec_b32 s1, vcc_lo
	s_cbranch_execz .LBB110_32
; %bb.31:
	global_load_dwordx2 v[2:3], v[5:6], off
	v_mul_f32_e32 v4, s19, v15
	v_mul_f32_e32 v7, s18, v15
	v_fma_f32 v4, v14, s18, -v4
	v_fmac_f32_e32 v7, s19, v14
	s_waitcnt vmcnt(0)
	v_mul_f32_e32 v8, s11, v3
	v_mul_f32_e32 v3, s10, v3
	v_fma_f32 v8, v2, s10, -v8
	v_fmac_f32_e32 v3, s11, v2
	v_add_f32_e32 v2, v4, v8
	v_add_f32_e32 v3, v7, v3
	global_store_dwordx2 v[0:1], v[2:3], off
.LBB110_32:
	s_or_b32 exec_lo, exec_lo, s1
	s_and_b32 exec_lo, exec_lo, s0
	s_cbranch_execz .LBB110_34
; %bb.33:
	global_load_dwordx2 v[2:3], v[5:6], off offset:128
	v_mul_f32_e32 v4, s19, v12
	v_mul_f32_e32 v5, s18, v12
	v_fma_f32 v4, v11, s18, -v4
	v_fmac_f32_e32 v5, s19, v11
	s_waitcnt vmcnt(0)
	v_mul_f32_e32 v6, s11, v3
	v_mul_f32_e32 v3, s10, v3
	v_fma_f32 v6, v2, s10, -v6
	v_fmac_f32_e32 v3, s11, v2
	v_add_f32_e32 v2, v4, v6
	v_add_f32_e32 v3, v5, v3
	global_store_dwordx2 v[0:1], v[2:3], off offset:128
.LBB110_34:
	s_endpgm
	.section	.rodata,"a",@progbits
	.p2align	6, 0x0
	.amdhsa_kernel _ZN12_GLOBAL__N_135rocblas_gemm_batched_general_kernelI19rocblas_complex_numIfELi16ELi16ELi32ELi32ELi8ELi32ELi8ELi8ELi32ELc84ELc84EKS2_S3_S2_EEvlllT_PT11_llS6_llS4_PT12_llPT13_lli
		.amdhsa_group_segment_fixed_size 4096
		.amdhsa_private_segment_fixed_size 0
		.amdhsa_kernarg_size 140
		.amdhsa_user_sgpr_count 6
		.amdhsa_user_sgpr_private_segment_buffer 1
		.amdhsa_user_sgpr_dispatch_ptr 0
		.amdhsa_user_sgpr_queue_ptr 0
		.amdhsa_user_sgpr_kernarg_segment_ptr 1
		.amdhsa_user_sgpr_dispatch_id 0
		.amdhsa_user_sgpr_flat_scratch_init 0
		.amdhsa_user_sgpr_private_segment_size 0
		.amdhsa_wavefront_size32 1
		.amdhsa_uses_dynamic_stack 0
		.amdhsa_system_sgpr_private_segment_wavefront_offset 0
		.amdhsa_system_sgpr_workgroup_id_x 1
		.amdhsa_system_sgpr_workgroup_id_y 1
		.amdhsa_system_sgpr_workgroup_id_z 1
		.amdhsa_system_sgpr_workgroup_info 0
		.amdhsa_system_vgpr_workitem_id 1
		.amdhsa_next_free_vgpr 59
		.amdhsa_next_free_sgpr 36
		.amdhsa_reserve_vcc 1
		.amdhsa_reserve_flat_scratch 0
		.amdhsa_float_round_mode_32 0
		.amdhsa_float_round_mode_16_64 0
		.amdhsa_float_denorm_mode_32 3
		.amdhsa_float_denorm_mode_16_64 3
		.amdhsa_dx10_clamp 1
		.amdhsa_ieee_mode 1
		.amdhsa_fp16_overflow 0
		.amdhsa_workgroup_processor_mode 1
		.amdhsa_memory_ordered 1
		.amdhsa_forward_progress 1
		.amdhsa_shared_vgpr_count 0
		.amdhsa_exception_fp_ieee_invalid_op 0
		.amdhsa_exception_fp_denorm_src 0
		.amdhsa_exception_fp_ieee_div_zero 0
		.amdhsa_exception_fp_ieee_overflow 0
		.amdhsa_exception_fp_ieee_underflow 0
		.amdhsa_exception_fp_ieee_inexact 0
		.amdhsa_exception_int_div_zero 0
	.end_amdhsa_kernel
	.section	.text._ZN12_GLOBAL__N_135rocblas_gemm_batched_general_kernelI19rocblas_complex_numIfELi16ELi16ELi32ELi32ELi8ELi32ELi8ELi8ELi32ELc84ELc84EKS2_S3_S2_EEvlllT_PT11_llS6_llS4_PT12_llPT13_lli,"axG",@progbits,_ZN12_GLOBAL__N_135rocblas_gemm_batched_general_kernelI19rocblas_complex_numIfELi16ELi16ELi32ELi32ELi8ELi32ELi8ELi8ELi32ELc84ELc84EKS2_S3_S2_EEvlllT_PT11_llS6_llS4_PT12_llPT13_lli,comdat
.Lfunc_end110:
	.size	_ZN12_GLOBAL__N_135rocblas_gemm_batched_general_kernelI19rocblas_complex_numIfELi16ELi16ELi32ELi32ELi8ELi32ELi8ELi8ELi32ELc84ELc84EKS2_S3_S2_EEvlllT_PT11_llS6_llS4_PT12_llPT13_lli, .Lfunc_end110-_ZN12_GLOBAL__N_135rocblas_gemm_batched_general_kernelI19rocblas_complex_numIfELi16ELi16ELi32ELi32ELi8ELi32ELi8ELi8ELi32ELc84ELc84EKS2_S3_S2_EEvlllT_PT11_llS6_llS4_PT12_llPT13_lli
                                        ; -- End function
	.set _ZN12_GLOBAL__N_135rocblas_gemm_batched_general_kernelI19rocblas_complex_numIfELi16ELi16ELi32ELi32ELi8ELi32ELi8ELi8ELi32ELc84ELc84EKS2_S3_S2_EEvlllT_PT11_llS6_llS4_PT12_llPT13_lli.num_vgpr, 59
	.set _ZN12_GLOBAL__N_135rocblas_gemm_batched_general_kernelI19rocblas_complex_numIfELi16ELi16ELi32ELi32ELi8ELi32ELi8ELi8ELi32ELc84ELc84EKS2_S3_S2_EEvlllT_PT11_llS6_llS4_PT12_llPT13_lli.num_agpr, 0
	.set _ZN12_GLOBAL__N_135rocblas_gemm_batched_general_kernelI19rocblas_complex_numIfELi16ELi16ELi32ELi32ELi8ELi32ELi8ELi8ELi32ELc84ELc84EKS2_S3_S2_EEvlllT_PT11_llS6_llS4_PT12_llPT13_lli.numbered_sgpr, 36
	.set _ZN12_GLOBAL__N_135rocblas_gemm_batched_general_kernelI19rocblas_complex_numIfELi16ELi16ELi32ELi32ELi8ELi32ELi8ELi8ELi32ELc84ELc84EKS2_S3_S2_EEvlllT_PT11_llS6_llS4_PT12_llPT13_lli.num_named_barrier, 0
	.set _ZN12_GLOBAL__N_135rocblas_gemm_batched_general_kernelI19rocblas_complex_numIfELi16ELi16ELi32ELi32ELi8ELi32ELi8ELi8ELi32ELc84ELc84EKS2_S3_S2_EEvlllT_PT11_llS6_llS4_PT12_llPT13_lli.private_seg_size, 0
	.set _ZN12_GLOBAL__N_135rocblas_gemm_batched_general_kernelI19rocblas_complex_numIfELi16ELi16ELi32ELi32ELi8ELi32ELi8ELi8ELi32ELc84ELc84EKS2_S3_S2_EEvlllT_PT11_llS6_llS4_PT12_llPT13_lli.uses_vcc, 1
	.set _ZN12_GLOBAL__N_135rocblas_gemm_batched_general_kernelI19rocblas_complex_numIfELi16ELi16ELi32ELi32ELi8ELi32ELi8ELi8ELi32ELc84ELc84EKS2_S3_S2_EEvlllT_PT11_llS6_llS4_PT12_llPT13_lli.uses_flat_scratch, 0
	.set _ZN12_GLOBAL__N_135rocblas_gemm_batched_general_kernelI19rocblas_complex_numIfELi16ELi16ELi32ELi32ELi8ELi32ELi8ELi8ELi32ELc84ELc84EKS2_S3_S2_EEvlllT_PT11_llS6_llS4_PT12_llPT13_lli.has_dyn_sized_stack, 0
	.set _ZN12_GLOBAL__N_135rocblas_gemm_batched_general_kernelI19rocblas_complex_numIfELi16ELi16ELi32ELi32ELi8ELi32ELi8ELi8ELi32ELc84ELc84EKS2_S3_S2_EEvlllT_PT11_llS6_llS4_PT12_llPT13_lli.has_recursion, 0
	.set _ZN12_GLOBAL__N_135rocblas_gemm_batched_general_kernelI19rocblas_complex_numIfELi16ELi16ELi32ELi32ELi8ELi32ELi8ELi8ELi32ELc84ELc84EKS2_S3_S2_EEvlllT_PT11_llS6_llS4_PT12_llPT13_lli.has_indirect_call, 0
	.section	.AMDGPU.csdata,"",@progbits
; Kernel info:
; codeLenInByte = 2988
; TotalNumSgprs: 38
; NumVgprs: 59
; ScratchSize: 0
; MemoryBound: 1
; FloatMode: 240
; IeeeMode: 1
; LDSByteSize: 4096 bytes/workgroup (compile time only)
; SGPRBlocks: 0
; VGPRBlocks: 7
; NumSGPRsForWavesPerEU: 38
; NumVGPRsForWavesPerEU: 59
; Occupancy: 16
; WaveLimiterHint : 1
; COMPUTE_PGM_RSRC2:SCRATCH_EN: 0
; COMPUTE_PGM_RSRC2:USER_SGPR: 6
; COMPUTE_PGM_RSRC2:TRAP_HANDLER: 0
; COMPUTE_PGM_RSRC2:TGID_X_EN: 1
; COMPUTE_PGM_RSRC2:TGID_Y_EN: 1
; COMPUTE_PGM_RSRC2:TGID_Z_EN: 1
; COMPUTE_PGM_RSRC2:TIDIG_COMP_CNT: 1
	.section	.text._ZN12_GLOBAL__N_135rocblas_gemm_batched_general_kernelI19rocblas_complex_numIfELi16ELi16ELi32ELi32ELi8ELi32ELi8ELi8ELi32ELc67ELc67EKS2_S3_S2_EEvlllT_PT11_llS6_llS4_PT12_llPT13_lli,"axG",@progbits,_ZN12_GLOBAL__N_135rocblas_gemm_batched_general_kernelI19rocblas_complex_numIfELi16ELi16ELi32ELi32ELi8ELi32ELi8ELi8ELi32ELc67ELc67EKS2_S3_S2_EEvlllT_PT11_llS6_llS4_PT12_llPT13_lli,comdat
	.globl	_ZN12_GLOBAL__N_135rocblas_gemm_batched_general_kernelI19rocblas_complex_numIfELi16ELi16ELi32ELi32ELi8ELi32ELi8ELi8ELi32ELc67ELc67EKS2_S3_S2_EEvlllT_PT11_llS6_llS4_PT12_llPT13_lli ; -- Begin function _ZN12_GLOBAL__N_135rocblas_gemm_batched_general_kernelI19rocblas_complex_numIfELi16ELi16ELi32ELi32ELi8ELi32ELi8ELi8ELi32ELc67ELc67EKS2_S3_S2_EEvlllT_PT11_llS6_llS4_PT12_llPT13_lli
	.p2align	8
	.type	_ZN12_GLOBAL__N_135rocblas_gemm_batched_general_kernelI19rocblas_complex_numIfELi16ELi16ELi32ELi32ELi8ELi32ELi8ELi8ELi32ELc67ELc67EKS2_S3_S2_EEvlllT_PT11_llS6_llS4_PT12_llPT13_lli,@function
_ZN12_GLOBAL__N_135rocblas_gemm_batched_general_kernelI19rocblas_complex_numIfELi16ELi16ELi32ELi32ELi8ELi32ELi8ELi8ELi32ELc67ELc67EKS2_S3_S2_EEvlllT_PT11_llS6_llS4_PT12_llPT13_lli: ; @_ZN12_GLOBAL__N_135rocblas_gemm_batched_general_kernelI19rocblas_complex_numIfELi16ELi16ELi32ELi32ELi8ELi32ELi8ELi8ELi32ELc67ELc67EKS2_S3_S2_EEvlllT_PT11_llS6_llS4_PT12_llPT13_lli
; %bb.0:
	s_clause 0x1
	s_load_dwordx16 s[12:27], s[4:5], 0x0
	s_load_dwordx2 s[10:11], s[4:5], 0x50
	s_mov_b32 s0, s7
	v_mov_b32_e32 v19, 0
	v_mov_b32_e32 v20, 0
	;; [unrolled: 1-line block ×8, first 2 shown]
	s_ashr_i32 s7, s6, 31
	s_ashr_i32 s1, s0, 31
	s_lshl_b64 s[6:7], s[6:7], 5
	s_waitcnt lgkmcnt(0)
	v_cmp_lt_i64_e64 s2, s[16:17], 1
	s_and_b32 vcc_lo, exec_lo, s2
	s_lshl_b64 s[2:3], s[0:1], 5
	s_cbranch_vccnz .LBB111_11
; %bb.1:
	s_load_dwordx4 s[28:31], s[4:5], 0x40
	v_lshl_add_u32 v2, v1, 4, v0
	v_and_b32_e32 v7, 7, v0
	v_mov_b32_e32 v6, 0
	v_mov_b32_e32 v3, s7
	s_lshl_b64 s[34:35], s[0:1], 8
	v_and_b32_e32 v14, 31, v2
	v_lshrrev_b32_e32 v13, 3, v2
	v_lshrrev_b32_e32 v12, 5, v2
	v_and_b32_e32 v17, 0x1ff8, v2
	v_lshlrev_b32_e32 v15, 3, v7
	v_or_b32_e32 v2, s6, v14
	v_add_co_u32 v10, s0, v13, s2
	v_add_co_ci_u32_e64 v11, null, 0, s3, s0
	v_cmp_gt_i64_e32 vcc_lo, s[12:13], v[2:3]
	v_lshl_or_b32 v13, v13, 6, v15
	v_add_co_u32 v15, s0, s6, v14
	s_waitcnt lgkmcnt(0)
	v_mad_u64_u32 v[4:5], null, s28, v7, 0
	v_add_co_ci_u32_e64 v18, null, s7, 0, s0
	v_cmp_gt_i64_e64 s0, s[14:15], v[10:11]
	v_mul_lo_u32 v19, s23, v15
	v_mad_u64_u32 v[10:11], null, s22, v15, 0
	v_mad_u64_u32 v[2:3], null, s29, v7, v[5:6]
	v_mul_lo_u32 v18, s22, v18
	s_mul_i32 s1, s25, s8
	s_mul_i32 s23, s31, s8
	s_mul_hi_u32 s25, s30, s8
	s_mul_i32 s22, s30, s8
	s_add_i32 s23, s25, s23
	v_mov_b32_e32 v5, v2
	s_lshl_b64 s[22:23], s[22:23], 3
	v_add3_u32 v11, v11, v18, v19
	s_mul_hi_u32 s9, s24, s8
	s_add_u32 s22, s34, s22
	v_lshlrev_b64 v[2:3], 3, v[4:5]
	s_addc_u32 s23, s35, s23
	s_add_i32 s25, s9, s1
	s_mul_i32 s24, s24, s8
	v_lshlrev_b32_e32 v16, 3, v14
	v_lshlrev_b32_e32 v8, 3, v0
	v_add_co_u32 v4, s1, s22, v2
	v_add_co_ci_u32_e64 v5, null, s23, v3, s1
	v_lshlrev_b64 v[2:3], 3, v[10:11]
	v_add_co_u32 v4, s1, v4, v17
	s_lshl_b64 s[22:23], s[24:25], 3
	v_add_co_ci_u32_e64 v5, null, 0, v5, s1
	v_add_co_u32 v2, s1, v2, s22
	v_lshlrev_b32_e32 v10, 3, v12
	v_add_co_ci_u32_e64 v3, null, s23, v3, s1
	v_add_co_u32 v4, s1, s26, v4
	v_add_co_ci_u32_e64 v5, null, s27, v5, s1
	v_add_co_u32 v10, s1, v2, v10
	;; [unrolled: 2-line block ×4, first 2 shown]
	v_add_co_ci_u32_e64 v5, null, s21, v11, s1
	v_lshl_add_u32 v9, v1, 6, 0x800
	v_add_co_u32 v4, s1, v4, 4
	v_lshl_or_b32 v14, v12, 8, v16
	v_add_nc_u32_e32 v16, 0x800, v13
	v_add_co_ci_u32_e64 v5, null, 0, v5, s1
	v_mov_b32_e32 v11, 0
	v_mov_b32_e32 v10, 0
	;; [unrolled: 1-line block ×8, first 2 shown]
	s_lshl_b64 s[20:21], s[28:29], 6
	s_mov_b64 s[22:23], 0
	s_xor_b32 s1, vcc_lo, -1
	s_xor_b32 s0, s0, -1
	s_branch .LBB111_3
.LBB111_2:                              ;   in Loop: Header=BB111_3 Depth=1
	s_or_b32 exec_lo, exec_lo, s9
	ds_write_b32 v16, v21 offset:4
	s_waitcnt lgkmcnt(0)
	s_barrier
	buffer_gl0_inv
	ds_read_b128 v[21:24], v9
	ds_read2_b64 v[25:28], v8 offset1:16
	ds_read_b128 v[29:32], v9 offset:1024
	ds_read_b128 v[33:36], v9 offset:16
	;; [unrolled: 1-line block ×4, first 2 shown]
	ds_read2_b64 v[45:48], v8 offset0:32 offset1:48
	ds_read_b128 v[49:52], v9 offset:1040
	s_add_u32 s22, s22, 8
	s_addc_u32 s23, s23, 0
	v_add_co_u32 v2, vcc_lo, v2, s20
	v_cmp_lt_i64_e64 s9, s[22:23], s[16:17]
	v_add_co_ci_u32_e64 v3, null, s21, v3, vcc_lo
	v_add_co_u32 v4, vcc_lo, v4, 64
	v_add_co_ci_u32_e64 v5, null, 0, v5, vcc_lo
	s_and_b32 vcc_lo, exec_lo, s9
	s_waitcnt lgkmcnt(6)
	v_mul_f32_e32 v53, v22, v26
	v_mul_f32_e32 v54, v21, v26
	;; [unrolled: 1-line block ×4, first 2 shown]
	s_waitcnt lgkmcnt(5)
	v_mul_f32_e32 v57, v30, v26
	v_mul_f32_e32 v26, v29, v26
	;; [unrolled: 1-line block ×3, first 2 shown]
	v_fma_f32 v53, v21, v25, -v53
	v_fmac_f32_e32 v54, v22, v25
	v_fma_f32 v21, v21, v27, -v55
	v_fmac_f32_e32 v56, v22, v27
	v_fma_f32 v22, v29, v25, -v57
	v_mul_f32_e32 v28, v29, v28
	v_fmac_f32_e32 v26, v30, v25
	v_fma_f32 v25, v29, v27, -v58
	v_add_f32_e32 v29, v19, v53
	v_add_f32_e32 v53, v20, v54
	;; [unrolled: 1-line block ×5, first 2 shown]
	s_waitcnt lgkmcnt(1)
	v_mul_f32_e32 v22, v24, v46
	ds_read2_b64 v[17:20], v8 offset0:64 offset1:80
	v_add_f32_e32 v15, v15, v26
	v_fmac_f32_e32 v28, v30, v27
	v_mul_f32_e32 v26, v24, v48
	v_fma_f32 v22, v23, v45, -v22
	v_add_f32_e32 v10, v10, v25
	v_mul_f32_e32 v25, v23, v46
	v_add_f32_e32 v11, v11, v28
	v_mul_f32_e32 v27, v23, v48
	v_add_f32_e32 v28, v29, v22
	v_fma_f32 v22, v23, v47, -v26
	v_mul_f32_e32 v23, v32, v46
	v_fmac_f32_e32 v25, v24, v45
	v_fmac_f32_e32 v27, v24, v47
	v_mul_f32_e32 v24, v31, v46
	v_add_f32_e32 v26, v21, v22
	v_fma_f32 v21, v31, v45, -v23
	v_mul_f32_e32 v22, v32, v48
	v_mul_f32_e32 v29, v31, v48
	v_fmac_f32_e32 v24, v32, v45
	s_waitcnt lgkmcnt(0)
	v_mul_f32_e32 v30, v33, v18
	v_add_f32_e32 v13, v13, v21
	v_fma_f32 v21, v31, v47, -v22
	v_mul_f32_e32 v22, v34, v18
	v_fmac_f32_e32 v29, v32, v47
	v_mul_f32_e32 v32, v34, v20
	v_add_f32_e32 v25, v53, v25
	v_add_f32_e32 v15, v15, v24
	v_fma_f32 v31, v33, v17, -v22
	v_add_f32_e32 v10, v10, v21
	ds_read2_b64 v[21:24], v8 offset0:96 offset1:112
	v_fmac_f32_e32 v30, v34, v17
	v_add_f32_e32 v11, v11, v29
	v_add_f32_e32 v28, v28, v31
	v_fma_f32 v31, v33, v19, -v32
	v_mul_f32_e32 v29, v33, v20
	v_add_f32_e32 v25, v25, v30
	v_mul_f32_e32 v30, v50, v18
	v_mul_f32_e32 v18, v49, v18
	v_add_f32_e32 v26, v26, v31
	v_mul_f32_e32 v31, v50, v20
	v_mul_f32_e32 v32, v49, v20
	v_fma_f32 v30, v49, v17, -v30
	v_fmac_f32_e32 v18, v50, v17
	v_add_f32_e32 v27, v54, v27
	v_fma_f32 v17, v49, v19, -v31
	v_fmac_f32_e32 v29, v34, v19
	v_fmac_f32_e32 v32, v50, v19
	v_add_f32_e32 v15, v15, v18
	v_add_f32_e32 v13, v13, v30
	v_add_f32_e32 v10, v10, v17
	ds_read2_b64 v[17:20], v8 offset0:128 offset1:144
	v_add_f32_e32 v29, v27, v29
	s_waitcnt lgkmcnt(1)
	v_mul_f32_e32 v27, v36, v22
	v_mul_f32_e32 v31, v36, v24
	;; [unrolled: 1-line block ×3, first 2 shown]
	v_add_f32_e32 v11, v11, v32
	v_mul_f32_e32 v32, v35, v24
	v_fma_f32 v27, v35, v21, -v27
	v_fma_f32 v31, v35, v23, -v31
	v_fmac_f32_e32 v30, v36, v21
	v_fmac_f32_e32 v32, v36, v23
	v_add_f32_e32 v33, v28, v27
	v_mul_f32_e32 v27, v52, v22
	v_add_f32_e32 v35, v26, v31
	v_mul_f32_e32 v22, v51, v22
	v_mul_f32_e32 v31, v52, v24
	v_add_f32_e32 v34, v25, v30
	v_fma_f32 v30, v51, v21, -v27
	ds_read_b128 v[25:28], v9 offset:1056
	v_add_f32_e32 v36, v29, v32
	v_fmac_f32_e32 v22, v52, v21
	v_mul_f32_e32 v29, v51, v24
	v_fma_f32 v21, v51, v23, -v31
	s_waitcnt lgkmcnt(1)
	v_mul_f32_e32 v24, v38, v18
	v_add_f32_e32 v13, v13, v30
	v_add_f32_e32 v15, v15, v22
	v_fmac_f32_e32 v29, v52, v23
	v_add_f32_e32 v10, v10, v21
	v_fma_f32 v30, v37, v17, -v24
	ds_read2_b64 v[21:24], v8 offset0:160 offset1:176
	v_mul_f32_e32 v45, v37, v18
	v_mul_f32_e32 v31, v38, v20
	v_mul_f32_e32 v46, v37, v20
	v_add_f32_e32 v11, v11, v29
	v_add_f32_e32 v33, v33, v30
	v_fmac_f32_e32 v45, v38, v17
	v_fma_f32 v37, v37, v19, -v31
	ds_read_b128 v[29:32], v9 offset:1072
	s_waitcnt lgkmcnt(2)
	v_mul_f32_e32 v47, v26, v18
	v_fmac_f32_e32 v46, v38, v19
	v_mul_f32_e32 v18, v25, v18
	v_mul_f32_e32 v38, v26, v20
	v_add_f32_e32 v34, v34, v45
	v_add_f32_e32 v35, v35, v37
	v_fma_f32 v37, v25, v17, -v47
	v_fmac_f32_e32 v18, v26, v17
	v_mul_f32_e32 v45, v25, v20
	v_fma_f32 v17, v25, v19, -v38
	v_add_f32_e32 v36, v36, v46
	s_waitcnt lgkmcnt(1)
	v_mul_f32_e32 v20, v40, v22
	v_add_f32_e32 v13, v13, v37
	v_add_f32_e32 v15, v15, v18
	v_fmac_f32_e32 v45, v26, v19
	v_mul_f32_e32 v25, v39, v22
	v_add_f32_e32 v10, v10, v17
	v_fma_f32 v26, v39, v21, -v20
	ds_read2_b64 v[17:20], v8 offset0:192 offset1:208
	v_mul_f32_e32 v37, v40, v24
	v_fmac_f32_e32 v25, v40, v21
	v_add_f32_e32 v11, v11, v45
	v_add_f32_e32 v26, v33, v26
	v_mul_f32_e32 v33, v39, v24
	v_fma_f32 v37, v39, v23, -v37
	v_add_f32_e32 v25, v34, v25
	v_mul_f32_e32 v34, v28, v22
	v_mul_f32_e32 v22, v27, v22
	v_fmac_f32_e32 v33, v40, v23
	v_add_f32_e32 v35, v35, v37
	v_mul_f32_e32 v37, v28, v24
	v_fma_f32 v34, v27, v21, -v34
	v_fmac_f32_e32 v22, v28, v21
	v_add_f32_e32 v33, v36, v33
	v_mul_f32_e32 v36, v27, v24
	v_fma_f32 v21, v27, v23, -v37
	v_add_f32_e32 v13, v13, v34
	v_add_f32_e32 v15, v15, v22
	s_waitcnt lgkmcnt(0)
	v_mul_f32_e32 v27, v42, v18
	v_fmac_f32_e32 v36, v28, v23
	v_add_f32_e32 v10, v10, v21
	ds_read2_b64 v[21:24], v8 offset0:224 offset1:240
	v_mul_f32_e32 v28, v41, v18
	v_fma_f32 v27, v41, v17, -v27
	v_mul_f32_e32 v34, v42, v20
	v_add_f32_e32 v11, v11, v36
	v_mul_f32_e32 v36, v41, v20
	v_fmac_f32_e32 v28, v42, v17
	v_add_f32_e32 v26, v26, v27
	v_mul_f32_e32 v27, v30, v18
	v_fma_f32 v34, v41, v19, -v34
	v_mul_f32_e32 v18, v29, v18
	v_add_f32_e32 v25, v25, v28
	v_fmac_f32_e32 v36, v42, v19
	v_fma_f32 v27, v29, v17, -v27
	v_add_f32_e32 v28, v35, v34
	v_mul_f32_e32 v34, v30, v20
	v_fmac_f32_e32 v18, v30, v17
	v_mul_f32_e32 v17, v29, v20
	v_add_f32_e32 v13, v13, v27
	v_add_f32_e32 v33, v33, v36
	v_fma_f32 v20, v29, v19, -v34
	s_waitcnt lgkmcnt(0)
	v_mul_f32_e32 v27, v44, v22
	v_mul_f32_e32 v29, v43, v22
	v_add_f32_e32 v15, v15, v18
	v_fmac_f32_e32 v17, v30, v19
	v_add_f32_e32 v10, v10, v20
	v_fma_f32 v18, v43, v21, -v27
	v_fmac_f32_e32 v29, v44, v21
	v_mul_f32_e32 v27, v44, v24
	v_mul_f32_e32 v30, v43, v24
	v_add_f32_e32 v11, v11, v17
	v_add_f32_e32 v19, v26, v18
	;; [unrolled: 1-line block ×3, first 2 shown]
	v_mul_f32_e32 v18, v32, v22
	v_mul_f32_e32 v22, v31, v22
	;; [unrolled: 1-line block ×4, first 2 shown]
	v_fma_f32 v17, v43, v23, -v27
	v_fmac_f32_e32 v30, v44, v23
	v_fma_f32 v26, v31, v21, -v18
	v_fmac_f32_e32 v22, v32, v21
	;; [unrolled: 2-line block ×3, first 2 shown]
	v_add_f32_e32 v17, v28, v17
	v_add_f32_e32 v18, v33, v30
	;; [unrolled: 1-line block ×6, first 2 shown]
	s_barrier
	buffer_gl0_inv
	s_cbranch_vccz .LBB111_11
.LBB111_3:                              ; =>This Inner Loop Header: Depth=1
	v_add_co_u32 v21, s9, v12, s22
	v_add_co_ci_u32_e64 v22, null, 0, s23, s9
	v_cmp_le_i64_e32 vcc_lo, s[16:17], v[21:22]
	s_or_b32 s9, s1, vcc_lo
	s_and_saveexec_b32 s24, s9
	s_xor_b32 s9, exec_lo, s24
; %bb.4:                                ;   in Loop: Header=BB111_3 Depth=1
	ds_write_b32 v14, v6
; %bb.5:                                ;   in Loop: Header=BB111_3 Depth=1
	s_or_saveexec_b32 s9, s9
	v_mov_b32_e32 v21, 0
	s_xor_b32 exec_lo, exec_lo, s9
	s_cbranch_execz .LBB111_7
; %bb.6:                                ;   in Loop: Header=BB111_3 Depth=1
	global_load_dwordx2 v[22:23], v[4:5], off offset:-4
	s_waitcnt vmcnt(0)
	v_xor_b32_e32 v21, 0x80000000, v23
	ds_write_b32 v14, v22
.LBB111_7:                              ;   in Loop: Header=BB111_3 Depth=1
	s_or_b32 exec_lo, exec_lo, s9
	v_add_co_u32 v22, s9, v7, s22
	v_add_co_ci_u32_e64 v23, null, 0, s23, s9
	ds_write_b32 v14, v21 offset:4
	v_cmp_le_i64_e32 vcc_lo, s[16:17], v[22:23]
	s_or_b32 s9, vcc_lo, s0
	s_and_saveexec_b32 s24, s9
	s_xor_b32 s9, exec_lo, s24
; %bb.8:                                ;   in Loop: Header=BB111_3 Depth=1
	ds_write_b32 v16, v6
; %bb.9:                                ;   in Loop: Header=BB111_3 Depth=1
	s_or_saveexec_b32 s9, s9
	v_mov_b32_e32 v21, 0
	s_xor_b32 exec_lo, exec_lo, s9
	s_cbranch_execz .LBB111_2
; %bb.10:                               ;   in Loop: Header=BB111_3 Depth=1
	global_load_dwordx2 v[22:23], v[2:3], off offset:-4
	s_waitcnt vmcnt(0)
	v_xor_b32_e32 v21, 0x80000000, v23
	ds_write_b32 v16, v22
	s_branch .LBB111_2
.LBB111_11:
	s_clause 0x1
	s_load_dwordx4 s[28:31], s[4:5], 0x78
	s_load_dwordx8 s[20:27], s[4:5], 0x58
	v_add_co_u32 v1, s2, s2, v1
	v_add_co_ci_u32_e64 v2, null, s3, 0, s2
	s_waitcnt lgkmcnt(0)
	s_mul_i32 s1, s31, s8
	s_mul_hi_u32 s4, s30, s8
	s_mul_i32 s0, s30, s8
	s_add_i32 s1, s4, s1
	s_lshl_b64 s[0:1], s[0:1], 3
	s_add_u32 s3, s26, s0
	s_addc_u32 s4, s27, s1
	s_or_b32 s1, s10, s11
	v_cmp_gt_i64_e64 s0, s[14:15], v[1:2]
	s_bitset0_b32 s1, 31
	s_cmp_lg_u32 s1, 0
	s_mov_b32 s1, -1
	s_cbranch_scc1 .LBB111_23
; %bb.12:
	s_and_saveexec_b32 s5, s0
	s_cbranch_execz .LBB111_22
; %bb.13:
	v_mul_lo_u32 v5, v2, s28
	v_mul_lo_u32 v6, v1, s29
	v_mad_u64_u32 v[3:4], null, v1, s28, 0
	v_add3_u32 v4, v4, v6, v5
	v_add_co_u32 v5, s1, s6, v0
	v_add_co_ci_u32_e64 v6, null, s7, 0, s1
	v_lshlrev_b64 v[7:8], 3, v[3:4]
	v_cmp_gt_i64_e32 vcc_lo, s[12:13], v[5:6]
	v_lshlrev_b64 v[3:4], 3, v[5:6]
	v_add_co_u32 v7, s1, s3, v7
	v_add_co_ci_u32_e64 v8, null, s4, v8, s1
	s_and_saveexec_b32 s2, vcc_lo
	s_cbranch_execz .LBB111_15
; %bb.14:
	v_mul_f32_e32 v9, s19, v20
	v_mul_f32_e32 v22, s18, v20
	v_add_co_u32 v23, s1, v7, v3
	v_add_co_ci_u32_e64 v24, null, v8, v4, s1
	v_fma_f32 v21, v19, s18, -v9
	v_fmac_f32_e32 v22, s19, v19
	global_store_dwordx2 v[23:24], v[21:22], off
.LBB111_15:
	s_or_b32 exec_lo, exec_lo, s2
	v_add_co_u32 v5, s1, v5, 16
	v_add_co_ci_u32_e64 v6, null, 0, v6, s1
	v_cmp_gt_i64_e64 s1, s[12:13], v[5:6]
	s_and_saveexec_b32 s9, s1
	s_cbranch_execz .LBB111_17
; %bb.16:
	v_mul_f32_e32 v5, s19, v18
	v_mul_f32_e32 v6, s18, v18
	v_add_co_u32 v21, s2, v7, v3
	v_add_co_ci_u32_e64 v22, null, v8, v4, s2
	v_fma_f32 v5, v17, s18, -v5
	v_fmac_f32_e32 v6, s19, v17
	global_store_dwordx2 v[21:22], v[5:6], off offset:128
.LBB111_17:
	s_or_b32 exec_lo, exec_lo, s9
	v_add_co_u32 v5, s2, v1, 16
	v_add_co_ci_u32_e64 v6, null, 0, v2, s2
	v_cmp_gt_i64_e64 s2, s[14:15], v[5:6]
	s_and_b32 exec_lo, exec_lo, s2
	s_cbranch_execz .LBB111_22
; %bb.18:
	s_lshl_b64 s[16:17], s[28:29], 7
	v_add_co_u32 v5, s2, v7, s16
	v_add_co_ci_u32_e64 v6, null, s17, v8, s2
	v_add_co_u32 v3, s2, v5, v3
	v_add_co_ci_u32_e64 v4, null, v6, v4, s2
	s_and_saveexec_b32 s2, vcc_lo
	s_cbranch_execz .LBB111_20
; %bb.19:
	v_mul_f32_e32 v5, s19, v15
	v_mul_f32_e32 v6, s18, v15
	v_fma_f32 v5, v13, s18, -v5
	v_fmac_f32_e32 v6, s19, v13
	global_store_dwordx2 v[3:4], v[5:6], off
.LBB111_20:
	s_or_b32 exec_lo, exec_lo, s2
	s_and_b32 exec_lo, exec_lo, s1
	s_cbranch_execz .LBB111_22
; %bb.21:
	v_mul_f32_e32 v5, s19, v11
	v_mul_f32_e32 v6, s18, v11
	v_fma_f32 v5, v10, s18, -v5
	v_fmac_f32_e32 v6, s19, v10
	global_store_dwordx2 v[3:4], v[5:6], off offset:128
.LBB111_22:
	s_or_b32 exec_lo, exec_lo, s5
	s_mov_b32 s1, 0
.LBB111_23:
	s_andn2_b32 vcc_lo, exec_lo, s1
	s_cbranch_vccnz .LBB111_34
; %bb.24:
	s_and_saveexec_b32 s1, s0
	s_cbranch_execz .LBB111_34
; %bb.25:
	v_mul_lo_u32 v5, v2, s22
	v_mul_lo_u32 v6, v1, s23
	v_mad_u64_u32 v[3:4], null, v1, s22, 0
	v_mul_lo_u32 v9, v2, s28
	v_mul_lo_u32 v12, v1, s29
	v_mad_u64_u32 v[7:8], null, v1, s28, 0
	s_mul_i32 s0, s25, s8
	s_mul_hi_u32 s1, s24, s8
	v_add3_u32 v4, v4, v6, v5
	s_add_i32 s1, s1, s0
	s_mul_i32 s0, s24, s8
	v_add_co_u32 v5, s2, s6, v0
	v_add3_u32 v8, v8, v12, v9
	v_lshlrev_b64 v[3:4], 3, v[3:4]
	s_lshl_b64 s[0:1], s[0:1], 3
	v_add_co_ci_u32_e64 v6, null, s7, 0, s2
	v_lshlrev_b64 v[8:9], 3, v[7:8]
	s_add_u32 s0, s20, s0
	s_addc_u32 s1, s21, s1
	v_add_co_u32 v0, s0, s0, v3
	v_add_co_ci_u32_e64 v7, null, s1, v4, s0
	v_add_co_u32 v8, s0, s3, v8
	v_cmp_gt_i64_e32 vcc_lo, s[12:13], v[5:6]
	v_lshlrev_b64 v[3:4], 3, v[5:6]
	v_add_co_ci_u32_e64 v9, null, s4, v9, s0
	s_and_saveexec_b32 s1, vcc_lo
	s_cbranch_execz .LBB111_27
; %bb.26:
	v_add_co_u32 v21, s0, v0, v3
	v_add_co_ci_u32_e64 v22, null, v7, v4, s0
	v_mul_f32_e32 v12, s19, v20
	v_mul_f32_e32 v14, s18, v20
	global_load_dwordx2 v[21:22], v[21:22], off
	v_fma_f32 v12, v19, s18, -v12
	v_fmac_f32_e32 v14, s19, v19
	s_waitcnt vmcnt(0)
	v_mul_f32_e32 v16, s11, v22
	v_mul_f32_e32 v20, s10, v22
	v_fma_f32 v16, v21, s10, -v16
	v_fmac_f32_e32 v20, s11, v21
	v_add_co_u32 v21, s0, v8, v3
	v_add_co_ci_u32_e64 v22, null, v9, v4, s0
	v_add_f32_e32 v19, v12, v16
	v_add_f32_e32 v20, v14, v20
	global_store_dwordx2 v[21:22], v[19:20], off
.LBB111_27:
	s_or_b32 exec_lo, exec_lo, s1
	v_add_co_u32 v5, s0, v5, 16
	v_add_co_ci_u32_e64 v6, null, 0, v6, s0
	v_cmp_gt_i64_e64 s0, s[12:13], v[5:6]
	s_and_saveexec_b32 s2, s0
	s_cbranch_execz .LBB111_29
; %bb.28:
	v_add_co_u32 v5, s1, v0, v3
	v_add_co_ci_u32_e64 v6, null, v7, v4, s1
	v_mul_f32_e32 v12, s19, v18
	v_mul_f32_e32 v14, s18, v18
	global_load_dwordx2 v[5:6], v[5:6], off offset:128
	v_fma_f32 v12, v17, s18, -v12
	v_fmac_f32_e32 v14, s19, v17
	s_waitcnt vmcnt(0)
	v_mul_f32_e32 v16, s11, v6
	v_mul_f32_e32 v6, s10, v6
	v_fma_f32 v16, v5, s10, -v16
	v_fmac_f32_e32 v6, s11, v5
	v_add_f32_e32 v5, v12, v16
	v_add_co_u32 v16, s1, v8, v3
	v_add_f32_e32 v6, v14, v6
	v_add_co_ci_u32_e64 v17, null, v9, v4, s1
	global_store_dwordx2 v[16:17], v[5:6], off offset:128
.LBB111_29:
	s_or_b32 exec_lo, exec_lo, s2
	v_add_co_u32 v1, s1, v1, 16
	v_add_co_ci_u32_e64 v2, null, 0, v2, s1
	v_cmp_gt_i64_e64 s1, s[14:15], v[1:2]
	s_and_b32 exec_lo, exec_lo, s1
	s_cbranch_execz .LBB111_34
; %bb.30:
	s_lshl_b64 s[2:3], s[22:23], 7
	v_add_co_u32 v0, s1, v0, s2
	v_add_co_ci_u32_e64 v1, null, s3, v7, s1
	s_lshl_b64 s[2:3], s[28:29], 7
	v_add_co_u32 v2, s1, v8, s2
	v_add_co_ci_u32_e64 v7, null, s3, v9, s1
	v_add_co_u32 v5, s1, v0, v3
	v_add_co_ci_u32_e64 v6, null, v1, v4, s1
	;; [unrolled: 2-line block ×3, first 2 shown]
	s_and_saveexec_b32 s1, vcc_lo
	s_cbranch_execz .LBB111_32
; %bb.31:
	global_load_dwordx2 v[2:3], v[5:6], off
	v_mul_f32_e32 v4, s19, v15
	v_mul_f32_e32 v7, s18, v15
	v_fma_f32 v4, v13, s18, -v4
	v_fmac_f32_e32 v7, s19, v13
	s_waitcnt vmcnt(0)
	v_mul_f32_e32 v8, s11, v3
	v_mul_f32_e32 v3, s10, v3
	v_fma_f32 v8, v2, s10, -v8
	v_fmac_f32_e32 v3, s11, v2
	v_add_f32_e32 v2, v4, v8
	v_add_f32_e32 v3, v7, v3
	global_store_dwordx2 v[0:1], v[2:3], off
.LBB111_32:
	s_or_b32 exec_lo, exec_lo, s1
	s_and_b32 exec_lo, exec_lo, s0
	s_cbranch_execz .LBB111_34
; %bb.33:
	global_load_dwordx2 v[2:3], v[5:6], off offset:128
	v_mul_f32_e32 v4, s19, v11
	v_mul_f32_e32 v5, s18, v11
	v_fma_f32 v4, v10, s18, -v4
	v_fmac_f32_e32 v5, s19, v10
	s_waitcnt vmcnt(0)
	v_mul_f32_e32 v6, s11, v3
	v_mul_f32_e32 v3, s10, v3
	v_fma_f32 v6, v2, s10, -v6
	v_fmac_f32_e32 v3, s11, v2
	v_add_f32_e32 v2, v4, v6
	v_add_f32_e32 v3, v5, v3
	global_store_dwordx2 v[0:1], v[2:3], off offset:128
.LBB111_34:
	s_endpgm
	.section	.rodata,"a",@progbits
	.p2align	6, 0x0
	.amdhsa_kernel _ZN12_GLOBAL__N_135rocblas_gemm_batched_general_kernelI19rocblas_complex_numIfELi16ELi16ELi32ELi32ELi8ELi32ELi8ELi8ELi32ELc67ELc67EKS2_S3_S2_EEvlllT_PT11_llS6_llS4_PT12_llPT13_lli
		.amdhsa_group_segment_fixed_size 4096
		.amdhsa_private_segment_fixed_size 0
		.amdhsa_kernarg_size 140
		.amdhsa_user_sgpr_count 6
		.amdhsa_user_sgpr_private_segment_buffer 1
		.amdhsa_user_sgpr_dispatch_ptr 0
		.amdhsa_user_sgpr_queue_ptr 0
		.amdhsa_user_sgpr_kernarg_segment_ptr 1
		.amdhsa_user_sgpr_dispatch_id 0
		.amdhsa_user_sgpr_flat_scratch_init 0
		.amdhsa_user_sgpr_private_segment_size 0
		.amdhsa_wavefront_size32 1
		.amdhsa_uses_dynamic_stack 0
		.amdhsa_system_sgpr_private_segment_wavefront_offset 0
		.amdhsa_system_sgpr_workgroup_id_x 1
		.amdhsa_system_sgpr_workgroup_id_y 1
		.amdhsa_system_sgpr_workgroup_id_z 1
		.amdhsa_system_sgpr_workgroup_info 0
		.amdhsa_system_vgpr_workitem_id 1
		.amdhsa_next_free_vgpr 59
		.amdhsa_next_free_sgpr 36
		.amdhsa_reserve_vcc 1
		.amdhsa_reserve_flat_scratch 0
		.amdhsa_float_round_mode_32 0
		.amdhsa_float_round_mode_16_64 0
		.amdhsa_float_denorm_mode_32 3
		.amdhsa_float_denorm_mode_16_64 3
		.amdhsa_dx10_clamp 1
		.amdhsa_ieee_mode 1
		.amdhsa_fp16_overflow 0
		.amdhsa_workgroup_processor_mode 1
		.amdhsa_memory_ordered 1
		.amdhsa_forward_progress 1
		.amdhsa_shared_vgpr_count 0
		.amdhsa_exception_fp_ieee_invalid_op 0
		.amdhsa_exception_fp_denorm_src 0
		.amdhsa_exception_fp_ieee_div_zero 0
		.amdhsa_exception_fp_ieee_overflow 0
		.amdhsa_exception_fp_ieee_underflow 0
		.amdhsa_exception_fp_ieee_inexact 0
		.amdhsa_exception_int_div_zero 0
	.end_amdhsa_kernel
	.section	.text._ZN12_GLOBAL__N_135rocblas_gemm_batched_general_kernelI19rocblas_complex_numIfELi16ELi16ELi32ELi32ELi8ELi32ELi8ELi8ELi32ELc67ELc67EKS2_S3_S2_EEvlllT_PT11_llS6_llS4_PT12_llPT13_lli,"axG",@progbits,_ZN12_GLOBAL__N_135rocblas_gemm_batched_general_kernelI19rocblas_complex_numIfELi16ELi16ELi32ELi32ELi8ELi32ELi8ELi8ELi32ELc67ELc67EKS2_S3_S2_EEvlllT_PT11_llS6_llS4_PT12_llPT13_lli,comdat
.Lfunc_end111:
	.size	_ZN12_GLOBAL__N_135rocblas_gemm_batched_general_kernelI19rocblas_complex_numIfELi16ELi16ELi32ELi32ELi8ELi32ELi8ELi8ELi32ELc67ELc67EKS2_S3_S2_EEvlllT_PT11_llS6_llS4_PT12_llPT13_lli, .Lfunc_end111-_ZN12_GLOBAL__N_135rocblas_gemm_batched_general_kernelI19rocblas_complex_numIfELi16ELi16ELi32ELi32ELi8ELi32ELi8ELi8ELi32ELc67ELc67EKS2_S3_S2_EEvlllT_PT11_llS6_llS4_PT12_llPT13_lli
                                        ; -- End function
	.set _ZN12_GLOBAL__N_135rocblas_gemm_batched_general_kernelI19rocblas_complex_numIfELi16ELi16ELi32ELi32ELi8ELi32ELi8ELi8ELi32ELc67ELc67EKS2_S3_S2_EEvlllT_PT11_llS6_llS4_PT12_llPT13_lli.num_vgpr, 59
	.set _ZN12_GLOBAL__N_135rocblas_gemm_batched_general_kernelI19rocblas_complex_numIfELi16ELi16ELi32ELi32ELi8ELi32ELi8ELi8ELi32ELc67ELc67EKS2_S3_S2_EEvlllT_PT11_llS6_llS4_PT12_llPT13_lli.num_agpr, 0
	.set _ZN12_GLOBAL__N_135rocblas_gemm_batched_general_kernelI19rocblas_complex_numIfELi16ELi16ELi32ELi32ELi8ELi32ELi8ELi8ELi32ELc67ELc67EKS2_S3_S2_EEvlllT_PT11_llS6_llS4_PT12_llPT13_lli.numbered_sgpr, 36
	.set _ZN12_GLOBAL__N_135rocblas_gemm_batched_general_kernelI19rocblas_complex_numIfELi16ELi16ELi32ELi32ELi8ELi32ELi8ELi8ELi32ELc67ELc67EKS2_S3_S2_EEvlllT_PT11_llS6_llS4_PT12_llPT13_lli.num_named_barrier, 0
	.set _ZN12_GLOBAL__N_135rocblas_gemm_batched_general_kernelI19rocblas_complex_numIfELi16ELi16ELi32ELi32ELi8ELi32ELi8ELi8ELi32ELc67ELc67EKS2_S3_S2_EEvlllT_PT11_llS6_llS4_PT12_llPT13_lli.private_seg_size, 0
	.set _ZN12_GLOBAL__N_135rocblas_gemm_batched_general_kernelI19rocblas_complex_numIfELi16ELi16ELi32ELi32ELi8ELi32ELi8ELi8ELi32ELc67ELc67EKS2_S3_S2_EEvlllT_PT11_llS6_llS4_PT12_llPT13_lli.uses_vcc, 1
	.set _ZN12_GLOBAL__N_135rocblas_gemm_batched_general_kernelI19rocblas_complex_numIfELi16ELi16ELi32ELi32ELi8ELi32ELi8ELi8ELi32ELc67ELc67EKS2_S3_S2_EEvlllT_PT11_llS6_llS4_PT12_llPT13_lli.uses_flat_scratch, 0
	.set _ZN12_GLOBAL__N_135rocblas_gemm_batched_general_kernelI19rocblas_complex_numIfELi16ELi16ELi32ELi32ELi8ELi32ELi8ELi8ELi32ELc67ELc67EKS2_S3_S2_EEvlllT_PT11_llS6_llS4_PT12_llPT13_lli.has_dyn_sized_stack, 0
	.set _ZN12_GLOBAL__N_135rocblas_gemm_batched_general_kernelI19rocblas_complex_numIfELi16ELi16ELi32ELi32ELi8ELi32ELi8ELi8ELi32ELc67ELc67EKS2_S3_S2_EEvlllT_PT11_llS6_llS4_PT12_llPT13_lli.has_recursion, 0
	.set _ZN12_GLOBAL__N_135rocblas_gemm_batched_general_kernelI19rocblas_complex_numIfELi16ELi16ELi32ELi32ELi8ELi32ELi8ELi8ELi32ELc67ELc67EKS2_S3_S2_EEvlllT_PT11_llS6_llS4_PT12_llPT13_lli.has_indirect_call, 0
	.section	.AMDGPU.csdata,"",@progbits
; Kernel info:
; codeLenInByte = 3060
; TotalNumSgprs: 38
; NumVgprs: 59
; ScratchSize: 0
; MemoryBound: 0
; FloatMode: 240
; IeeeMode: 1
; LDSByteSize: 4096 bytes/workgroup (compile time only)
; SGPRBlocks: 0
; VGPRBlocks: 7
; NumSGPRsForWavesPerEU: 38
; NumVGPRsForWavesPerEU: 59
; Occupancy: 16
; WaveLimiterHint : 1
; COMPUTE_PGM_RSRC2:SCRATCH_EN: 0
; COMPUTE_PGM_RSRC2:USER_SGPR: 6
; COMPUTE_PGM_RSRC2:TRAP_HANDLER: 0
; COMPUTE_PGM_RSRC2:TGID_X_EN: 1
; COMPUTE_PGM_RSRC2:TGID_Y_EN: 1
; COMPUTE_PGM_RSRC2:TGID_Z_EN: 1
; COMPUTE_PGM_RSRC2:TIDIG_COMP_CNT: 1
	.section	.text._ZN12_GLOBAL__N_135rocblas_gemm_batched_general_kernelI19rocblas_complex_numIfELi16ELi16ELi32ELi32ELi8ELi32ELi8ELi8ELi32ELc67ELc78EKS2_S3_S2_EEvlllT_PT11_llS6_llS4_PT12_llPT13_lli,"axG",@progbits,_ZN12_GLOBAL__N_135rocblas_gemm_batched_general_kernelI19rocblas_complex_numIfELi16ELi16ELi32ELi32ELi8ELi32ELi8ELi8ELi32ELc67ELc78EKS2_S3_S2_EEvlllT_PT11_llS6_llS4_PT12_llPT13_lli,comdat
	.globl	_ZN12_GLOBAL__N_135rocblas_gemm_batched_general_kernelI19rocblas_complex_numIfELi16ELi16ELi32ELi32ELi8ELi32ELi8ELi8ELi32ELc67ELc78EKS2_S3_S2_EEvlllT_PT11_llS6_llS4_PT12_llPT13_lli ; -- Begin function _ZN12_GLOBAL__N_135rocblas_gemm_batched_general_kernelI19rocblas_complex_numIfELi16ELi16ELi32ELi32ELi8ELi32ELi8ELi8ELi32ELc67ELc78EKS2_S3_S2_EEvlllT_PT11_llS6_llS4_PT12_llPT13_lli
	.p2align	8
	.type	_ZN12_GLOBAL__N_135rocblas_gemm_batched_general_kernelI19rocblas_complex_numIfELi16ELi16ELi32ELi32ELi8ELi32ELi8ELi8ELi32ELc67ELc78EKS2_S3_S2_EEvlllT_PT11_llS6_llS4_PT12_llPT13_lli,@function
_ZN12_GLOBAL__N_135rocblas_gemm_batched_general_kernelI19rocblas_complex_numIfELi16ELi16ELi32ELi32ELi8ELi32ELi8ELi8ELi32ELc67ELc78EKS2_S3_S2_EEvlllT_PT11_llS6_llS4_PT12_llPT13_lli: ; @_ZN12_GLOBAL__N_135rocblas_gemm_batched_general_kernelI19rocblas_complex_numIfELi16ELi16ELi32ELi32ELi8ELi32ELi8ELi8ELi32ELc67ELc78EKS2_S3_S2_EEvlllT_PT11_llS6_llS4_PT12_llPT13_lli
; %bb.0:
	s_clause 0x1
	s_load_dwordx16 s[12:27], s[4:5], 0x0
	s_load_dwordx2 s[10:11], s[4:5], 0x50
	s_mov_b32 s0, s7
	v_mov_b32_e32 v20, 0
	v_mov_b32_e32 v21, 0
	;; [unrolled: 1-line block ×8, first 2 shown]
	s_ashr_i32 s7, s6, 31
	s_ashr_i32 s1, s0, 31
	s_lshl_b64 s[6:7], s[6:7], 5
	s_lshl_b64 s[34:35], s[0:1], 5
	s_waitcnt lgkmcnt(0)
	v_cmp_lt_i64_e64 s2, s[16:17], 1
	s_and_b32 vcc_lo, exec_lo, s2
	s_cbranch_vccnz .LBB112_11
; %bb.1:
	s_load_dwordx4 s[0:3], s[4:5], 0x40
	v_lshl_add_u32 v3, v1, 4, v0
	v_mov_b32_e32 v4, s7
	v_and_b32_e32 v8, 7, v0
	v_mov_b32_e32 v2, 0
	v_mov_b32_e32 v21, 0
	v_lshrrev_b32_e32 v7, 3, v3
	v_and_b32_e32 v12, 31, v3
	v_lshrrev_b32_e32 v9, 5, v3
	v_lshlrev_b32_e32 v14, 3, v8
	v_mov_b32_e32 v20, 0
	v_add_co_u32 v5, s9, v7, s34
	v_add_co_ci_u32_e64 v6, null, 0, s35, s9
	v_or_b32_e32 v3, s6, v12
	v_lshlrev_b32_e32 v13, 3, v12
	s_mul_hi_u32 s9, s24, s8
	v_lshl_or_b32 v7, v7, 6, v14
	v_cmp_gt_i64_e32 vcc_lo, s[12:13], v[3:4]
	s_waitcnt lgkmcnt(0)
	v_mul_lo_u32 v16, s0, v6
	v_mad_u64_u32 v[10:11], null, s0, v5, 0
	v_add_co_u32 v12, s0, s6, v12
	v_add_co_ci_u32_e64 v17, null, s7, 0, s0
	v_mul_lo_u32 v15, s1, v5
	v_mul_lo_u32 v18, s23, v12
	v_mad_u64_u32 v[3:4], null, s22, v12, 0
	v_mul_lo_u32 v19, s22, v17
	s_mul_i32 s1, s3, s8
	s_mul_hi_u32 s3, s2, s8
	s_mul_i32 s22, s24, s8
	v_add3_u32 v11, v11, v16, v15
	s_add_i32 s3, s3, s1
	s_mul_i32 s1, s25, s8
	v_cmp_gt_i64_e64 s0, s[14:15], v[5:6]
	v_add3_u32 v4, v4, v19, v18
	s_add_i32 s23, s9, s1
	v_lshlrev_b64 v[5:6], 3, v[10:11]
	s_lshl_b64 s[22:23], s[22:23], 3
	s_mul_i32 s2, s2, s8
	v_lshlrev_b64 v[3:4], 3, v[3:4]
	v_add_nc_u32_e32 v15, 0x800, v7
	v_lshlrev_b32_e32 v7, 3, v9
	s_lshl_b64 s[2:3], s[2:3], 3
	v_lshl_or_b32 v13, v9, 8, v13
	v_lshlrev_b32_e32 v16, 3, v0
	v_add_co_u32 v3, s1, v3, s22
	v_add_co_ci_u32_e64 v4, null, s23, v4, s1
	v_add_co_u32 v5, s1, v5, s2
	v_add_co_ci_u32_e64 v6, null, s3, v6, s1
	;; [unrolled: 2-line block ×6, first 2 shown]
	v_add_co_u32 v6, s1, v3, 4
	v_lshl_add_u32 v17, v1, 6, 0x800
	v_add_co_ci_u32_e64 v7, null, 0, v7, s1
	v_mov_b32_e32 v11, 0
	v_mov_b32_e32 v10, 0
	;; [unrolled: 1-line block ×6, first 2 shown]
	s_mov_b64 s[2:3], 0
	s_xor_b32 s1, vcc_lo, -1
	s_xor_b32 s0, s0, -1
	s_branch .LBB112_3
.LBB112_2:                              ;   in Loop: Header=BB112_3 Depth=1
	s_or_b32 exec_lo, exec_lo, s9
	s_waitcnt lgkmcnt(0)
	s_barrier
	buffer_gl0_inv
	ds_read_b128 v[22:25], v17
	ds_read2_b64 v[26:29], v16 offset1:16
	ds_read_b128 v[30:33], v17 offset:1024
	ds_read_b128 v[34:37], v17 offset:16
	;; [unrolled: 1-line block ×4, first 2 shown]
	ds_read2_b64 v[46:49], v16 offset0:32 offset1:48
	ds_read_b128 v[50:53], v17 offset:1040
	s_add_u32 s2, s2, 8
	s_addc_u32 s3, s3, 0
	v_add_co_u32 v4, vcc_lo, v4, 64
	v_cmp_lt_i64_e64 s9, s[2:3], s[16:17]
	v_add_co_ci_u32_e64 v5, null, 0, v5, vcc_lo
	v_add_co_u32 v6, vcc_lo, v6, 64
	v_add_co_ci_u32_e64 v7, null, 0, v7, vcc_lo
	s_and_b32 vcc_lo, exec_lo, s9
	s_waitcnt lgkmcnt(6)
	v_mul_f32_e32 v3, v23, v27
	v_mul_f32_e32 v54, v22, v27
	;; [unrolled: 1-line block ×4, first 2 shown]
	s_waitcnt lgkmcnt(5)
	v_mul_f32_e32 v57, v31, v27
	v_mul_f32_e32 v27, v30, v27
	;; [unrolled: 1-line block ×3, first 2 shown]
	v_fma_f32 v3, v22, v26, -v3
	v_fmac_f32_e32 v54, v23, v26
	v_fma_f32 v22, v22, v28, -v55
	v_fmac_f32_e32 v56, v23, v28
	v_fma_f32 v23, v30, v26, -v57
	v_mul_f32_e32 v29, v30, v29
	v_fmac_f32_e32 v27, v31, v26
	v_fma_f32 v26, v30, v28, -v58
	v_add_f32_e32 v3, v20, v3
	v_add_f32_e32 v30, v21, v54
	;; [unrolled: 1-line block ×5, first 2 shown]
	s_waitcnt lgkmcnt(1)
	v_mul_f32_e32 v23, v25, v47
	ds_read2_b64 v[18:21], v16 offset0:64 offset1:80
	v_add_f32_e32 v14, v14, v27
	v_mul_f32_e32 v27, v25, v49
	v_fmac_f32_e32 v29, v31, v28
	v_fma_f32 v23, v24, v46, -v23
	v_add_f32_e32 v10, v10, v26
	v_mul_f32_e32 v26, v24, v47
	v_mul_f32_e32 v28, v24, v49
	v_add_f32_e32 v11, v11, v29
	v_add_f32_e32 v3, v3, v23
	v_fma_f32 v23, v24, v48, -v27
	v_mul_f32_e32 v24, v33, v47
	v_fmac_f32_e32 v26, v25, v46
	v_fmac_f32_e32 v28, v25, v48
	v_mul_f32_e32 v25, v32, v47
	v_add_f32_e32 v27, v22, v23
	v_fma_f32 v22, v32, v46, -v24
	v_mul_f32_e32 v23, v33, v49
	v_add_f32_e32 v26, v30, v26
	v_fmac_f32_e32 v25, v33, v46
	v_mul_f32_e32 v29, v32, v49
	v_add_f32_e32 v12, v12, v22
	v_fma_f32 v22, v32, v48, -v23
	s_waitcnt lgkmcnt(0)
	v_mul_f32_e32 v23, v35, v19
	v_mul_f32_e32 v30, v34, v19
	;; [unrolled: 1-line block ×3, first 2 shown]
	v_add_f32_e32 v14, v14, v25
	v_add_f32_e32 v10, v10, v22
	v_fma_f32 v31, v34, v18, -v23
	ds_read2_b64 v[22:25], v16 offset0:96 offset1:112
	v_fmac_f32_e32 v30, v35, v18
	v_fmac_f32_e32 v29, v33, v48
	v_add_f32_e32 v28, v54, v28
	v_add_f32_e32 v3, v3, v31
	v_fma_f32 v31, v34, v20, -v32
	v_add_f32_e32 v26, v26, v30
	v_mul_f32_e32 v30, v51, v19
	v_mul_f32_e32 v19, v50, v19
	v_add_f32_e32 v11, v11, v29
	v_add_f32_e32 v27, v27, v31
	v_mul_f32_e32 v31, v51, v21
	v_mul_f32_e32 v29, v34, v21
	v_fma_f32 v30, v50, v18, -v30
	v_fmac_f32_e32 v19, v51, v18
	v_mul_f32_e32 v32, v50, v21
	v_fma_f32 v18, v50, v20, -v31
	v_fmac_f32_e32 v29, v35, v20
	v_add_f32_e32 v12, v12, v30
	v_add_f32_e32 v14, v14, v19
	v_fmac_f32_e32 v32, v51, v20
	v_add_f32_e32 v10, v10, v18
	ds_read2_b64 v[18:21], v16 offset0:128 offset1:144
	v_add_f32_e32 v33, v28, v29
	s_waitcnt lgkmcnt(1)
	v_mul_f32_e32 v28, v37, v23
	v_mul_f32_e32 v29, v36, v23
	;; [unrolled: 1-line block ×4, first 2 shown]
	v_add_f32_e32 v11, v11, v32
	v_fma_f32 v28, v36, v22, -v28
	v_fmac_f32_e32 v29, v37, v22
	v_fma_f32 v30, v36, v24, -v30
	v_fmac_f32_e32 v31, v37, v24
	v_mul_f32_e32 v32, v53, v25
	v_add_f32_e32 v3, v3, v28
	v_mul_f32_e32 v28, v53, v23
	v_mul_f32_e32 v23, v52, v23
	v_add_f32_e32 v34, v26, v29
	v_add_f32_e32 v35, v27, v30
	;; [unrolled: 1-line block ×3, first 2 shown]
	v_fma_f32 v30, v52, v22, -v28
	ds_read_b128 v[26:29], v17 offset:1056
	v_fmac_f32_e32 v23, v53, v22
	v_mul_f32_e32 v31, v52, v25
	v_fma_f32 v22, v52, v24, -v32
	s_waitcnt lgkmcnt(1)
	v_mul_f32_e32 v25, v39, v19
	v_add_f32_e32 v12, v12, v30
	v_add_f32_e32 v14, v14, v23
	v_fmac_f32_e32 v31, v53, v24
	v_add_f32_e32 v10, v10, v22
	v_fma_f32 v30, v38, v18, -v25
	ds_read2_b64 v[22:25], v16 offset0:160 offset1:176
	v_mul_f32_e32 v32, v39, v21
	v_mul_f32_e32 v37, v38, v19
	;; [unrolled: 1-line block ×3, first 2 shown]
	v_add_f32_e32 v11, v11, v31
	v_add_f32_e32 v3, v3, v30
	v_fma_f32 v38, v38, v20, -v32
	v_fmac_f32_e32 v37, v39, v18
	ds_read_b128 v[30:33], v17 offset:1072
	v_fmac_f32_e32 v46, v39, v20
	s_waitcnt lgkmcnt(2)
	v_mul_f32_e32 v47, v27, v19
	v_mul_f32_e32 v19, v26, v19
	v_add_f32_e32 v35, v35, v38
	v_mul_f32_e32 v38, v27, v21
	v_add_f32_e32 v34, v34, v37
	v_fma_f32 v37, v26, v18, -v47
	v_fmac_f32_e32 v19, v27, v18
	v_mul_f32_e32 v39, v26, v21
	v_fma_f32 v18, v26, v20, -v38
	v_add_f32_e32 v36, v36, v46
	s_waitcnt lgkmcnt(1)
	v_mul_f32_e32 v21, v41, v23
	v_add_f32_e32 v12, v12, v37
	v_add_f32_e32 v14, v14, v19
	v_fmac_f32_e32 v39, v27, v20
	v_mul_f32_e32 v26, v40, v23
	v_add_f32_e32 v10, v10, v18
	v_fma_f32 v27, v40, v22, -v21
	ds_read2_b64 v[18:21], v16 offset0:192 offset1:208
	v_mul_f32_e32 v37, v41, v25
	v_fmac_f32_e32 v26, v41, v22
	v_add_f32_e32 v11, v11, v39
	v_add_f32_e32 v3, v3, v27
	v_mul_f32_e32 v27, v40, v25
	v_fma_f32 v37, v40, v24, -v37
	v_add_f32_e32 v26, v34, v26
	v_mul_f32_e32 v34, v29, v23
	v_mul_f32_e32 v23, v28, v23
	v_fmac_f32_e32 v27, v41, v24
	v_add_f32_e32 v35, v35, v37
	v_mul_f32_e32 v37, v29, v25
	v_fma_f32 v34, v28, v22, -v34
	v_fmac_f32_e32 v23, v29, v22
	v_add_f32_e32 v27, v36, v27
	v_mul_f32_e32 v36, v28, v25
	v_fma_f32 v22, v28, v24, -v37
	v_add_f32_e32 v12, v12, v34
	v_add_f32_e32 v14, v14, v23
	s_waitcnt lgkmcnt(0)
	v_mul_f32_e32 v28, v43, v19
	v_fmac_f32_e32 v36, v29, v24
	v_add_f32_e32 v10, v10, v22
	ds_read2_b64 v[22:25], v16 offset0:224 offset1:240
	v_mul_f32_e32 v29, v42, v19
	v_fma_f32 v28, v42, v18, -v28
	v_mul_f32_e32 v34, v43, v21
	v_add_f32_e32 v11, v11, v36
	v_mul_f32_e32 v36, v42, v21
	v_fmac_f32_e32 v29, v43, v18
	v_add_f32_e32 v3, v3, v28
	v_mul_f32_e32 v28, v31, v19
	v_fma_f32 v34, v42, v20, -v34
	v_mul_f32_e32 v19, v30, v19
	v_add_f32_e32 v26, v26, v29
	v_fmac_f32_e32 v36, v43, v20
	v_fma_f32 v28, v30, v18, -v28
	v_add_f32_e32 v29, v35, v34
	v_mul_f32_e32 v34, v31, v21
	v_fmac_f32_e32 v19, v31, v18
	v_mul_f32_e32 v18, v30, v21
	v_add_f32_e32 v12, v12, v28
	v_add_f32_e32 v27, v27, v36
	v_fma_f32 v21, v30, v20, -v34
	s_waitcnt lgkmcnt(0)
	v_mul_f32_e32 v28, v45, v23
	v_mul_f32_e32 v30, v44, v23
	v_add_f32_e32 v14, v14, v19
	v_fmac_f32_e32 v18, v31, v20
	v_add_f32_e32 v10, v10, v21
	v_fma_f32 v19, v44, v22, -v28
	v_fmac_f32_e32 v30, v45, v22
	v_mul_f32_e32 v28, v45, v25
	v_mul_f32_e32 v31, v44, v25
	v_add_f32_e32 v11, v11, v18
	v_add_f32_e32 v20, v3, v19
	;; [unrolled: 1-line block ×3, first 2 shown]
	v_fma_f32 v3, v44, v24, -v28
	v_mul_f32_e32 v19, v33, v23
	v_mul_f32_e32 v23, v32, v23
	;; [unrolled: 1-line block ×4, first 2 shown]
	v_fmac_f32_e32 v31, v45, v24
	v_add_f32_e32 v18, v29, v3
	v_fma_f32 v3, v32, v22, -v19
	v_fmac_f32_e32 v23, v33, v22
	v_fma_f32 v22, v32, v24, -v26
	v_fmac_f32_e32 v25, v33, v24
	v_add_f32_e32 v19, v27, v31
	v_add_f32_e32 v12, v12, v3
	;; [unrolled: 1-line block ×5, first 2 shown]
	s_barrier
	buffer_gl0_inv
	s_cbranch_vccz .LBB112_11
.LBB112_3:                              ; =>This Inner Loop Header: Depth=1
	v_add_co_u32 v22, s9, v9, s2
	v_add_co_ci_u32_e64 v23, null, 0, s3, s9
	v_cmp_le_i64_e32 vcc_lo, s[16:17], v[22:23]
	s_or_b32 s9, s1, vcc_lo
	s_and_saveexec_b32 s20, s9
	s_xor_b32 s9, exec_lo, s20
; %bb.4:                                ;   in Loop: Header=BB112_3 Depth=1
	ds_write_b32 v13, v2
; %bb.5:                                ;   in Loop: Header=BB112_3 Depth=1
	s_or_saveexec_b32 s9, s9
	v_mov_b32_e32 v3, 0
	s_xor_b32 exec_lo, exec_lo, s9
	s_cbranch_execz .LBB112_7
; %bb.6:                                ;   in Loop: Header=BB112_3 Depth=1
	global_load_dwordx2 v[22:23], v[6:7], off offset:-4
	s_waitcnt vmcnt(0)
	v_xor_b32_e32 v3, 0x80000000, v23
	ds_write_b32 v13, v22
.LBB112_7:                              ;   in Loop: Header=BB112_3 Depth=1
	s_or_b32 exec_lo, exec_lo, s9
	v_add_co_u32 v22, s9, v8, s2
	v_add_co_ci_u32_e64 v23, null, 0, s3, s9
	ds_write_b32 v13, v3 offset:4
	v_cmp_le_i64_e32 vcc_lo, s[16:17], v[22:23]
	s_or_b32 s9, vcc_lo, s0
	s_and_saveexec_b32 s20, s9
	s_xor_b32 s9, exec_lo, s20
; %bb.8:                                ;   in Loop: Header=BB112_3 Depth=1
	v_mov_b32_e32 v3, v2
	ds_write_b64 v15, v[2:3]
; %bb.9:                                ;   in Loop: Header=BB112_3 Depth=1
	s_andn2_saveexec_b32 s9, s9
	s_cbranch_execz .LBB112_2
; %bb.10:                               ;   in Loop: Header=BB112_3 Depth=1
	global_load_dwordx2 v[22:23], v[4:5], off
	s_waitcnt vmcnt(0)
	ds_write_b64 v15, v[22:23]
	s_branch .LBB112_2
.LBB112_11:
	s_clause 0x1
	s_load_dwordx4 s[28:31], s[4:5], 0x78
	s_load_dwordx8 s[20:27], s[4:5], 0x58
	s_waitcnt lgkmcnt(0)
	s_mul_i32 s1, s31, s8
	s_mul_hi_u32 s2, s30, s8
	s_mul_i32 s0, s30, s8
	s_add_i32 s1, s2, s1
	v_add_co_u32 v1, s2, s34, v1
	v_add_co_ci_u32_e64 v2, null, s35, 0, s2
	s_lshl_b64 s[0:1], s[0:1], 3
	s_add_u32 s3, s26, s0
	s_addc_u32 s4, s27, s1
	s_or_b32 s1, s10, s11
	v_cmp_gt_i64_e64 s0, s[14:15], v[1:2]
	s_bitset0_b32 s1, 31
	s_cmp_lg_u32 s1, 0
	s_mov_b32 s1, -1
	s_cbranch_scc1 .LBB112_23
; %bb.12:
	s_and_saveexec_b32 s5, s0
	s_cbranch_execz .LBB112_22
; %bb.13:
	v_mul_lo_u32 v5, v2, s28
	v_mul_lo_u32 v6, v1, s29
	v_mad_u64_u32 v[3:4], null, v1, s28, 0
	v_add3_u32 v4, v4, v6, v5
	v_add_co_u32 v5, s1, s6, v0
	v_add_co_ci_u32_e64 v6, null, s7, 0, s1
	v_lshlrev_b64 v[7:8], 3, v[3:4]
	v_cmp_gt_i64_e32 vcc_lo, s[12:13], v[5:6]
	v_lshlrev_b64 v[3:4], 3, v[5:6]
	v_add_co_u32 v7, s1, s3, v7
	v_add_co_ci_u32_e64 v8, null, s4, v8, s1
	s_and_saveexec_b32 s2, vcc_lo
	s_cbranch_execz .LBB112_15
; %bb.14:
	v_mul_f32_e32 v9, s19, v21
	v_mul_f32_e32 v16, s18, v21
	v_add_co_u32 v22, s1, v7, v3
	v_add_co_ci_u32_e64 v23, null, v8, v4, s1
	v_fma_f32 v15, v20, s18, -v9
	v_fmac_f32_e32 v16, s19, v20
	global_store_dwordx2 v[22:23], v[15:16], off
.LBB112_15:
	s_or_b32 exec_lo, exec_lo, s2
	v_add_co_u32 v5, s1, v5, 16
	v_add_co_ci_u32_e64 v6, null, 0, v6, s1
	v_cmp_gt_i64_e64 s1, s[12:13], v[5:6]
	s_and_saveexec_b32 s9, s1
	s_cbranch_execz .LBB112_17
; %bb.16:
	v_mul_f32_e32 v5, s19, v19
	v_mul_f32_e32 v6, s18, v19
	v_add_co_u32 v15, s2, v7, v3
	v_add_co_ci_u32_e64 v16, null, v8, v4, s2
	v_fma_f32 v5, v18, s18, -v5
	v_fmac_f32_e32 v6, s19, v18
	global_store_dwordx2 v[15:16], v[5:6], off offset:128
.LBB112_17:
	s_or_b32 exec_lo, exec_lo, s9
	v_add_co_u32 v5, s2, v1, 16
	v_add_co_ci_u32_e64 v6, null, 0, v2, s2
	v_cmp_gt_i64_e64 s2, s[14:15], v[5:6]
	s_and_b32 exec_lo, exec_lo, s2
	s_cbranch_execz .LBB112_22
; %bb.18:
	s_lshl_b64 s[16:17], s[28:29], 7
	v_add_co_u32 v5, s2, v7, s16
	v_add_co_ci_u32_e64 v6, null, s17, v8, s2
	v_add_co_u32 v3, s2, v5, v3
	v_add_co_ci_u32_e64 v4, null, v6, v4, s2
	s_and_saveexec_b32 s2, vcc_lo
	s_cbranch_execz .LBB112_20
; %bb.19:
	v_mul_f32_e32 v5, s19, v14
	v_mul_f32_e32 v6, s18, v14
	v_fma_f32 v5, v12, s18, -v5
	v_fmac_f32_e32 v6, s19, v12
	global_store_dwordx2 v[3:4], v[5:6], off
.LBB112_20:
	s_or_b32 exec_lo, exec_lo, s2
	s_and_b32 exec_lo, exec_lo, s1
	s_cbranch_execz .LBB112_22
; %bb.21:
	v_mul_f32_e32 v5, s19, v11
	v_mul_f32_e32 v6, s18, v11
	v_fma_f32 v5, v10, s18, -v5
	v_fmac_f32_e32 v6, s19, v10
	global_store_dwordx2 v[3:4], v[5:6], off offset:128
.LBB112_22:
	s_or_b32 exec_lo, exec_lo, s5
	s_mov_b32 s1, 0
.LBB112_23:
	s_andn2_b32 vcc_lo, exec_lo, s1
	s_cbranch_vccnz .LBB112_34
; %bb.24:
	s_and_saveexec_b32 s1, s0
	s_cbranch_execz .LBB112_34
; %bb.25:
	v_mul_lo_u32 v5, v2, s22
	v_mul_lo_u32 v6, v1, s23
	v_mad_u64_u32 v[3:4], null, v1, s22, 0
	v_mul_lo_u32 v9, v2, s28
	v_mul_lo_u32 v13, v1, s29
	v_mad_u64_u32 v[7:8], null, v1, s28, 0
	s_mul_i32 s0, s25, s8
	s_mul_hi_u32 s1, s24, s8
	v_add3_u32 v4, v4, v6, v5
	s_add_i32 s1, s1, s0
	s_mul_i32 s0, s24, s8
	v_add_co_u32 v5, s2, s6, v0
	v_add3_u32 v8, v8, v13, v9
	v_lshlrev_b64 v[3:4], 3, v[3:4]
	s_lshl_b64 s[0:1], s[0:1], 3
	v_add_co_ci_u32_e64 v6, null, s7, 0, s2
	v_lshlrev_b64 v[8:9], 3, v[7:8]
	s_add_u32 s0, s20, s0
	s_addc_u32 s1, s21, s1
	v_add_co_u32 v0, s0, s0, v3
	v_add_co_ci_u32_e64 v7, null, s1, v4, s0
	v_add_co_u32 v8, s0, s3, v8
	v_cmp_gt_i64_e32 vcc_lo, s[12:13], v[5:6]
	v_lshlrev_b64 v[3:4], 3, v[5:6]
	v_add_co_ci_u32_e64 v9, null, s4, v9, s0
	s_and_saveexec_b32 s1, vcc_lo
	s_cbranch_execz .LBB112_27
; %bb.26:
	v_add_co_u32 v15, s0, v0, v3
	v_add_co_ci_u32_e64 v16, null, v7, v4, s0
	v_mul_f32_e32 v13, s19, v21
	v_mul_f32_e32 v17, s18, v21
	global_load_dwordx2 v[15:16], v[15:16], off
	v_fma_f32 v13, v20, s18, -v13
	v_fmac_f32_e32 v17, s19, v20
	s_waitcnt vmcnt(0)
	v_mul_f32_e32 v21, s11, v16
	v_mul_f32_e32 v16, s10, v16
	v_fma_f32 v20, v15, s10, -v21
	v_fmac_f32_e32 v16, s11, v15
	v_add_f32_e32 v15, v13, v20
	v_add_co_u32 v20, s0, v8, v3
	v_add_f32_e32 v16, v17, v16
	v_add_co_ci_u32_e64 v21, null, v9, v4, s0
	global_store_dwordx2 v[20:21], v[15:16], off
.LBB112_27:
	s_or_b32 exec_lo, exec_lo, s1
	v_add_co_u32 v5, s0, v5, 16
	v_add_co_ci_u32_e64 v6, null, 0, v6, s0
	v_cmp_gt_i64_e64 s0, s[12:13], v[5:6]
	s_and_saveexec_b32 s2, s0
	s_cbranch_execz .LBB112_29
; %bb.28:
	v_add_co_u32 v5, s1, v0, v3
	v_add_co_ci_u32_e64 v6, null, v7, v4, s1
	v_mul_f32_e32 v15, s18, v19
	v_mul_f32_e32 v13, s19, v19
	global_load_dwordx2 v[5:6], v[5:6], off offset:128
	v_fmac_f32_e32 v15, s19, v18
	v_fma_f32 v13, v18, s18, -v13
	s_waitcnt vmcnt(0)
	v_mul_f32_e32 v16, s11, v6
	v_mul_f32_e32 v6, s10, v6
	v_fma_f32 v16, v5, s10, -v16
	v_fmac_f32_e32 v6, s11, v5
	v_add_f32_e32 v5, v13, v16
	v_add_f32_e32 v6, v15, v6
	v_add_co_u32 v15, s1, v8, v3
	v_add_co_ci_u32_e64 v16, null, v9, v4, s1
	global_store_dwordx2 v[15:16], v[5:6], off offset:128
.LBB112_29:
	s_or_b32 exec_lo, exec_lo, s2
	v_add_co_u32 v1, s1, v1, 16
	v_add_co_ci_u32_e64 v2, null, 0, v2, s1
	v_cmp_gt_i64_e64 s1, s[14:15], v[1:2]
	s_and_b32 exec_lo, exec_lo, s1
	s_cbranch_execz .LBB112_34
; %bb.30:
	s_lshl_b64 s[2:3], s[22:23], 7
	v_add_co_u32 v0, s1, v0, s2
	v_add_co_ci_u32_e64 v1, null, s3, v7, s1
	s_lshl_b64 s[2:3], s[28:29], 7
	v_add_co_u32 v2, s1, v8, s2
	v_add_co_ci_u32_e64 v7, null, s3, v9, s1
	v_add_co_u32 v5, s1, v0, v3
	v_add_co_ci_u32_e64 v6, null, v1, v4, s1
	;; [unrolled: 2-line block ×3, first 2 shown]
	s_and_saveexec_b32 s1, vcc_lo
	s_cbranch_execz .LBB112_32
; %bb.31:
	global_load_dwordx2 v[2:3], v[5:6], off
	v_mul_f32_e32 v4, s19, v14
	v_mul_f32_e32 v7, s18, v14
	v_fma_f32 v4, v12, s18, -v4
	v_fmac_f32_e32 v7, s19, v12
	s_waitcnt vmcnt(0)
	v_mul_f32_e32 v8, s11, v3
	v_mul_f32_e32 v3, s10, v3
	v_fma_f32 v8, v2, s10, -v8
	v_fmac_f32_e32 v3, s11, v2
	v_add_f32_e32 v2, v4, v8
	v_add_f32_e32 v3, v7, v3
	global_store_dwordx2 v[0:1], v[2:3], off
.LBB112_32:
	s_or_b32 exec_lo, exec_lo, s1
	s_and_b32 exec_lo, exec_lo, s0
	s_cbranch_execz .LBB112_34
; %bb.33:
	global_load_dwordx2 v[2:3], v[5:6], off offset:128
	v_mul_f32_e32 v4, s19, v11
	v_mul_f32_e32 v5, s18, v11
	v_fma_f32 v4, v10, s18, -v4
	v_fmac_f32_e32 v5, s19, v10
	s_waitcnt vmcnt(0)
	v_mul_f32_e32 v6, s11, v3
	v_mul_f32_e32 v3, s10, v3
	v_fma_f32 v6, v2, s10, -v6
	v_fmac_f32_e32 v3, s11, v2
	v_add_f32_e32 v2, v4, v6
	v_add_f32_e32 v3, v5, v3
	global_store_dwordx2 v[0:1], v[2:3], off offset:128
.LBB112_34:
	s_endpgm
	.section	.rodata,"a",@progbits
	.p2align	6, 0x0
	.amdhsa_kernel _ZN12_GLOBAL__N_135rocblas_gemm_batched_general_kernelI19rocblas_complex_numIfELi16ELi16ELi32ELi32ELi8ELi32ELi8ELi8ELi32ELc67ELc78EKS2_S3_S2_EEvlllT_PT11_llS6_llS4_PT12_llPT13_lli
		.amdhsa_group_segment_fixed_size 4096
		.amdhsa_private_segment_fixed_size 0
		.amdhsa_kernarg_size 140
		.amdhsa_user_sgpr_count 6
		.amdhsa_user_sgpr_private_segment_buffer 1
		.amdhsa_user_sgpr_dispatch_ptr 0
		.amdhsa_user_sgpr_queue_ptr 0
		.amdhsa_user_sgpr_kernarg_segment_ptr 1
		.amdhsa_user_sgpr_dispatch_id 0
		.amdhsa_user_sgpr_flat_scratch_init 0
		.amdhsa_user_sgpr_private_segment_size 0
		.amdhsa_wavefront_size32 1
		.amdhsa_uses_dynamic_stack 0
		.amdhsa_system_sgpr_private_segment_wavefront_offset 0
		.amdhsa_system_sgpr_workgroup_id_x 1
		.amdhsa_system_sgpr_workgroup_id_y 1
		.amdhsa_system_sgpr_workgroup_id_z 1
		.amdhsa_system_sgpr_workgroup_info 0
		.amdhsa_system_vgpr_workitem_id 1
		.amdhsa_next_free_vgpr 59
		.amdhsa_next_free_sgpr 36
		.amdhsa_reserve_vcc 1
		.amdhsa_reserve_flat_scratch 0
		.amdhsa_float_round_mode_32 0
		.amdhsa_float_round_mode_16_64 0
		.amdhsa_float_denorm_mode_32 3
		.amdhsa_float_denorm_mode_16_64 3
		.amdhsa_dx10_clamp 1
		.amdhsa_ieee_mode 1
		.amdhsa_fp16_overflow 0
		.amdhsa_workgroup_processor_mode 1
		.amdhsa_memory_ordered 1
		.amdhsa_forward_progress 1
		.amdhsa_shared_vgpr_count 0
		.amdhsa_exception_fp_ieee_invalid_op 0
		.amdhsa_exception_fp_denorm_src 0
		.amdhsa_exception_fp_ieee_div_zero 0
		.amdhsa_exception_fp_ieee_overflow 0
		.amdhsa_exception_fp_ieee_underflow 0
		.amdhsa_exception_fp_ieee_inexact 0
		.amdhsa_exception_int_div_zero 0
	.end_amdhsa_kernel
	.section	.text._ZN12_GLOBAL__N_135rocblas_gemm_batched_general_kernelI19rocblas_complex_numIfELi16ELi16ELi32ELi32ELi8ELi32ELi8ELi8ELi32ELc67ELc78EKS2_S3_S2_EEvlllT_PT11_llS6_llS4_PT12_llPT13_lli,"axG",@progbits,_ZN12_GLOBAL__N_135rocblas_gemm_batched_general_kernelI19rocblas_complex_numIfELi16ELi16ELi32ELi32ELi8ELi32ELi8ELi8ELi32ELc67ELc78EKS2_S3_S2_EEvlllT_PT11_llS6_llS4_PT12_llPT13_lli,comdat
.Lfunc_end112:
	.size	_ZN12_GLOBAL__N_135rocblas_gemm_batched_general_kernelI19rocblas_complex_numIfELi16ELi16ELi32ELi32ELi8ELi32ELi8ELi8ELi32ELc67ELc78EKS2_S3_S2_EEvlllT_PT11_llS6_llS4_PT12_llPT13_lli, .Lfunc_end112-_ZN12_GLOBAL__N_135rocblas_gemm_batched_general_kernelI19rocblas_complex_numIfELi16ELi16ELi32ELi32ELi8ELi32ELi8ELi8ELi32ELc67ELc78EKS2_S3_S2_EEvlllT_PT11_llS6_llS4_PT12_llPT13_lli
                                        ; -- End function
	.set _ZN12_GLOBAL__N_135rocblas_gemm_batched_general_kernelI19rocblas_complex_numIfELi16ELi16ELi32ELi32ELi8ELi32ELi8ELi8ELi32ELc67ELc78EKS2_S3_S2_EEvlllT_PT11_llS6_llS4_PT12_llPT13_lli.num_vgpr, 59
	.set _ZN12_GLOBAL__N_135rocblas_gemm_batched_general_kernelI19rocblas_complex_numIfELi16ELi16ELi32ELi32ELi8ELi32ELi8ELi8ELi32ELc67ELc78EKS2_S3_S2_EEvlllT_PT11_llS6_llS4_PT12_llPT13_lli.num_agpr, 0
	.set _ZN12_GLOBAL__N_135rocblas_gemm_batched_general_kernelI19rocblas_complex_numIfELi16ELi16ELi32ELi32ELi8ELi32ELi8ELi8ELi32ELc67ELc78EKS2_S3_S2_EEvlllT_PT11_llS6_llS4_PT12_llPT13_lli.numbered_sgpr, 36
	.set _ZN12_GLOBAL__N_135rocblas_gemm_batched_general_kernelI19rocblas_complex_numIfELi16ELi16ELi32ELi32ELi8ELi32ELi8ELi8ELi32ELc67ELc78EKS2_S3_S2_EEvlllT_PT11_llS6_llS4_PT12_llPT13_lli.num_named_barrier, 0
	.set _ZN12_GLOBAL__N_135rocblas_gemm_batched_general_kernelI19rocblas_complex_numIfELi16ELi16ELi32ELi32ELi8ELi32ELi8ELi8ELi32ELc67ELc78EKS2_S3_S2_EEvlllT_PT11_llS6_llS4_PT12_llPT13_lli.private_seg_size, 0
	.set _ZN12_GLOBAL__N_135rocblas_gemm_batched_general_kernelI19rocblas_complex_numIfELi16ELi16ELi32ELi32ELi8ELi32ELi8ELi8ELi32ELc67ELc78EKS2_S3_S2_EEvlllT_PT11_llS6_llS4_PT12_llPT13_lli.uses_vcc, 1
	.set _ZN12_GLOBAL__N_135rocblas_gemm_batched_general_kernelI19rocblas_complex_numIfELi16ELi16ELi32ELi32ELi8ELi32ELi8ELi8ELi32ELc67ELc78EKS2_S3_S2_EEvlllT_PT11_llS6_llS4_PT12_llPT13_lli.uses_flat_scratch, 0
	.set _ZN12_GLOBAL__N_135rocblas_gemm_batched_general_kernelI19rocblas_complex_numIfELi16ELi16ELi32ELi32ELi8ELi32ELi8ELi8ELi32ELc67ELc78EKS2_S3_S2_EEvlllT_PT11_llS6_llS4_PT12_llPT13_lli.has_dyn_sized_stack, 0
	.set _ZN12_GLOBAL__N_135rocblas_gemm_batched_general_kernelI19rocblas_complex_numIfELi16ELi16ELi32ELi32ELi8ELi32ELi8ELi8ELi32ELc67ELc78EKS2_S3_S2_EEvlllT_PT11_llS6_llS4_PT12_llPT13_lli.has_recursion, 0
	.set _ZN12_GLOBAL__N_135rocblas_gemm_batched_general_kernelI19rocblas_complex_numIfELi16ELi16ELi32ELi32ELi8ELi32ELi8ELi8ELi32ELc67ELc78EKS2_S3_S2_EEvlllT_PT11_llS6_llS4_PT12_llPT13_lli.has_indirect_call, 0
	.section	.AMDGPU.csdata,"",@progbits
; Kernel info:
; codeLenInByte = 3012
; TotalNumSgprs: 38
; NumVgprs: 59
; ScratchSize: 0
; MemoryBound: 1
; FloatMode: 240
; IeeeMode: 1
; LDSByteSize: 4096 bytes/workgroup (compile time only)
; SGPRBlocks: 0
; VGPRBlocks: 7
; NumSGPRsForWavesPerEU: 38
; NumVGPRsForWavesPerEU: 59
; Occupancy: 16
; WaveLimiterHint : 1
; COMPUTE_PGM_RSRC2:SCRATCH_EN: 0
; COMPUTE_PGM_RSRC2:USER_SGPR: 6
; COMPUTE_PGM_RSRC2:TRAP_HANDLER: 0
; COMPUTE_PGM_RSRC2:TGID_X_EN: 1
; COMPUTE_PGM_RSRC2:TGID_Y_EN: 1
; COMPUTE_PGM_RSRC2:TGID_Z_EN: 1
; COMPUTE_PGM_RSRC2:TIDIG_COMP_CNT: 1
	.section	.text._ZN12_GLOBAL__N_135rocblas_gemm_batched_general_kernelI19rocblas_complex_numIfELi16ELi16ELi32ELi32ELi8ELi32ELi8ELi8ELi32ELc67ELc84EKS2_S3_S2_EEvlllT_PT11_llS6_llS4_PT12_llPT13_lli,"axG",@progbits,_ZN12_GLOBAL__N_135rocblas_gemm_batched_general_kernelI19rocblas_complex_numIfELi16ELi16ELi32ELi32ELi8ELi32ELi8ELi8ELi32ELc67ELc84EKS2_S3_S2_EEvlllT_PT11_llS6_llS4_PT12_llPT13_lli,comdat
	.globl	_ZN12_GLOBAL__N_135rocblas_gemm_batched_general_kernelI19rocblas_complex_numIfELi16ELi16ELi32ELi32ELi8ELi32ELi8ELi8ELi32ELc67ELc84EKS2_S3_S2_EEvlllT_PT11_llS6_llS4_PT12_llPT13_lli ; -- Begin function _ZN12_GLOBAL__N_135rocblas_gemm_batched_general_kernelI19rocblas_complex_numIfELi16ELi16ELi32ELi32ELi8ELi32ELi8ELi8ELi32ELc67ELc84EKS2_S3_S2_EEvlllT_PT11_llS6_llS4_PT12_llPT13_lli
	.p2align	8
	.type	_ZN12_GLOBAL__N_135rocblas_gemm_batched_general_kernelI19rocblas_complex_numIfELi16ELi16ELi32ELi32ELi8ELi32ELi8ELi8ELi32ELc67ELc84EKS2_S3_S2_EEvlllT_PT11_llS6_llS4_PT12_llPT13_lli,@function
_ZN12_GLOBAL__N_135rocblas_gemm_batched_general_kernelI19rocblas_complex_numIfELi16ELi16ELi32ELi32ELi8ELi32ELi8ELi8ELi32ELc67ELc84EKS2_S3_S2_EEvlllT_PT11_llS6_llS4_PT12_llPT13_lli: ; @_ZN12_GLOBAL__N_135rocblas_gemm_batched_general_kernelI19rocblas_complex_numIfELi16ELi16ELi32ELi32ELi8ELi32ELi8ELi8ELi32ELc67ELc84EKS2_S3_S2_EEvlllT_PT11_llS6_llS4_PT12_llPT13_lli
; %bb.0:
	s_clause 0x1
	s_load_dwordx16 s[12:27], s[4:5], 0x0
	s_load_dwordx2 s[10:11], s[4:5], 0x50
	s_mov_b32 s0, s7
	v_mov_b32_e32 v20, 0
	v_mov_b32_e32 v21, 0
	;; [unrolled: 1-line block ×8, first 2 shown]
	s_ashr_i32 s7, s6, 31
	s_ashr_i32 s1, s0, 31
	s_lshl_b64 s[6:7], s[6:7], 5
	s_waitcnt lgkmcnt(0)
	v_cmp_lt_i64_e64 s2, s[16:17], 1
	s_and_b32 vcc_lo, exec_lo, s2
	s_lshl_b64 s[2:3], s[0:1], 5
	s_cbranch_vccnz .LBB113_11
; %bb.1:
	s_load_dwordx4 s[28:31], s[4:5], 0x40
	v_lshl_add_u32 v7, v1, 4, v0
	v_and_b32_e32 v8, 7, v0
	v_mov_b32_e32 v4, s7
	s_lshl_b64 s[34:35], s[0:1], 8
	s_mul_i32 s9, s25, s8
	v_and_b32_e32 v15, 31, v7
	v_lshrrev_b32_e32 v14, 3, v7
	v_lshlrev_b32_e32 v16, 3, v8
	s_mul_hi_u32 s25, s24, s8
	v_lshrrev_b32_e32 v13, 5, v7
	v_or_b32_e32 v3, s6, v15
	v_add_co_u32 v11, s0, v14, s2
	v_add_co_ci_u32_e64 v12, null, 0, s3, s0
	v_lshl_or_b32 v18, v14, 6, v16
	v_add_co_u32 v14, s0, s6, v15
	v_lshlrev_b32_e32 v17, 3, v15
	s_waitcnt lgkmcnt(0)
	v_mad_u64_u32 v[5:6], null, s28, v8, 0
	v_add_co_ci_u32_e64 v15, null, s7, 0, s0
	v_cmp_gt_i64_e32 vcc_lo, s[12:13], v[3:4]
	v_mul_lo_u32 v19, s23, v14
	s_mul_i32 s1, s31, s8
	s_mul_hi_u32 s23, s30, s8
	v_mad_u64_u32 v[3:4], null, s29, v8, v[6:7]
	v_mul_lo_u32 v4, s22, v15
	v_mad_u64_u32 v[14:15], null, s22, v14, 0
	s_mul_i32 s22, s30, s8
	s_add_i32 s23, s23, s1
	v_and_b32_e32 v7, 0x1ff8, v7
	v_mov_b32_e32 v6, v3
	s_lshl_b64 s[22:23], s[22:23], 3
	v_cmp_gt_i64_e64 s0, s[14:15], v[11:12]
	v_add3_u32 v15, v15, v4, v19
	s_add_u32 s1, s34, s22
	v_lshlrev_b64 v[3:4], 3, v[5:6]
	s_addc_u32 s22, s35, s23
	s_add_i32 s23, s25, s9
	v_lshlrev_b64 v[5:6], 3, v[14:15]
	v_lshlrev_b32_e32 v11, 3, v13
	v_mov_b32_e32 v2, 0
	v_add_co_u32 v3, s1, s1, v3
	v_add_co_ci_u32_e64 v4, null, s22, v4, s1
	s_mul_i32 s22, s24, s8
	v_lshlrev_b32_e32 v9, 3, v0
	s_lshl_b64 s[22:23], s[22:23], 3
	v_lshl_add_u32 v10, v1, 6, 0x800
	v_add_co_u32 v5, s1, v5, s22
	v_add_co_ci_u32_e64 v6, null, s23, v6, s1
	v_add_co_u32 v3, s1, v3, v7
	v_add_co_ci_u32_e64 v7, null, 0, v4, s1
	;; [unrolled: 2-line block ×5, first 2 shown]
	v_lshl_or_b32 v16, v13, 8, v17
	v_add_co_u32 v6, s1, v3, 4
	v_add_nc_u32_e32 v17, 0x800, v18
	v_add_co_ci_u32_e64 v7, null, 0, v7, s1
	v_mov_b32_e32 v12, 0
	v_mov_b32_e32 v11, 0
	;; [unrolled: 1-line block ×8, first 2 shown]
	s_lshl_b64 s[20:21], s[28:29], 6
	s_mov_b64 s[22:23], 0
	s_xor_b32 s1, vcc_lo, -1
	s_xor_b32 s0, s0, -1
	s_branch .LBB113_3
.LBB113_2:                              ;   in Loop: Header=BB113_3 Depth=1
	s_or_b32 exec_lo, exec_lo, s9
	s_waitcnt lgkmcnt(0)
	s_barrier
	buffer_gl0_inv
	ds_read_b128 v[22:25], v10
	ds_read2_b64 v[26:29], v9 offset1:16
	ds_read_b128 v[30:33], v10 offset:1024
	ds_read_b128 v[34:37], v10 offset:16
	;; [unrolled: 1-line block ×4, first 2 shown]
	ds_read2_b64 v[46:49], v9 offset0:32 offset1:48
	ds_read_b128 v[50:53], v10 offset:1040
	s_add_u32 s22, s22, 8
	s_addc_u32 s23, s23, 0
	v_add_co_u32 v4, vcc_lo, v4, s20
	v_cmp_lt_i64_e64 s9, s[22:23], s[16:17]
	v_add_co_ci_u32_e64 v5, null, s21, v5, vcc_lo
	v_add_co_u32 v6, vcc_lo, v6, 64
	v_add_co_ci_u32_e64 v7, null, 0, v7, vcc_lo
	s_and_b32 vcc_lo, exec_lo, s9
	s_waitcnt lgkmcnt(6)
	v_mul_f32_e32 v3, v23, v27
	v_mul_f32_e32 v54, v22, v27
	;; [unrolled: 1-line block ×4, first 2 shown]
	s_waitcnt lgkmcnt(5)
	v_mul_f32_e32 v57, v31, v27
	v_mul_f32_e32 v27, v30, v27
	;; [unrolled: 1-line block ×3, first 2 shown]
	v_fma_f32 v3, v22, v26, -v3
	v_fmac_f32_e32 v54, v23, v26
	v_fma_f32 v22, v22, v28, -v55
	v_fmac_f32_e32 v56, v23, v28
	v_fma_f32 v23, v30, v26, -v57
	v_mul_f32_e32 v29, v30, v29
	v_fmac_f32_e32 v27, v31, v26
	v_fma_f32 v26, v30, v28, -v58
	v_add_f32_e32 v3, v20, v3
	v_add_f32_e32 v30, v21, v54
	;; [unrolled: 1-line block ×5, first 2 shown]
	s_waitcnt lgkmcnt(1)
	v_mul_f32_e32 v23, v25, v47
	ds_read2_b64 v[18:21], v9 offset0:64 offset1:80
	v_add_f32_e32 v15, v15, v27
	v_mul_f32_e32 v27, v25, v49
	v_fmac_f32_e32 v29, v31, v28
	v_fma_f32 v23, v24, v46, -v23
	v_add_f32_e32 v11, v11, v26
	v_mul_f32_e32 v26, v24, v47
	v_mul_f32_e32 v28, v24, v49
	v_add_f32_e32 v12, v12, v29
	v_add_f32_e32 v3, v3, v23
	v_fma_f32 v23, v24, v48, -v27
	v_mul_f32_e32 v24, v33, v47
	v_fmac_f32_e32 v26, v25, v46
	v_fmac_f32_e32 v28, v25, v48
	v_mul_f32_e32 v25, v32, v47
	v_add_f32_e32 v27, v22, v23
	v_fma_f32 v22, v32, v46, -v24
	v_mul_f32_e32 v23, v33, v49
	v_add_f32_e32 v26, v30, v26
	v_fmac_f32_e32 v25, v33, v46
	v_mul_f32_e32 v29, v32, v49
	v_add_f32_e32 v14, v14, v22
	v_fma_f32 v22, v32, v48, -v23
	s_waitcnt lgkmcnt(0)
	v_mul_f32_e32 v23, v35, v19
	v_mul_f32_e32 v30, v34, v19
	;; [unrolled: 1-line block ×3, first 2 shown]
	v_add_f32_e32 v15, v15, v25
	v_add_f32_e32 v11, v11, v22
	v_fma_f32 v31, v34, v18, -v23
	ds_read2_b64 v[22:25], v9 offset0:96 offset1:112
	v_fmac_f32_e32 v30, v35, v18
	v_fmac_f32_e32 v29, v33, v48
	v_add_f32_e32 v28, v54, v28
	v_add_f32_e32 v3, v3, v31
	v_fma_f32 v31, v34, v20, -v32
	v_add_f32_e32 v26, v26, v30
	v_mul_f32_e32 v30, v51, v19
	v_mul_f32_e32 v19, v50, v19
	v_add_f32_e32 v12, v12, v29
	v_add_f32_e32 v27, v27, v31
	v_mul_f32_e32 v31, v51, v21
	v_mul_f32_e32 v29, v34, v21
	v_fma_f32 v30, v50, v18, -v30
	v_fmac_f32_e32 v19, v51, v18
	v_mul_f32_e32 v32, v50, v21
	v_fma_f32 v18, v50, v20, -v31
	v_fmac_f32_e32 v29, v35, v20
	v_add_f32_e32 v14, v14, v30
	v_add_f32_e32 v15, v15, v19
	v_fmac_f32_e32 v32, v51, v20
	v_add_f32_e32 v11, v11, v18
	ds_read2_b64 v[18:21], v9 offset0:128 offset1:144
	v_add_f32_e32 v33, v28, v29
	s_waitcnt lgkmcnt(1)
	v_mul_f32_e32 v28, v37, v23
	v_mul_f32_e32 v29, v36, v23
	;; [unrolled: 1-line block ×4, first 2 shown]
	v_add_f32_e32 v12, v12, v32
	v_fma_f32 v28, v36, v22, -v28
	v_fmac_f32_e32 v29, v37, v22
	v_fma_f32 v30, v36, v24, -v30
	v_fmac_f32_e32 v31, v37, v24
	v_mul_f32_e32 v32, v53, v25
	v_add_f32_e32 v3, v3, v28
	v_mul_f32_e32 v28, v53, v23
	v_mul_f32_e32 v23, v52, v23
	v_add_f32_e32 v34, v26, v29
	v_add_f32_e32 v35, v27, v30
	;; [unrolled: 1-line block ×3, first 2 shown]
	v_fma_f32 v30, v52, v22, -v28
	ds_read_b128 v[26:29], v10 offset:1056
	v_fmac_f32_e32 v23, v53, v22
	v_mul_f32_e32 v31, v52, v25
	v_fma_f32 v22, v52, v24, -v32
	s_waitcnt lgkmcnt(1)
	v_mul_f32_e32 v25, v39, v19
	v_add_f32_e32 v14, v14, v30
	v_add_f32_e32 v15, v15, v23
	v_fmac_f32_e32 v31, v53, v24
	v_add_f32_e32 v11, v11, v22
	v_fma_f32 v30, v38, v18, -v25
	ds_read2_b64 v[22:25], v9 offset0:160 offset1:176
	v_mul_f32_e32 v32, v39, v21
	v_mul_f32_e32 v37, v38, v19
	;; [unrolled: 1-line block ×3, first 2 shown]
	v_add_f32_e32 v12, v12, v31
	v_add_f32_e32 v3, v3, v30
	v_fma_f32 v38, v38, v20, -v32
	v_fmac_f32_e32 v37, v39, v18
	ds_read_b128 v[30:33], v10 offset:1072
	v_fmac_f32_e32 v46, v39, v20
	s_waitcnt lgkmcnt(2)
	v_mul_f32_e32 v47, v27, v19
	v_mul_f32_e32 v19, v26, v19
	v_add_f32_e32 v35, v35, v38
	v_mul_f32_e32 v38, v27, v21
	v_add_f32_e32 v34, v34, v37
	v_fma_f32 v37, v26, v18, -v47
	v_fmac_f32_e32 v19, v27, v18
	v_mul_f32_e32 v39, v26, v21
	v_fma_f32 v18, v26, v20, -v38
	v_add_f32_e32 v36, v36, v46
	s_waitcnt lgkmcnt(1)
	v_mul_f32_e32 v21, v41, v23
	v_add_f32_e32 v14, v14, v37
	v_add_f32_e32 v15, v15, v19
	v_fmac_f32_e32 v39, v27, v20
	v_mul_f32_e32 v26, v40, v23
	v_add_f32_e32 v11, v11, v18
	v_fma_f32 v27, v40, v22, -v21
	ds_read2_b64 v[18:21], v9 offset0:192 offset1:208
	v_mul_f32_e32 v37, v41, v25
	v_fmac_f32_e32 v26, v41, v22
	v_add_f32_e32 v12, v12, v39
	v_add_f32_e32 v3, v3, v27
	v_mul_f32_e32 v27, v40, v25
	v_fma_f32 v37, v40, v24, -v37
	v_add_f32_e32 v26, v34, v26
	v_mul_f32_e32 v34, v29, v23
	v_mul_f32_e32 v23, v28, v23
	v_fmac_f32_e32 v27, v41, v24
	v_add_f32_e32 v35, v35, v37
	v_mul_f32_e32 v37, v29, v25
	v_fma_f32 v34, v28, v22, -v34
	v_fmac_f32_e32 v23, v29, v22
	v_add_f32_e32 v27, v36, v27
	v_mul_f32_e32 v36, v28, v25
	v_fma_f32 v22, v28, v24, -v37
	v_add_f32_e32 v14, v14, v34
	v_add_f32_e32 v15, v15, v23
	s_waitcnt lgkmcnt(0)
	v_mul_f32_e32 v28, v43, v19
	v_fmac_f32_e32 v36, v29, v24
	v_add_f32_e32 v11, v11, v22
	ds_read2_b64 v[22:25], v9 offset0:224 offset1:240
	v_mul_f32_e32 v29, v42, v19
	v_fma_f32 v28, v42, v18, -v28
	v_mul_f32_e32 v34, v43, v21
	v_add_f32_e32 v12, v12, v36
	v_mul_f32_e32 v36, v42, v21
	v_fmac_f32_e32 v29, v43, v18
	v_add_f32_e32 v3, v3, v28
	v_mul_f32_e32 v28, v31, v19
	v_fma_f32 v34, v42, v20, -v34
	v_mul_f32_e32 v19, v30, v19
	v_add_f32_e32 v26, v26, v29
	v_fmac_f32_e32 v36, v43, v20
	v_fma_f32 v28, v30, v18, -v28
	v_add_f32_e32 v29, v35, v34
	v_mul_f32_e32 v34, v31, v21
	v_fmac_f32_e32 v19, v31, v18
	v_mul_f32_e32 v18, v30, v21
	v_add_f32_e32 v14, v14, v28
	v_add_f32_e32 v27, v27, v36
	v_fma_f32 v21, v30, v20, -v34
	s_waitcnt lgkmcnt(0)
	v_mul_f32_e32 v28, v45, v23
	v_mul_f32_e32 v30, v44, v23
	v_add_f32_e32 v15, v15, v19
	v_fmac_f32_e32 v18, v31, v20
	v_add_f32_e32 v11, v11, v21
	v_fma_f32 v19, v44, v22, -v28
	v_fmac_f32_e32 v30, v45, v22
	v_mul_f32_e32 v28, v45, v25
	v_mul_f32_e32 v31, v44, v25
	v_add_f32_e32 v12, v12, v18
	v_add_f32_e32 v20, v3, v19
	;; [unrolled: 1-line block ×3, first 2 shown]
	v_fma_f32 v3, v44, v24, -v28
	v_mul_f32_e32 v19, v33, v23
	v_mul_f32_e32 v23, v32, v23
	;; [unrolled: 1-line block ×4, first 2 shown]
	v_fmac_f32_e32 v31, v45, v24
	v_add_f32_e32 v18, v29, v3
	v_fma_f32 v3, v32, v22, -v19
	v_fmac_f32_e32 v23, v33, v22
	v_fma_f32 v22, v32, v24, -v26
	v_fmac_f32_e32 v25, v33, v24
	v_add_f32_e32 v19, v27, v31
	v_add_f32_e32 v14, v14, v3
	;; [unrolled: 1-line block ×5, first 2 shown]
	s_barrier
	buffer_gl0_inv
	s_cbranch_vccz .LBB113_11
.LBB113_3:                              ; =>This Inner Loop Header: Depth=1
	v_add_co_u32 v22, s9, v13, s22
	v_add_co_ci_u32_e64 v23, null, 0, s23, s9
	v_cmp_le_i64_e32 vcc_lo, s[16:17], v[22:23]
	s_or_b32 s9, s1, vcc_lo
	s_and_saveexec_b32 s24, s9
	s_xor_b32 s9, exec_lo, s24
; %bb.4:                                ;   in Loop: Header=BB113_3 Depth=1
	ds_write_b32 v16, v2
; %bb.5:                                ;   in Loop: Header=BB113_3 Depth=1
	s_or_saveexec_b32 s9, s9
	v_mov_b32_e32 v3, 0
	s_xor_b32 exec_lo, exec_lo, s9
	s_cbranch_execz .LBB113_7
; %bb.6:                                ;   in Loop: Header=BB113_3 Depth=1
	global_load_dwordx2 v[22:23], v[6:7], off offset:-4
	s_waitcnt vmcnt(0)
	v_xor_b32_e32 v3, 0x80000000, v23
	ds_write_b32 v16, v22
.LBB113_7:                              ;   in Loop: Header=BB113_3 Depth=1
	s_or_b32 exec_lo, exec_lo, s9
	v_add_co_u32 v22, s9, v8, s22
	v_add_co_ci_u32_e64 v23, null, 0, s23, s9
	ds_write_b32 v16, v3 offset:4
	v_cmp_le_i64_e32 vcc_lo, s[16:17], v[22:23]
	s_or_b32 s9, vcc_lo, s0
	s_and_saveexec_b32 s24, s9
	s_xor_b32 s9, exec_lo, s24
; %bb.8:                                ;   in Loop: Header=BB113_3 Depth=1
	v_mov_b32_e32 v3, v2
	ds_write_b64 v17, v[2:3]
; %bb.9:                                ;   in Loop: Header=BB113_3 Depth=1
	s_andn2_saveexec_b32 s9, s9
	s_cbranch_execz .LBB113_2
; %bb.10:                               ;   in Loop: Header=BB113_3 Depth=1
	global_load_dwordx2 v[22:23], v[4:5], off
	s_waitcnt vmcnt(0)
	ds_write_b64 v17, v[22:23]
	s_branch .LBB113_2
.LBB113_11:
	s_clause 0x1
	s_load_dwordx4 s[28:31], s[4:5], 0x78
	s_load_dwordx8 s[20:27], s[4:5], 0x58
	v_add_co_u32 v1, s2, s2, v1
	v_add_co_ci_u32_e64 v2, null, s3, 0, s2
	s_waitcnt lgkmcnt(0)
	s_mul_i32 s1, s31, s8
	s_mul_hi_u32 s4, s30, s8
	s_mul_i32 s0, s30, s8
	s_add_i32 s1, s4, s1
	s_lshl_b64 s[0:1], s[0:1], 3
	s_add_u32 s3, s26, s0
	s_addc_u32 s4, s27, s1
	s_or_b32 s1, s10, s11
	v_cmp_gt_i64_e64 s0, s[14:15], v[1:2]
	s_bitset0_b32 s1, 31
	s_cmp_lg_u32 s1, 0
	s_mov_b32 s1, -1
	s_cbranch_scc1 .LBB113_23
; %bb.12:
	s_and_saveexec_b32 s5, s0
	s_cbranch_execz .LBB113_22
; %bb.13:
	v_mul_lo_u32 v5, v2, s28
	v_mul_lo_u32 v6, v1, s29
	v_mad_u64_u32 v[3:4], null, v1, s28, 0
	v_add3_u32 v4, v4, v6, v5
	v_add_co_u32 v5, s1, s6, v0
	v_add_co_ci_u32_e64 v6, null, s7, 0, s1
	v_lshlrev_b64 v[7:8], 3, v[3:4]
	v_cmp_gt_i64_e32 vcc_lo, s[12:13], v[5:6]
	v_lshlrev_b64 v[3:4], 3, v[5:6]
	v_add_co_u32 v7, s1, s3, v7
	v_add_co_ci_u32_e64 v8, null, s4, v8, s1
	s_and_saveexec_b32 s2, vcc_lo
	s_cbranch_execz .LBB113_15
; %bb.14:
	v_mul_f32_e32 v9, s19, v21
	v_mul_f32_e32 v10, s18, v21
	v_add_co_u32 v16, s1, v7, v3
	v_add_co_ci_u32_e64 v17, null, v8, v4, s1
	v_fma_f32 v9, v20, s18, -v9
	v_fmac_f32_e32 v10, s19, v20
	global_store_dwordx2 v[16:17], v[9:10], off
.LBB113_15:
	s_or_b32 exec_lo, exec_lo, s2
	v_add_co_u32 v5, s1, v5, 16
	v_add_co_ci_u32_e64 v6, null, 0, v6, s1
	v_cmp_gt_i64_e64 s1, s[12:13], v[5:6]
	s_and_saveexec_b32 s9, s1
	s_cbranch_execz .LBB113_17
; %bb.16:
	v_mul_f32_e32 v5, s19, v19
	v_mul_f32_e32 v6, s18, v19
	v_add_co_u32 v9, s2, v7, v3
	v_add_co_ci_u32_e64 v10, null, v8, v4, s2
	v_fma_f32 v5, v18, s18, -v5
	v_fmac_f32_e32 v6, s19, v18
	global_store_dwordx2 v[9:10], v[5:6], off offset:128
.LBB113_17:
	s_or_b32 exec_lo, exec_lo, s9
	v_add_co_u32 v5, s2, v1, 16
	v_add_co_ci_u32_e64 v6, null, 0, v2, s2
	v_cmp_gt_i64_e64 s2, s[14:15], v[5:6]
	s_and_b32 exec_lo, exec_lo, s2
	s_cbranch_execz .LBB113_22
; %bb.18:
	s_lshl_b64 s[16:17], s[28:29], 7
	v_add_co_u32 v5, s2, v7, s16
	v_add_co_ci_u32_e64 v6, null, s17, v8, s2
	v_add_co_u32 v3, s2, v5, v3
	v_add_co_ci_u32_e64 v4, null, v6, v4, s2
	s_and_saveexec_b32 s2, vcc_lo
	s_cbranch_execz .LBB113_20
; %bb.19:
	v_mul_f32_e32 v5, s19, v15
	v_mul_f32_e32 v6, s18, v15
	v_fma_f32 v5, v14, s18, -v5
	v_fmac_f32_e32 v6, s19, v14
	global_store_dwordx2 v[3:4], v[5:6], off
.LBB113_20:
	s_or_b32 exec_lo, exec_lo, s2
	s_and_b32 exec_lo, exec_lo, s1
	s_cbranch_execz .LBB113_22
; %bb.21:
	v_mul_f32_e32 v5, s19, v12
	v_mul_f32_e32 v6, s18, v12
	v_fma_f32 v5, v11, s18, -v5
	v_fmac_f32_e32 v6, s19, v11
	global_store_dwordx2 v[3:4], v[5:6], off offset:128
.LBB113_22:
	s_or_b32 exec_lo, exec_lo, s5
	s_mov_b32 s1, 0
.LBB113_23:
	s_andn2_b32 vcc_lo, exec_lo, s1
	s_cbranch_vccnz .LBB113_34
; %bb.24:
	s_and_saveexec_b32 s1, s0
	s_cbranch_execz .LBB113_34
; %bb.25:
	v_mul_lo_u32 v5, v2, s22
	v_mul_lo_u32 v6, v1, s23
	v_mad_u64_u32 v[3:4], null, v1, s22, 0
	v_mul_lo_u32 v9, v2, s28
	v_mul_lo_u32 v10, v1, s29
	v_mad_u64_u32 v[7:8], null, v1, s28, 0
	s_mul_i32 s0, s25, s8
	s_mul_hi_u32 s1, s24, s8
	v_add3_u32 v4, v4, v6, v5
	s_add_i32 s1, s1, s0
	s_mul_i32 s0, s24, s8
	v_add_co_u32 v5, s2, s6, v0
	v_add3_u32 v8, v8, v10, v9
	v_lshlrev_b64 v[3:4], 3, v[3:4]
	s_lshl_b64 s[0:1], s[0:1], 3
	v_add_co_ci_u32_e64 v6, null, s7, 0, s2
	v_lshlrev_b64 v[8:9], 3, v[7:8]
	s_add_u32 s0, s20, s0
	s_addc_u32 s1, s21, s1
	v_add_co_u32 v0, s0, s0, v3
	v_add_co_ci_u32_e64 v7, null, s1, v4, s0
	v_add_co_u32 v8, s0, s3, v8
	v_cmp_gt_i64_e32 vcc_lo, s[12:13], v[5:6]
	v_lshlrev_b64 v[3:4], 3, v[5:6]
	v_add_co_ci_u32_e64 v9, null, s4, v9, s0
	s_and_saveexec_b32 s1, vcc_lo
	s_cbranch_execz .LBB113_27
; %bb.26:
	v_add_co_u32 v16, s0, v0, v3
	v_add_co_ci_u32_e64 v17, null, v7, v4, s0
	v_mul_f32_e32 v10, s19, v21
	v_mul_f32_e32 v13, s18, v21
	global_load_dwordx2 v[16:17], v[16:17], off
	v_fma_f32 v10, v20, s18, -v10
	v_fmac_f32_e32 v13, s19, v20
	s_waitcnt vmcnt(0)
	v_mul_f32_e32 v21, s11, v17
	v_mul_f32_e32 v17, s10, v17
	v_fma_f32 v20, v16, s10, -v21
	v_fmac_f32_e32 v17, s11, v16
	v_add_f32_e32 v16, v10, v20
	v_add_co_u32 v20, s0, v8, v3
	v_add_f32_e32 v17, v13, v17
	v_add_co_ci_u32_e64 v21, null, v9, v4, s0
	global_store_dwordx2 v[20:21], v[16:17], off
.LBB113_27:
	s_or_b32 exec_lo, exec_lo, s1
	v_add_co_u32 v5, s0, v5, 16
	v_add_co_ci_u32_e64 v6, null, 0, v6, s0
	v_cmp_gt_i64_e64 s0, s[12:13], v[5:6]
	s_and_saveexec_b32 s2, s0
	s_cbranch_execz .LBB113_29
; %bb.28:
	v_add_co_u32 v5, s1, v0, v3
	v_add_co_ci_u32_e64 v6, null, v7, v4, s1
	v_mul_f32_e32 v10, s19, v19
	v_mul_f32_e32 v13, s18, v19
	global_load_dwordx2 v[5:6], v[5:6], off offset:128
	v_fma_f32 v10, v18, s18, -v10
	v_fmac_f32_e32 v13, s19, v18
	s_waitcnt vmcnt(0)
	v_mul_f32_e32 v16, s11, v6
	v_mul_f32_e32 v6, s10, v6
	v_fma_f32 v16, v5, s10, -v16
	v_fmac_f32_e32 v6, s11, v5
	v_add_f32_e32 v5, v10, v16
	v_add_co_u32 v16, s1, v8, v3
	v_add_f32_e32 v6, v13, v6
	v_add_co_ci_u32_e64 v17, null, v9, v4, s1
	global_store_dwordx2 v[16:17], v[5:6], off offset:128
.LBB113_29:
	s_or_b32 exec_lo, exec_lo, s2
	v_add_co_u32 v1, s1, v1, 16
	v_add_co_ci_u32_e64 v2, null, 0, v2, s1
	v_cmp_gt_i64_e64 s1, s[14:15], v[1:2]
	s_and_b32 exec_lo, exec_lo, s1
	s_cbranch_execz .LBB113_34
; %bb.30:
	s_lshl_b64 s[2:3], s[22:23], 7
	v_add_co_u32 v0, s1, v0, s2
	v_add_co_ci_u32_e64 v1, null, s3, v7, s1
	s_lshl_b64 s[2:3], s[28:29], 7
	v_add_co_u32 v2, s1, v8, s2
	v_add_co_ci_u32_e64 v7, null, s3, v9, s1
	v_add_co_u32 v5, s1, v0, v3
	v_add_co_ci_u32_e64 v6, null, v1, v4, s1
	;; [unrolled: 2-line block ×3, first 2 shown]
	s_and_saveexec_b32 s1, vcc_lo
	s_cbranch_execz .LBB113_32
; %bb.31:
	global_load_dwordx2 v[2:3], v[5:6], off
	v_mul_f32_e32 v4, s19, v15
	v_mul_f32_e32 v7, s18, v15
	v_fma_f32 v4, v14, s18, -v4
	v_fmac_f32_e32 v7, s19, v14
	s_waitcnt vmcnt(0)
	v_mul_f32_e32 v8, s11, v3
	v_mul_f32_e32 v3, s10, v3
	v_fma_f32 v8, v2, s10, -v8
	v_fmac_f32_e32 v3, s11, v2
	v_add_f32_e32 v2, v4, v8
	v_add_f32_e32 v3, v7, v3
	global_store_dwordx2 v[0:1], v[2:3], off
.LBB113_32:
	s_or_b32 exec_lo, exec_lo, s1
	s_and_b32 exec_lo, exec_lo, s0
	s_cbranch_execz .LBB113_34
; %bb.33:
	global_load_dwordx2 v[2:3], v[5:6], off offset:128
	v_mul_f32_e32 v4, s19, v12
	v_mul_f32_e32 v5, s18, v12
	v_fma_f32 v4, v11, s18, -v4
	v_fmac_f32_e32 v5, s19, v11
	s_waitcnt vmcnt(0)
	v_mul_f32_e32 v6, s11, v3
	v_mul_f32_e32 v3, s10, v3
	v_fma_f32 v6, v2, s10, -v6
	v_fmac_f32_e32 v3, s11, v2
	v_add_f32_e32 v2, v4, v6
	v_add_f32_e32 v3, v5, v3
	global_store_dwordx2 v[0:1], v[2:3], off offset:128
.LBB113_34:
	s_endpgm
	.section	.rodata,"a",@progbits
	.p2align	6, 0x0
	.amdhsa_kernel _ZN12_GLOBAL__N_135rocblas_gemm_batched_general_kernelI19rocblas_complex_numIfELi16ELi16ELi32ELi32ELi8ELi32ELi8ELi8ELi32ELc67ELc84EKS2_S3_S2_EEvlllT_PT11_llS6_llS4_PT12_llPT13_lli
		.amdhsa_group_segment_fixed_size 4096
		.amdhsa_private_segment_fixed_size 0
		.amdhsa_kernarg_size 140
		.amdhsa_user_sgpr_count 6
		.amdhsa_user_sgpr_private_segment_buffer 1
		.amdhsa_user_sgpr_dispatch_ptr 0
		.amdhsa_user_sgpr_queue_ptr 0
		.amdhsa_user_sgpr_kernarg_segment_ptr 1
		.amdhsa_user_sgpr_dispatch_id 0
		.amdhsa_user_sgpr_flat_scratch_init 0
		.amdhsa_user_sgpr_private_segment_size 0
		.amdhsa_wavefront_size32 1
		.amdhsa_uses_dynamic_stack 0
		.amdhsa_system_sgpr_private_segment_wavefront_offset 0
		.amdhsa_system_sgpr_workgroup_id_x 1
		.amdhsa_system_sgpr_workgroup_id_y 1
		.amdhsa_system_sgpr_workgroup_id_z 1
		.amdhsa_system_sgpr_workgroup_info 0
		.amdhsa_system_vgpr_workitem_id 1
		.amdhsa_next_free_vgpr 59
		.amdhsa_next_free_sgpr 36
		.amdhsa_reserve_vcc 1
		.amdhsa_reserve_flat_scratch 0
		.amdhsa_float_round_mode_32 0
		.amdhsa_float_round_mode_16_64 0
		.amdhsa_float_denorm_mode_32 3
		.amdhsa_float_denorm_mode_16_64 3
		.amdhsa_dx10_clamp 1
		.amdhsa_ieee_mode 1
		.amdhsa_fp16_overflow 0
		.amdhsa_workgroup_processor_mode 1
		.amdhsa_memory_ordered 1
		.amdhsa_forward_progress 1
		.amdhsa_shared_vgpr_count 0
		.amdhsa_exception_fp_ieee_invalid_op 0
		.amdhsa_exception_fp_denorm_src 0
		.amdhsa_exception_fp_ieee_div_zero 0
		.amdhsa_exception_fp_ieee_overflow 0
		.amdhsa_exception_fp_ieee_underflow 0
		.amdhsa_exception_fp_ieee_inexact 0
		.amdhsa_exception_int_div_zero 0
	.end_amdhsa_kernel
	.section	.text._ZN12_GLOBAL__N_135rocblas_gemm_batched_general_kernelI19rocblas_complex_numIfELi16ELi16ELi32ELi32ELi8ELi32ELi8ELi8ELi32ELc67ELc84EKS2_S3_S2_EEvlllT_PT11_llS6_llS4_PT12_llPT13_lli,"axG",@progbits,_ZN12_GLOBAL__N_135rocblas_gemm_batched_general_kernelI19rocblas_complex_numIfELi16ELi16ELi32ELi32ELi8ELi32ELi8ELi8ELi32ELc67ELc84EKS2_S3_S2_EEvlllT_PT11_llS6_llS4_PT12_llPT13_lli,comdat
.Lfunc_end113:
	.size	_ZN12_GLOBAL__N_135rocblas_gemm_batched_general_kernelI19rocblas_complex_numIfELi16ELi16ELi32ELi32ELi8ELi32ELi8ELi8ELi32ELc67ELc84EKS2_S3_S2_EEvlllT_PT11_llS6_llS4_PT12_llPT13_lli, .Lfunc_end113-_ZN12_GLOBAL__N_135rocblas_gemm_batched_general_kernelI19rocblas_complex_numIfELi16ELi16ELi32ELi32ELi8ELi32ELi8ELi8ELi32ELc67ELc84EKS2_S3_S2_EEvlllT_PT11_llS6_llS4_PT12_llPT13_lli
                                        ; -- End function
	.set _ZN12_GLOBAL__N_135rocblas_gemm_batched_general_kernelI19rocblas_complex_numIfELi16ELi16ELi32ELi32ELi8ELi32ELi8ELi8ELi32ELc67ELc84EKS2_S3_S2_EEvlllT_PT11_llS6_llS4_PT12_llPT13_lli.num_vgpr, 59
	.set _ZN12_GLOBAL__N_135rocblas_gemm_batched_general_kernelI19rocblas_complex_numIfELi16ELi16ELi32ELi32ELi8ELi32ELi8ELi8ELi32ELc67ELc84EKS2_S3_S2_EEvlllT_PT11_llS6_llS4_PT12_llPT13_lli.num_agpr, 0
	.set _ZN12_GLOBAL__N_135rocblas_gemm_batched_general_kernelI19rocblas_complex_numIfELi16ELi16ELi32ELi32ELi8ELi32ELi8ELi8ELi32ELc67ELc84EKS2_S3_S2_EEvlllT_PT11_llS6_llS4_PT12_llPT13_lli.numbered_sgpr, 36
	.set _ZN12_GLOBAL__N_135rocblas_gemm_batched_general_kernelI19rocblas_complex_numIfELi16ELi16ELi32ELi32ELi8ELi32ELi8ELi8ELi32ELc67ELc84EKS2_S3_S2_EEvlllT_PT11_llS6_llS4_PT12_llPT13_lli.num_named_barrier, 0
	.set _ZN12_GLOBAL__N_135rocblas_gemm_batched_general_kernelI19rocblas_complex_numIfELi16ELi16ELi32ELi32ELi8ELi32ELi8ELi8ELi32ELc67ELc84EKS2_S3_S2_EEvlllT_PT11_llS6_llS4_PT12_llPT13_lli.private_seg_size, 0
	.set _ZN12_GLOBAL__N_135rocblas_gemm_batched_general_kernelI19rocblas_complex_numIfELi16ELi16ELi32ELi32ELi8ELi32ELi8ELi8ELi32ELc67ELc84EKS2_S3_S2_EEvlllT_PT11_llS6_llS4_PT12_llPT13_lli.uses_vcc, 1
	.set _ZN12_GLOBAL__N_135rocblas_gemm_batched_general_kernelI19rocblas_complex_numIfELi16ELi16ELi32ELi32ELi8ELi32ELi8ELi8ELi32ELc67ELc84EKS2_S3_S2_EEvlllT_PT11_llS6_llS4_PT12_llPT13_lli.uses_flat_scratch, 0
	.set _ZN12_GLOBAL__N_135rocblas_gemm_batched_general_kernelI19rocblas_complex_numIfELi16ELi16ELi32ELi32ELi8ELi32ELi8ELi8ELi32ELc67ELc84EKS2_S3_S2_EEvlllT_PT11_llS6_llS4_PT12_llPT13_lli.has_dyn_sized_stack, 0
	.set _ZN12_GLOBAL__N_135rocblas_gemm_batched_general_kernelI19rocblas_complex_numIfELi16ELi16ELi32ELi32ELi8ELi32ELi8ELi8ELi32ELc67ELc84EKS2_S3_S2_EEvlllT_PT11_llS6_llS4_PT12_llPT13_lli.has_recursion, 0
	.set _ZN12_GLOBAL__N_135rocblas_gemm_batched_general_kernelI19rocblas_complex_numIfELi16ELi16ELi32ELi32ELi8ELi32ELi8ELi8ELi32ELc67ELc84EKS2_S3_S2_EEvlllT_PT11_llS6_llS4_PT12_llPT13_lli.has_indirect_call, 0
	.section	.AMDGPU.csdata,"",@progbits
; Kernel info:
; codeLenInByte = 3024
; TotalNumSgprs: 38
; NumVgprs: 59
; ScratchSize: 0
; MemoryBound: 1
; FloatMode: 240
; IeeeMode: 1
; LDSByteSize: 4096 bytes/workgroup (compile time only)
; SGPRBlocks: 0
; VGPRBlocks: 7
; NumSGPRsForWavesPerEU: 38
; NumVGPRsForWavesPerEU: 59
; Occupancy: 16
; WaveLimiterHint : 1
; COMPUTE_PGM_RSRC2:SCRATCH_EN: 0
; COMPUTE_PGM_RSRC2:USER_SGPR: 6
; COMPUTE_PGM_RSRC2:TRAP_HANDLER: 0
; COMPUTE_PGM_RSRC2:TGID_X_EN: 1
; COMPUTE_PGM_RSRC2:TGID_Y_EN: 1
; COMPUTE_PGM_RSRC2:TGID_Z_EN: 1
; COMPUTE_PGM_RSRC2:TIDIG_COMP_CNT: 1
	.section	.text._ZN12_GLOBAL__N_135rocblas_gemm_batched_general_kernelI19rocblas_complex_numIfELi16ELi16ELi32ELi32ELi8ELi32ELi8ELi8ELi32ELc78ELc67EKS2_S3_S2_EEvlllT_PT11_llS6_llS4_PT12_llPT13_lli,"axG",@progbits,_ZN12_GLOBAL__N_135rocblas_gemm_batched_general_kernelI19rocblas_complex_numIfELi16ELi16ELi32ELi32ELi8ELi32ELi8ELi8ELi32ELc78ELc67EKS2_S3_S2_EEvlllT_PT11_llS6_llS4_PT12_llPT13_lli,comdat
	.globl	_ZN12_GLOBAL__N_135rocblas_gemm_batched_general_kernelI19rocblas_complex_numIfELi16ELi16ELi32ELi32ELi8ELi32ELi8ELi8ELi32ELc78ELc67EKS2_S3_S2_EEvlllT_PT11_llS6_llS4_PT12_llPT13_lli ; -- Begin function _ZN12_GLOBAL__N_135rocblas_gemm_batched_general_kernelI19rocblas_complex_numIfELi16ELi16ELi32ELi32ELi8ELi32ELi8ELi8ELi32ELc78ELc67EKS2_S3_S2_EEvlllT_PT11_llS6_llS4_PT12_llPT13_lli
	.p2align	8
	.type	_ZN12_GLOBAL__N_135rocblas_gemm_batched_general_kernelI19rocblas_complex_numIfELi16ELi16ELi32ELi32ELi8ELi32ELi8ELi8ELi32ELc78ELc67EKS2_S3_S2_EEvlllT_PT11_llS6_llS4_PT12_llPT13_lli,@function
_ZN12_GLOBAL__N_135rocblas_gemm_batched_general_kernelI19rocblas_complex_numIfELi16ELi16ELi32ELi32ELi8ELi32ELi8ELi8ELi32ELc78ELc67EKS2_S3_S2_EEvlllT_PT11_llS6_llS4_PT12_llPT13_lli: ; @_ZN12_GLOBAL__N_135rocblas_gemm_batched_general_kernelI19rocblas_complex_numIfELi16ELi16ELi32ELi32ELi8ELi32ELi8ELi8ELi32ELc78ELc67EKS2_S3_S2_EEvlllT_PT11_llS6_llS4_PT12_llPT13_lli
; %bb.0:
	s_clause 0x1
	s_load_dwordx16 s[12:27], s[4:5], 0x0
	s_load_dwordx2 s[10:11], s[4:5], 0x50
	s_mov_b32 s0, s7
	v_mov_b32_e32 v20, 0
	v_mov_b32_e32 v21, 0
	;; [unrolled: 1-line block ×8, first 2 shown]
	s_ashr_i32 s7, s6, 31
	s_ashr_i32 s1, s0, 31
	s_lshl_b64 s[34:35], s[6:7], 5
	s_waitcnt lgkmcnt(0)
	v_cmp_lt_i64_e64 s2, s[16:17], 1
	s_and_b32 vcc_lo, exec_lo, s2
	s_lshl_b64 s[2:3], s[0:1], 5
	s_cbranch_vccnz .LBB114_11
; %bb.1:
	s_load_dwordx4 s[28:31], s[4:5], 0x40
	v_lshl_add_u32 v3, v1, 4, v0
	v_and_b32_e32 v8, 7, v0
	v_mov_b32_e32 v4, s35
	s_lshl_b64 s[36:37], s[0:1], 8
	s_mul_i32 s9, s25, s8
	v_and_b32_e32 v7, 31, v3
	v_lshrrev_b32_e32 v13, 5, v3
	v_lshrrev_b32_e32 v14, 3, v3
	v_and_b32_e32 v20, 0x1ff8, v3
	s_mul_hi_u32 s25, s24, s8
	v_or_b32_e32 v3, s34, v7
	v_lshlrev_b32_e32 v7, 3, v7
	v_mad_u64_u32 v[11:12], null, s22, v13, 0
	v_add_co_u32 v16, s0, v14, s2
	v_cmp_gt_i64_e32 vcc_lo, s[12:13], v[3:4]
	v_add_co_ci_u32_e64 v17, null, 0, s3, s0
	s_waitcnt lgkmcnt(0)
	v_mad_u64_u32 v[5:6], null, s28, v8, 0
	s_mul_i32 s1, s31, s8
	s_mul_hi_u32 s31, s30, s8
	s_mul_i32 s0, s30, s8
	s_add_i32 s1, s31, s1
	s_mul_i32 s24, s24, s8
	s_lshl_b64 s[30:31], s[0:1], 3
	v_mad_u64_u32 v[3:4], null, s29, v8, v[6:7]
	v_mov_b32_e32 v4, v12
	s_add_u32 s1, s36, s30
	s_addc_u32 s30, s37, s31
	s_add_i32 s25, s25, s9
	v_lshlrev_b32_e32 v15, 3, v8
	v_mad_u64_u32 v[18:19], null, s23, v13, v[4:5]
	v_mov_b32_e32 v6, v3
	s_lshl_b64 s[24:25], s[24:25], 3
	v_lshl_or_b32 v14, v14, 6, v15
	v_lshl_or_b32 v15, v13, 8, v7
	v_cmp_gt_i64_e64 s0, s[14:15], v[16:17]
	v_lshlrev_b64 v[3:4], 3, v[5:6]
	v_mov_b32_e32 v12, v18
	v_mov_b32_e32 v2, 0
	v_lshlrev_b32_e32 v9, 3, v0
	v_lshl_add_u32 v10, v1, 6, 0x800
	v_add_nc_u32_e32 v17, 0x800, v14
	v_add_co_u32 v5, s1, s1, v3
	v_add_co_ci_u32_e64 v6, null, s30, v4, s1
	v_lshlrev_b64 v[3:4], 3, v[11:12]
	v_add_co_u32 v5, s1, v5, v20
	s_lshl_b64 s[30:31], s[6:7], 8
	s_lshl_b64 s[6:7], s[28:29], 6
	v_add_co_ci_u32_e64 v6, null, 0, v6, s1
	s_add_u32 s1, s30, s24
	s_addc_u32 s9, s31, s25
	v_add_co_u32 v3, s1, s1, v3
	v_add_co_ci_u32_e64 v4, null, s9, v4, s1
	v_add_co_u32 v5, s1, s26, v5
	v_add_co_ci_u32_e64 v6, null, s27, v6, s1
	;; [unrolled: 2-line block ×5, first 2 shown]
	v_mov_b32_e32 v12, 0
	v_mov_b32_e32 v11, 0
	;; [unrolled: 1-line block ×8, first 2 shown]
	s_lshl_b64 s[20:21], s[22:23], 6
	s_mov_b64 s[22:23], 0
	s_xor_b32 s1, vcc_lo, -1
	s_xor_b32 s0, s0, -1
	s_branch .LBB114_3
.LBB114_2:                              ;   in Loop: Header=BB114_3 Depth=1
	s_or_b32 exec_lo, exec_lo, s9
	ds_write_b32 v17, v3 offset:4
	s_waitcnt lgkmcnt(0)
	s_barrier
	buffer_gl0_inv
	ds_read_b128 v[22:25], v10
	ds_read2_b64 v[26:29], v9 offset1:16
	ds_read_b128 v[30:33], v10 offset:1024
	ds_read_b128 v[34:37], v10 offset:16
	;; [unrolled: 1-line block ×4, first 2 shown]
	ds_read2_b64 v[46:49], v9 offset0:32 offset1:48
	ds_read_b128 v[50:53], v10 offset:1040
	s_add_u32 s22, s22, 8
	s_addc_u32 s23, s23, 0
	v_add_co_u32 v4, vcc_lo, v4, s6
	v_cmp_lt_i64_e64 s9, s[22:23], s[16:17]
	v_add_co_ci_u32_e64 v5, null, s7, v5, vcc_lo
	v_add_co_u32 v6, vcc_lo, v6, s20
	v_add_co_ci_u32_e64 v7, null, s21, v7, vcc_lo
	s_and_b32 vcc_lo, exec_lo, s9
	s_waitcnt lgkmcnt(6)
	v_mul_f32_e32 v3, v23, v27
	v_mul_f32_e32 v54, v22, v27
	;; [unrolled: 1-line block ×4, first 2 shown]
	s_waitcnt lgkmcnt(5)
	v_mul_f32_e32 v57, v31, v27
	v_mul_f32_e32 v27, v30, v27
	;; [unrolled: 1-line block ×3, first 2 shown]
	v_fma_f32 v3, v22, v26, -v3
	v_fmac_f32_e32 v54, v23, v26
	v_fma_f32 v22, v22, v28, -v55
	v_fmac_f32_e32 v56, v23, v28
	v_fma_f32 v23, v30, v26, -v57
	v_mul_f32_e32 v29, v30, v29
	v_fmac_f32_e32 v27, v31, v26
	v_fma_f32 v26, v30, v28, -v58
	v_add_f32_e32 v3, v20, v3
	v_add_f32_e32 v30, v21, v54
	;; [unrolled: 1-line block ×5, first 2 shown]
	s_waitcnt lgkmcnt(1)
	v_mul_f32_e32 v23, v25, v47
	ds_read2_b64 v[18:21], v9 offset0:64 offset1:80
	v_add_f32_e32 v16, v16, v27
	v_mul_f32_e32 v27, v25, v49
	v_fmac_f32_e32 v29, v31, v28
	v_fma_f32 v23, v24, v46, -v23
	v_add_f32_e32 v11, v11, v26
	v_mul_f32_e32 v26, v24, v47
	v_mul_f32_e32 v28, v24, v49
	v_add_f32_e32 v12, v12, v29
	v_add_f32_e32 v3, v3, v23
	v_fma_f32 v23, v24, v48, -v27
	v_mul_f32_e32 v24, v33, v47
	v_fmac_f32_e32 v26, v25, v46
	v_fmac_f32_e32 v28, v25, v48
	v_mul_f32_e32 v25, v32, v47
	v_add_f32_e32 v27, v22, v23
	v_fma_f32 v22, v32, v46, -v24
	v_mul_f32_e32 v23, v33, v49
	v_add_f32_e32 v26, v30, v26
	v_fmac_f32_e32 v25, v33, v46
	v_mul_f32_e32 v29, v32, v49
	v_add_f32_e32 v14, v14, v22
	v_fma_f32 v22, v32, v48, -v23
	s_waitcnt lgkmcnt(0)
	v_mul_f32_e32 v23, v35, v19
	v_mul_f32_e32 v30, v34, v19
	;; [unrolled: 1-line block ×3, first 2 shown]
	v_add_f32_e32 v16, v16, v25
	v_add_f32_e32 v11, v11, v22
	v_fma_f32 v31, v34, v18, -v23
	ds_read2_b64 v[22:25], v9 offset0:96 offset1:112
	v_fmac_f32_e32 v30, v35, v18
	v_fmac_f32_e32 v29, v33, v48
	v_add_f32_e32 v28, v54, v28
	v_add_f32_e32 v3, v3, v31
	v_fma_f32 v31, v34, v20, -v32
	v_add_f32_e32 v26, v26, v30
	v_mul_f32_e32 v30, v51, v19
	v_mul_f32_e32 v19, v50, v19
	v_add_f32_e32 v12, v12, v29
	v_add_f32_e32 v27, v27, v31
	v_mul_f32_e32 v31, v51, v21
	v_mul_f32_e32 v29, v34, v21
	v_fma_f32 v30, v50, v18, -v30
	v_fmac_f32_e32 v19, v51, v18
	v_mul_f32_e32 v32, v50, v21
	v_fma_f32 v18, v50, v20, -v31
	v_fmac_f32_e32 v29, v35, v20
	v_add_f32_e32 v14, v14, v30
	v_add_f32_e32 v16, v16, v19
	v_fmac_f32_e32 v32, v51, v20
	v_add_f32_e32 v11, v11, v18
	ds_read2_b64 v[18:21], v9 offset0:128 offset1:144
	v_add_f32_e32 v33, v28, v29
	s_waitcnt lgkmcnt(1)
	v_mul_f32_e32 v28, v37, v23
	v_mul_f32_e32 v29, v36, v23
	;; [unrolled: 1-line block ×4, first 2 shown]
	v_add_f32_e32 v12, v12, v32
	v_fma_f32 v28, v36, v22, -v28
	v_fmac_f32_e32 v29, v37, v22
	v_fma_f32 v30, v36, v24, -v30
	v_fmac_f32_e32 v31, v37, v24
	v_mul_f32_e32 v32, v53, v25
	v_add_f32_e32 v3, v3, v28
	v_mul_f32_e32 v28, v53, v23
	v_mul_f32_e32 v23, v52, v23
	v_add_f32_e32 v34, v26, v29
	v_add_f32_e32 v35, v27, v30
	;; [unrolled: 1-line block ×3, first 2 shown]
	v_fma_f32 v30, v52, v22, -v28
	ds_read_b128 v[26:29], v10 offset:1056
	v_fmac_f32_e32 v23, v53, v22
	v_mul_f32_e32 v31, v52, v25
	v_fma_f32 v22, v52, v24, -v32
	s_waitcnt lgkmcnt(1)
	v_mul_f32_e32 v25, v39, v19
	v_add_f32_e32 v14, v14, v30
	v_add_f32_e32 v16, v16, v23
	v_fmac_f32_e32 v31, v53, v24
	v_add_f32_e32 v11, v11, v22
	v_fma_f32 v30, v38, v18, -v25
	ds_read2_b64 v[22:25], v9 offset0:160 offset1:176
	v_mul_f32_e32 v32, v39, v21
	v_mul_f32_e32 v37, v38, v19
	;; [unrolled: 1-line block ×3, first 2 shown]
	v_add_f32_e32 v12, v12, v31
	v_add_f32_e32 v3, v3, v30
	v_fma_f32 v38, v38, v20, -v32
	v_fmac_f32_e32 v37, v39, v18
	ds_read_b128 v[30:33], v10 offset:1072
	v_fmac_f32_e32 v46, v39, v20
	s_waitcnt lgkmcnt(2)
	v_mul_f32_e32 v47, v27, v19
	v_mul_f32_e32 v19, v26, v19
	v_add_f32_e32 v35, v35, v38
	v_mul_f32_e32 v38, v27, v21
	v_add_f32_e32 v34, v34, v37
	v_fma_f32 v37, v26, v18, -v47
	v_fmac_f32_e32 v19, v27, v18
	v_mul_f32_e32 v39, v26, v21
	v_fma_f32 v18, v26, v20, -v38
	v_add_f32_e32 v36, v36, v46
	s_waitcnt lgkmcnt(1)
	v_mul_f32_e32 v21, v41, v23
	v_add_f32_e32 v14, v14, v37
	v_add_f32_e32 v16, v16, v19
	v_fmac_f32_e32 v39, v27, v20
	v_mul_f32_e32 v26, v40, v23
	v_add_f32_e32 v11, v11, v18
	v_fma_f32 v27, v40, v22, -v21
	ds_read2_b64 v[18:21], v9 offset0:192 offset1:208
	v_mul_f32_e32 v37, v41, v25
	v_fmac_f32_e32 v26, v41, v22
	v_add_f32_e32 v12, v12, v39
	v_add_f32_e32 v3, v3, v27
	v_mul_f32_e32 v27, v40, v25
	v_fma_f32 v37, v40, v24, -v37
	v_add_f32_e32 v26, v34, v26
	v_mul_f32_e32 v34, v29, v23
	v_mul_f32_e32 v23, v28, v23
	v_fmac_f32_e32 v27, v41, v24
	v_add_f32_e32 v35, v35, v37
	v_mul_f32_e32 v37, v29, v25
	v_fma_f32 v34, v28, v22, -v34
	v_fmac_f32_e32 v23, v29, v22
	v_add_f32_e32 v27, v36, v27
	v_mul_f32_e32 v36, v28, v25
	v_fma_f32 v22, v28, v24, -v37
	v_add_f32_e32 v14, v14, v34
	v_add_f32_e32 v16, v16, v23
	s_waitcnt lgkmcnt(0)
	v_mul_f32_e32 v28, v43, v19
	v_fmac_f32_e32 v36, v29, v24
	v_add_f32_e32 v11, v11, v22
	ds_read2_b64 v[22:25], v9 offset0:224 offset1:240
	v_mul_f32_e32 v29, v42, v19
	v_fma_f32 v28, v42, v18, -v28
	v_mul_f32_e32 v34, v43, v21
	v_add_f32_e32 v12, v12, v36
	v_mul_f32_e32 v36, v42, v21
	v_fmac_f32_e32 v29, v43, v18
	v_add_f32_e32 v3, v3, v28
	v_mul_f32_e32 v28, v31, v19
	v_fma_f32 v34, v42, v20, -v34
	v_mul_f32_e32 v19, v30, v19
	v_add_f32_e32 v26, v26, v29
	v_fmac_f32_e32 v36, v43, v20
	v_fma_f32 v28, v30, v18, -v28
	v_add_f32_e32 v29, v35, v34
	v_mul_f32_e32 v34, v31, v21
	v_fmac_f32_e32 v19, v31, v18
	v_mul_f32_e32 v18, v30, v21
	v_add_f32_e32 v14, v14, v28
	v_add_f32_e32 v27, v27, v36
	v_fma_f32 v21, v30, v20, -v34
	s_waitcnt lgkmcnt(0)
	v_mul_f32_e32 v28, v45, v23
	v_mul_f32_e32 v30, v44, v23
	v_add_f32_e32 v16, v16, v19
	v_fmac_f32_e32 v18, v31, v20
	v_add_f32_e32 v11, v11, v21
	v_fma_f32 v19, v44, v22, -v28
	v_fmac_f32_e32 v30, v45, v22
	v_mul_f32_e32 v28, v45, v25
	v_mul_f32_e32 v31, v44, v25
	v_add_f32_e32 v12, v12, v18
	v_add_f32_e32 v20, v3, v19
	;; [unrolled: 1-line block ×3, first 2 shown]
	v_fma_f32 v3, v44, v24, -v28
	v_mul_f32_e32 v19, v33, v23
	v_mul_f32_e32 v23, v32, v23
	;; [unrolled: 1-line block ×4, first 2 shown]
	v_fmac_f32_e32 v31, v45, v24
	v_add_f32_e32 v18, v29, v3
	v_fma_f32 v3, v32, v22, -v19
	v_fmac_f32_e32 v23, v33, v22
	v_fma_f32 v22, v32, v24, -v26
	v_fmac_f32_e32 v25, v33, v24
	v_add_f32_e32 v19, v27, v31
	v_add_f32_e32 v14, v14, v3
	;; [unrolled: 1-line block ×5, first 2 shown]
	s_barrier
	buffer_gl0_inv
	s_cbranch_vccz .LBB114_11
.LBB114_3:                              ; =>This Inner Loop Header: Depth=1
	v_add_co_u32 v22, s9, v13, s22
	v_add_co_ci_u32_e64 v23, null, 0, s23, s9
	v_cmp_le_i64_e32 vcc_lo, s[16:17], v[22:23]
	s_or_b32 s9, s1, vcc_lo
	s_and_saveexec_b32 s24, s9
	s_xor_b32 s9, exec_lo, s24
; %bb.4:                                ;   in Loop: Header=BB114_3 Depth=1
	v_mov_b32_e32 v3, v2
	ds_write_b64 v15, v[2:3]
; %bb.5:                                ;   in Loop: Header=BB114_3 Depth=1
	s_andn2_saveexec_b32 s9, s9
	s_cbranch_execz .LBB114_7
; %bb.6:                                ;   in Loop: Header=BB114_3 Depth=1
	global_load_dwordx2 v[22:23], v[6:7], off
	s_waitcnt vmcnt(0)
	ds_write_b64 v15, v[22:23]
.LBB114_7:                              ;   in Loop: Header=BB114_3 Depth=1
	s_or_b32 exec_lo, exec_lo, s9
	v_add_co_u32 v22, s9, v8, s22
	v_add_co_ci_u32_e64 v23, null, 0, s23, s9
	v_cmp_le_i64_e32 vcc_lo, s[16:17], v[22:23]
	s_or_b32 s9, vcc_lo, s0
	s_and_saveexec_b32 s24, s9
	s_xor_b32 s9, exec_lo, s24
; %bb.8:                                ;   in Loop: Header=BB114_3 Depth=1
	ds_write_b32 v17, v2
; %bb.9:                                ;   in Loop: Header=BB114_3 Depth=1
	s_or_saveexec_b32 s9, s9
	v_mov_b32_e32 v3, 0
	s_xor_b32 exec_lo, exec_lo, s9
	s_cbranch_execz .LBB114_2
; %bb.10:                               ;   in Loop: Header=BB114_3 Depth=1
	global_load_dwordx2 v[22:23], v[4:5], off offset:-4
	s_waitcnt vmcnt(0)
	v_xor_b32_e32 v3, 0x80000000, v23
	ds_write_b32 v17, v22
	s_branch .LBB114_2
.LBB114_11:
	s_clause 0x1
	s_load_dwordx4 s[28:31], s[4:5], 0x78
	s_load_dwordx8 s[20:27], s[4:5], 0x58
	v_add_co_u32 v1, s2, s2, v1
	v_add_co_ci_u32_e64 v2, null, s3, 0, s2
	s_waitcnt lgkmcnt(0)
	s_mul_i32 s1, s31, s8
	s_mul_hi_u32 s4, s30, s8
	s_mul_i32 s0, s30, s8
	s_add_i32 s1, s4, s1
	s_lshl_b64 s[0:1], s[0:1], 3
	s_add_u32 s3, s26, s0
	s_addc_u32 s4, s27, s1
	s_or_b32 s1, s10, s11
	v_cmp_gt_i64_e64 s0, s[14:15], v[1:2]
	s_bitset0_b32 s1, 31
	s_cmp_lg_u32 s1, 0
	s_mov_b32 s1, -1
	s_cbranch_scc1 .LBB114_23
; %bb.12:
	s_and_saveexec_b32 s5, s0
	s_cbranch_execz .LBB114_22
; %bb.13:
	v_mul_lo_u32 v5, v2, s28
	v_mul_lo_u32 v6, v1, s29
	v_mad_u64_u32 v[3:4], null, v1, s28, 0
	v_add3_u32 v4, v4, v6, v5
	v_add_co_u32 v5, s1, s34, v0
	v_add_co_ci_u32_e64 v6, null, s35, 0, s1
	v_lshlrev_b64 v[7:8], 3, v[3:4]
	v_cmp_gt_i64_e32 vcc_lo, s[12:13], v[5:6]
	v_lshlrev_b64 v[3:4], 3, v[5:6]
	v_add_co_u32 v7, s1, s3, v7
	v_add_co_ci_u32_e64 v8, null, s4, v8, s1
	s_and_saveexec_b32 s2, vcc_lo
	s_cbranch_execz .LBB114_15
; %bb.14:
	v_mul_f32_e32 v9, s19, v21
	v_mul_f32_e32 v10, s18, v21
	v_add_co_u32 v22, s1, v7, v3
	v_add_co_ci_u32_e64 v23, null, v8, v4, s1
	v_fma_f32 v9, v20, s18, -v9
	v_fmac_f32_e32 v10, s19, v20
	global_store_dwordx2 v[22:23], v[9:10], off
.LBB114_15:
	s_or_b32 exec_lo, exec_lo, s2
	v_add_co_u32 v5, s1, v5, 16
	v_add_co_ci_u32_e64 v6, null, 0, v6, s1
	v_cmp_gt_i64_e64 s1, s[12:13], v[5:6]
	s_and_saveexec_b32 s6, s1
	s_cbranch_execz .LBB114_17
; %bb.16:
	v_mul_f32_e32 v5, s19, v19
	v_mul_f32_e32 v6, s18, v19
	v_add_co_u32 v9, s2, v7, v3
	v_add_co_ci_u32_e64 v10, null, v8, v4, s2
	v_fma_f32 v5, v18, s18, -v5
	v_fmac_f32_e32 v6, s19, v18
	global_store_dwordx2 v[9:10], v[5:6], off offset:128
.LBB114_17:
	s_or_b32 exec_lo, exec_lo, s6
	v_add_co_u32 v5, s2, v1, 16
	v_add_co_ci_u32_e64 v6, null, 0, v2, s2
	v_cmp_gt_i64_e64 s2, s[14:15], v[5:6]
	s_and_b32 exec_lo, exec_lo, s2
	s_cbranch_execz .LBB114_22
; %bb.18:
	s_lshl_b64 s[6:7], s[28:29], 7
	v_add_co_u32 v5, s2, v7, s6
	v_add_co_ci_u32_e64 v6, null, s7, v8, s2
	v_add_co_u32 v3, s2, v5, v3
	v_add_co_ci_u32_e64 v4, null, v6, v4, s2
	s_and_saveexec_b32 s2, vcc_lo
	s_cbranch_execz .LBB114_20
; %bb.19:
	v_mul_f32_e32 v5, s19, v16
	v_mul_f32_e32 v6, s18, v16
	v_fma_f32 v5, v14, s18, -v5
	v_fmac_f32_e32 v6, s19, v14
	global_store_dwordx2 v[3:4], v[5:6], off
.LBB114_20:
	s_or_b32 exec_lo, exec_lo, s2
	s_and_b32 exec_lo, exec_lo, s1
	s_cbranch_execz .LBB114_22
; %bb.21:
	v_mul_f32_e32 v5, s19, v12
	v_mul_f32_e32 v6, s18, v12
	v_fma_f32 v5, v11, s18, -v5
	v_fmac_f32_e32 v6, s19, v11
	global_store_dwordx2 v[3:4], v[5:6], off offset:128
.LBB114_22:
	s_or_b32 exec_lo, exec_lo, s5
	s_mov_b32 s1, 0
.LBB114_23:
	s_andn2_b32 vcc_lo, exec_lo, s1
	s_cbranch_vccnz .LBB114_34
; %bb.24:
	s_and_saveexec_b32 s1, s0
	s_cbranch_execz .LBB114_34
; %bb.25:
	v_mul_lo_u32 v5, v2, s22
	v_mul_lo_u32 v6, v1, s23
	v_mad_u64_u32 v[3:4], null, v1, s22, 0
	v_mul_lo_u32 v9, v2, s28
	v_mul_lo_u32 v10, v1, s29
	v_mad_u64_u32 v[7:8], null, v1, s28, 0
	s_mul_i32 s0, s25, s8
	s_mul_hi_u32 s1, s24, s8
	v_add3_u32 v4, v4, v6, v5
	s_add_i32 s1, s1, s0
	s_mul_i32 s0, s24, s8
	v_add_co_u32 v5, s2, s34, v0
	v_add3_u32 v8, v8, v10, v9
	v_lshlrev_b64 v[3:4], 3, v[3:4]
	s_lshl_b64 s[0:1], s[0:1], 3
	v_add_co_ci_u32_e64 v6, null, s35, 0, s2
	v_lshlrev_b64 v[8:9], 3, v[7:8]
	s_add_u32 s0, s20, s0
	s_addc_u32 s1, s21, s1
	v_add_co_u32 v0, s0, s0, v3
	v_add_co_ci_u32_e64 v7, null, s1, v4, s0
	v_add_co_u32 v8, s0, s3, v8
	v_cmp_gt_i64_e32 vcc_lo, s[12:13], v[5:6]
	v_lshlrev_b64 v[3:4], 3, v[5:6]
	v_add_co_ci_u32_e64 v9, null, s4, v9, s0
	s_and_saveexec_b32 s1, vcc_lo
	s_cbranch_execz .LBB114_27
; %bb.26:
	v_add_co_u32 v22, s0, v0, v3
	v_add_co_ci_u32_e64 v23, null, v7, v4, s0
	v_mul_f32_e32 v10, s19, v21
	v_mul_f32_e32 v13, s18, v21
	global_load_dwordx2 v[22:23], v[22:23], off
	v_fma_f32 v10, v20, s18, -v10
	v_fmac_f32_e32 v13, s19, v20
	s_waitcnt vmcnt(0)
	v_mul_f32_e32 v15, s11, v23
	v_mul_f32_e32 v17, s10, v23
	v_fma_f32 v15, v22, s10, -v15
	v_fmac_f32_e32 v17, s11, v22
	v_add_co_u32 v22, s0, v8, v3
	v_add_co_ci_u32_e64 v23, null, v9, v4, s0
	v_add_f32_e32 v20, v10, v15
	v_add_f32_e32 v21, v13, v17
	global_store_dwordx2 v[22:23], v[20:21], off
.LBB114_27:
	s_or_b32 exec_lo, exec_lo, s1
	v_add_co_u32 v5, s0, v5, 16
	v_add_co_ci_u32_e64 v6, null, 0, v6, s0
	v_cmp_gt_i64_e64 s0, s[12:13], v[5:6]
	s_and_saveexec_b32 s2, s0
	s_cbranch_execz .LBB114_29
; %bb.28:
	v_add_co_u32 v5, s1, v0, v3
	v_add_co_ci_u32_e64 v6, null, v7, v4, s1
	v_mul_f32_e32 v10, s19, v19
	v_mul_f32_e32 v13, s18, v19
	v_add_co_u32 v17, s1, v8, v3
	global_load_dwordx2 v[5:6], v[5:6], off offset:128
	v_fma_f32 v10, v18, s18, -v10
	v_fmac_f32_e32 v13, s19, v18
	v_add_co_ci_u32_e64 v18, null, v9, v4, s1
	s_waitcnt vmcnt(0)
	v_mul_f32_e32 v15, s11, v6
	v_mul_f32_e32 v6, s10, v6
	v_fma_f32 v15, v5, s10, -v15
	v_fmac_f32_e32 v6, s11, v5
	v_add_f32_e32 v5, v10, v15
	v_add_f32_e32 v6, v13, v6
	global_store_dwordx2 v[17:18], v[5:6], off offset:128
.LBB114_29:
	s_or_b32 exec_lo, exec_lo, s2
	v_add_co_u32 v1, s1, v1, 16
	v_add_co_ci_u32_e64 v2, null, 0, v2, s1
	v_cmp_gt_i64_e64 s1, s[14:15], v[1:2]
	s_and_b32 exec_lo, exec_lo, s1
	s_cbranch_execz .LBB114_34
; %bb.30:
	s_lshl_b64 s[2:3], s[22:23], 7
	v_add_co_u32 v0, s1, v0, s2
	v_add_co_ci_u32_e64 v1, null, s3, v7, s1
	s_lshl_b64 s[2:3], s[28:29], 7
	v_add_co_u32 v2, s1, v8, s2
	v_add_co_ci_u32_e64 v7, null, s3, v9, s1
	v_add_co_u32 v5, s1, v0, v3
	v_add_co_ci_u32_e64 v6, null, v1, v4, s1
	;; [unrolled: 2-line block ×3, first 2 shown]
	s_and_saveexec_b32 s1, vcc_lo
	s_cbranch_execz .LBB114_32
; %bb.31:
	global_load_dwordx2 v[2:3], v[5:6], off
	v_mul_f32_e32 v4, s19, v16
	v_mul_f32_e32 v7, s18, v16
	v_fma_f32 v4, v14, s18, -v4
	v_fmac_f32_e32 v7, s19, v14
	s_waitcnt vmcnt(0)
	v_mul_f32_e32 v8, s11, v3
	v_mul_f32_e32 v3, s10, v3
	v_fma_f32 v8, v2, s10, -v8
	v_fmac_f32_e32 v3, s11, v2
	v_add_f32_e32 v2, v4, v8
	v_add_f32_e32 v3, v7, v3
	global_store_dwordx2 v[0:1], v[2:3], off
.LBB114_32:
	s_or_b32 exec_lo, exec_lo, s1
	s_and_b32 exec_lo, exec_lo, s0
	s_cbranch_execz .LBB114_34
; %bb.33:
	global_load_dwordx2 v[2:3], v[5:6], off offset:128
	v_mul_f32_e32 v4, s19, v12
	v_mul_f32_e32 v5, s18, v12
	v_fma_f32 v4, v11, s18, -v4
	v_fmac_f32_e32 v5, s19, v11
	s_waitcnt vmcnt(0)
	v_mul_f32_e32 v6, s11, v3
	v_mul_f32_e32 v3, s10, v3
	v_fma_f32 v6, v2, s10, -v6
	v_fmac_f32_e32 v3, s11, v2
	v_add_f32_e32 v2, v4, v6
	v_add_f32_e32 v3, v5, v3
	global_store_dwordx2 v[0:1], v[2:3], off offset:128
.LBB114_34:
	s_endpgm
	.section	.rodata,"a",@progbits
	.p2align	6, 0x0
	.amdhsa_kernel _ZN12_GLOBAL__N_135rocblas_gemm_batched_general_kernelI19rocblas_complex_numIfELi16ELi16ELi32ELi32ELi8ELi32ELi8ELi8ELi32ELc78ELc67EKS2_S3_S2_EEvlllT_PT11_llS6_llS4_PT12_llPT13_lli
		.amdhsa_group_segment_fixed_size 4096
		.amdhsa_private_segment_fixed_size 0
		.amdhsa_kernarg_size 140
		.amdhsa_user_sgpr_count 6
		.amdhsa_user_sgpr_private_segment_buffer 1
		.amdhsa_user_sgpr_dispatch_ptr 0
		.amdhsa_user_sgpr_queue_ptr 0
		.amdhsa_user_sgpr_kernarg_segment_ptr 1
		.amdhsa_user_sgpr_dispatch_id 0
		.amdhsa_user_sgpr_flat_scratch_init 0
		.amdhsa_user_sgpr_private_segment_size 0
		.amdhsa_wavefront_size32 1
		.amdhsa_uses_dynamic_stack 0
		.amdhsa_system_sgpr_private_segment_wavefront_offset 0
		.amdhsa_system_sgpr_workgroup_id_x 1
		.amdhsa_system_sgpr_workgroup_id_y 1
		.amdhsa_system_sgpr_workgroup_id_z 1
		.amdhsa_system_sgpr_workgroup_info 0
		.amdhsa_system_vgpr_workitem_id 1
		.amdhsa_next_free_vgpr 59
		.amdhsa_next_free_sgpr 38
		.amdhsa_reserve_vcc 1
		.amdhsa_reserve_flat_scratch 0
		.amdhsa_float_round_mode_32 0
		.amdhsa_float_round_mode_16_64 0
		.amdhsa_float_denorm_mode_32 3
		.amdhsa_float_denorm_mode_16_64 3
		.amdhsa_dx10_clamp 1
		.amdhsa_ieee_mode 1
		.amdhsa_fp16_overflow 0
		.amdhsa_workgroup_processor_mode 1
		.amdhsa_memory_ordered 1
		.amdhsa_forward_progress 1
		.amdhsa_shared_vgpr_count 0
		.amdhsa_exception_fp_ieee_invalid_op 0
		.amdhsa_exception_fp_denorm_src 0
		.amdhsa_exception_fp_ieee_div_zero 0
		.amdhsa_exception_fp_ieee_overflow 0
		.amdhsa_exception_fp_ieee_underflow 0
		.amdhsa_exception_fp_ieee_inexact 0
		.amdhsa_exception_int_div_zero 0
	.end_amdhsa_kernel
	.section	.text._ZN12_GLOBAL__N_135rocblas_gemm_batched_general_kernelI19rocblas_complex_numIfELi16ELi16ELi32ELi32ELi8ELi32ELi8ELi8ELi32ELc78ELc67EKS2_S3_S2_EEvlllT_PT11_llS6_llS4_PT12_llPT13_lli,"axG",@progbits,_ZN12_GLOBAL__N_135rocblas_gemm_batched_general_kernelI19rocblas_complex_numIfELi16ELi16ELi32ELi32ELi8ELi32ELi8ELi8ELi32ELc78ELc67EKS2_S3_S2_EEvlllT_PT11_llS6_llS4_PT12_llPT13_lli,comdat
.Lfunc_end114:
	.size	_ZN12_GLOBAL__N_135rocblas_gemm_batched_general_kernelI19rocblas_complex_numIfELi16ELi16ELi32ELi32ELi8ELi32ELi8ELi8ELi32ELc78ELc67EKS2_S3_S2_EEvlllT_PT11_llS6_llS4_PT12_llPT13_lli, .Lfunc_end114-_ZN12_GLOBAL__N_135rocblas_gemm_batched_general_kernelI19rocblas_complex_numIfELi16ELi16ELi32ELi32ELi8ELi32ELi8ELi8ELi32ELc78ELc67EKS2_S3_S2_EEvlllT_PT11_llS6_llS4_PT12_llPT13_lli
                                        ; -- End function
	.set _ZN12_GLOBAL__N_135rocblas_gemm_batched_general_kernelI19rocblas_complex_numIfELi16ELi16ELi32ELi32ELi8ELi32ELi8ELi8ELi32ELc78ELc67EKS2_S3_S2_EEvlllT_PT11_llS6_llS4_PT12_llPT13_lli.num_vgpr, 59
	.set _ZN12_GLOBAL__N_135rocblas_gemm_batched_general_kernelI19rocblas_complex_numIfELi16ELi16ELi32ELi32ELi8ELi32ELi8ELi8ELi32ELc78ELc67EKS2_S3_S2_EEvlllT_PT11_llS6_llS4_PT12_llPT13_lli.num_agpr, 0
	.set _ZN12_GLOBAL__N_135rocblas_gemm_batched_general_kernelI19rocblas_complex_numIfELi16ELi16ELi32ELi32ELi8ELi32ELi8ELi8ELi32ELc78ELc67EKS2_S3_S2_EEvlllT_PT11_llS6_llS4_PT12_llPT13_lli.numbered_sgpr, 38
	.set _ZN12_GLOBAL__N_135rocblas_gemm_batched_general_kernelI19rocblas_complex_numIfELi16ELi16ELi32ELi32ELi8ELi32ELi8ELi8ELi32ELc78ELc67EKS2_S3_S2_EEvlllT_PT11_llS6_llS4_PT12_llPT13_lli.num_named_barrier, 0
	.set _ZN12_GLOBAL__N_135rocblas_gemm_batched_general_kernelI19rocblas_complex_numIfELi16ELi16ELi32ELi32ELi8ELi32ELi8ELi8ELi32ELc78ELc67EKS2_S3_S2_EEvlllT_PT11_llS6_llS4_PT12_llPT13_lli.private_seg_size, 0
	.set _ZN12_GLOBAL__N_135rocblas_gemm_batched_general_kernelI19rocblas_complex_numIfELi16ELi16ELi32ELi32ELi8ELi32ELi8ELi8ELi32ELc78ELc67EKS2_S3_S2_EEvlllT_PT11_llS6_llS4_PT12_llPT13_lli.uses_vcc, 1
	.set _ZN12_GLOBAL__N_135rocblas_gemm_batched_general_kernelI19rocblas_complex_numIfELi16ELi16ELi32ELi32ELi8ELi32ELi8ELi8ELi32ELc78ELc67EKS2_S3_S2_EEvlllT_PT11_llS6_llS4_PT12_llPT13_lli.uses_flat_scratch, 0
	.set _ZN12_GLOBAL__N_135rocblas_gemm_batched_general_kernelI19rocblas_complex_numIfELi16ELi16ELi32ELi32ELi8ELi32ELi8ELi8ELi32ELc78ELc67EKS2_S3_S2_EEvlllT_PT11_llS6_llS4_PT12_llPT13_lli.has_dyn_sized_stack, 0
	.set _ZN12_GLOBAL__N_135rocblas_gemm_batched_general_kernelI19rocblas_complex_numIfELi16ELi16ELi32ELi32ELi8ELi32ELi8ELi8ELi32ELc78ELc67EKS2_S3_S2_EEvlllT_PT11_llS6_llS4_PT12_llPT13_lli.has_recursion, 0
	.set _ZN12_GLOBAL__N_135rocblas_gemm_batched_general_kernelI19rocblas_complex_numIfELi16ELi16ELi32ELi32ELi8ELi32ELi8ELi8ELi32ELc78ELc67EKS2_S3_S2_EEvlllT_PT11_llS6_llS4_PT12_llPT13_lli.has_indirect_call, 0
	.section	.AMDGPU.csdata,"",@progbits
; Kernel info:
; codeLenInByte = 3012
; TotalNumSgprs: 40
; NumVgprs: 59
; ScratchSize: 0
; MemoryBound: 1
; FloatMode: 240
; IeeeMode: 1
; LDSByteSize: 4096 bytes/workgroup (compile time only)
; SGPRBlocks: 0
; VGPRBlocks: 7
; NumSGPRsForWavesPerEU: 40
; NumVGPRsForWavesPerEU: 59
; Occupancy: 16
; WaveLimiterHint : 1
; COMPUTE_PGM_RSRC2:SCRATCH_EN: 0
; COMPUTE_PGM_RSRC2:USER_SGPR: 6
; COMPUTE_PGM_RSRC2:TRAP_HANDLER: 0
; COMPUTE_PGM_RSRC2:TGID_X_EN: 1
; COMPUTE_PGM_RSRC2:TGID_Y_EN: 1
; COMPUTE_PGM_RSRC2:TGID_Z_EN: 1
; COMPUTE_PGM_RSRC2:TIDIG_COMP_CNT: 1
	.section	.text._ZN12_GLOBAL__N_135rocblas_gemm_batched_general_kernelI19rocblas_complex_numIfELi16ELi16ELi32ELi32ELi8ELi32ELi8ELi8ELi32ELc84ELc67EKS2_S3_S2_EEvlllT_PT11_llS6_llS4_PT12_llPT13_lli,"axG",@progbits,_ZN12_GLOBAL__N_135rocblas_gemm_batched_general_kernelI19rocblas_complex_numIfELi16ELi16ELi32ELi32ELi8ELi32ELi8ELi8ELi32ELc84ELc67EKS2_S3_S2_EEvlllT_PT11_llS6_llS4_PT12_llPT13_lli,comdat
	.globl	_ZN12_GLOBAL__N_135rocblas_gemm_batched_general_kernelI19rocblas_complex_numIfELi16ELi16ELi32ELi32ELi8ELi32ELi8ELi8ELi32ELc84ELc67EKS2_S3_S2_EEvlllT_PT11_llS6_llS4_PT12_llPT13_lli ; -- Begin function _ZN12_GLOBAL__N_135rocblas_gemm_batched_general_kernelI19rocblas_complex_numIfELi16ELi16ELi32ELi32ELi8ELi32ELi8ELi8ELi32ELc84ELc67EKS2_S3_S2_EEvlllT_PT11_llS6_llS4_PT12_llPT13_lli
	.p2align	8
	.type	_ZN12_GLOBAL__N_135rocblas_gemm_batched_general_kernelI19rocblas_complex_numIfELi16ELi16ELi32ELi32ELi8ELi32ELi8ELi8ELi32ELc84ELc67EKS2_S3_S2_EEvlllT_PT11_llS6_llS4_PT12_llPT13_lli,@function
_ZN12_GLOBAL__N_135rocblas_gemm_batched_general_kernelI19rocblas_complex_numIfELi16ELi16ELi32ELi32ELi8ELi32ELi8ELi8ELi32ELc84ELc67EKS2_S3_S2_EEvlllT_PT11_llS6_llS4_PT12_llPT13_lli: ; @_ZN12_GLOBAL__N_135rocblas_gemm_batched_general_kernelI19rocblas_complex_numIfELi16ELi16ELi32ELi32ELi8ELi32ELi8ELi8ELi32ELc84ELc67EKS2_S3_S2_EEvlllT_PT11_llS6_llS4_PT12_llPT13_lli
; %bb.0:
	s_clause 0x1
	s_load_dwordx16 s[12:27], s[4:5], 0x0
	s_load_dwordx2 s[10:11], s[4:5], 0x50
	s_mov_b32 s0, s7
	v_mov_b32_e32 v20, 0
	v_mov_b32_e32 v21, 0
	;; [unrolled: 1-line block ×8, first 2 shown]
	s_ashr_i32 s7, s6, 31
	s_ashr_i32 s1, s0, 31
	s_lshl_b64 s[6:7], s[6:7], 5
	s_waitcnt lgkmcnt(0)
	v_cmp_lt_i64_e64 s2, s[16:17], 1
	s_and_b32 vcc_lo, exec_lo, s2
	s_lshl_b64 s[2:3], s[0:1], 5
	s_cbranch_vccnz .LBB115_11
; %bb.1:
	s_load_dwordx4 s[28:31], s[4:5], 0x40
	v_lshl_add_u32 v3, v1, 4, v0
	v_and_b32_e32 v8, 7, v0
	v_mov_b32_e32 v4, s7
	s_lshl_b64 s[34:35], s[0:1], 8
	s_mul_i32 s9, s25, s8
	v_lshrrev_b32_e32 v7, 3, v3
	v_and_b32_e32 v14, 31, v3
	v_lshlrev_b32_e32 v15, 3, v8
	v_lshrrev_b32_e32 v13, 5, v3
	v_and_b32_e32 v18, 0x1ff8, v3
	v_add_co_u32 v11, s0, v7, s2
	v_or_b32_e32 v3, s6, v14
	v_lshl_or_b32 v7, v7, 6, v15
	v_add_co_ci_u32_e64 v12, null, 0, s3, s0
	v_lshlrev_b32_e32 v16, 3, v14
	v_cmp_gt_i64_e32 vcc_lo, s[12:13], v[3:4]
	v_add_co_u32 v14, s0, s6, v14
	s_waitcnt lgkmcnt(0)
	v_mad_u64_u32 v[5:6], null, s28, v8, 0
	v_add_co_ci_u32_e64 v15, null, s7, 0, s0
	v_add_nc_u32_e32 v17, 0x800, v7
	s_mul_i32 s1, s31, s8
	v_cmp_gt_i64_e64 s0, s[14:15], v[11:12]
	v_mul_lo_u32 v15, s22, v15
	v_mad_u64_u32 v[3:4], null, s29, v8, v[6:7]
	v_mul_lo_u32 v7, s23, v14
	s_mul_hi_u32 s23, s30, s8
	v_mad_u64_u32 v[11:12], null, s22, v14, 0
	s_mul_i32 s22, s30, s8
	s_add_i32 s23, s23, s1
	v_mov_b32_e32 v6, v3
	s_lshl_b64 s[22:23], s[22:23], 3
	s_mul_hi_u32 s25, s24, s8
	s_add_u32 s1, s34, s22
	s_addc_u32 s22, s35, s23
	v_lshlrev_b64 v[3:4], 3, v[5:6]
	v_add3_u32 v12, v12, v15, v7
	s_mul_i32 s24, s24, s8
	s_add_i32 s25, s25, s9
	v_mov_b32_e32 v2, 0
	v_lshlrev_b32_e32 v9, 3, v0
	v_add_co_u32 v3, s1, s1, v3
	v_add_co_ci_u32_e64 v4, null, s22, v4, s1
	s_lshl_b64 s[22:23], s[24:25], 3
	v_add_co_u32 v5, s1, v3, v18
	v_add_co_ci_u32_e64 v6, null, 0, v4, s1
	v_lshlrev_b64 v[3:4], 3, v[11:12]
	v_add_co_u32 v5, s1, s26, v5
	v_add_co_ci_u32_e64 v6, null, s27, v6, s1
	v_lshlrev_b32_e32 v11, 3, v13
	v_add_co_u32 v3, s1, v3, s22
	v_add_co_ci_u32_e64 v7, null, s23, v4, s1
	v_add_co_u32 v4, s1, v5, 4
	v_add_co_ci_u32_e64 v5, null, 0, v6, s1
	;; [unrolled: 2-line block ×3, first 2 shown]
	v_lshl_add_u32 v10, v1, 6, 0x800
	v_add_co_u32 v6, s1, s20, v3
	v_lshl_or_b32 v16, v13, 8, v16
	v_add_co_ci_u32_e64 v7, null, s21, v7, s1
	v_mov_b32_e32 v12, 0
	v_mov_b32_e32 v11, 0
	;; [unrolled: 1-line block ×8, first 2 shown]
	s_lshl_b64 s[22:23], s[28:29], 6
	s_mov_b64 s[20:21], 0
	s_xor_b32 s1, vcc_lo, -1
	s_xor_b32 s0, s0, -1
	s_branch .LBB115_3
.LBB115_2:                              ;   in Loop: Header=BB115_3 Depth=1
	s_or_b32 exec_lo, exec_lo, s9
	ds_write_b32 v17, v3 offset:4
	s_waitcnt lgkmcnt(0)
	s_barrier
	buffer_gl0_inv
	ds_read_b128 v[22:25], v10
	ds_read2_b64 v[26:29], v9 offset1:16
	ds_read_b128 v[30:33], v10 offset:1024
	ds_read_b128 v[34:37], v10 offset:16
	;; [unrolled: 1-line block ×4, first 2 shown]
	ds_read2_b64 v[46:49], v9 offset0:32 offset1:48
	ds_read_b128 v[50:53], v10 offset:1040
	s_add_u32 s20, s20, 8
	s_addc_u32 s21, s21, 0
	v_add_co_u32 v4, vcc_lo, v4, s22
	v_cmp_lt_i64_e64 s9, s[20:21], s[16:17]
	v_add_co_ci_u32_e64 v5, null, s23, v5, vcc_lo
	v_add_co_u32 v6, vcc_lo, v6, 64
	v_add_co_ci_u32_e64 v7, null, 0, v7, vcc_lo
	s_and_b32 vcc_lo, exec_lo, s9
	s_waitcnt lgkmcnt(6)
	v_mul_f32_e32 v3, v23, v27
	v_mul_f32_e32 v54, v22, v27
	;; [unrolled: 1-line block ×4, first 2 shown]
	s_waitcnt lgkmcnt(5)
	v_mul_f32_e32 v57, v31, v27
	v_mul_f32_e32 v27, v30, v27
	;; [unrolled: 1-line block ×3, first 2 shown]
	v_fma_f32 v3, v22, v26, -v3
	v_fmac_f32_e32 v54, v23, v26
	v_fma_f32 v22, v22, v28, -v55
	v_fmac_f32_e32 v56, v23, v28
	v_fma_f32 v23, v30, v26, -v57
	v_mul_f32_e32 v29, v30, v29
	v_fmac_f32_e32 v27, v31, v26
	v_fma_f32 v26, v30, v28, -v58
	v_add_f32_e32 v3, v20, v3
	v_add_f32_e32 v30, v21, v54
	;; [unrolled: 1-line block ×5, first 2 shown]
	s_waitcnt lgkmcnt(1)
	v_mul_f32_e32 v23, v25, v47
	ds_read2_b64 v[18:21], v9 offset0:64 offset1:80
	v_add_f32_e32 v15, v15, v27
	v_mul_f32_e32 v27, v25, v49
	v_fmac_f32_e32 v29, v31, v28
	v_fma_f32 v23, v24, v46, -v23
	v_add_f32_e32 v11, v11, v26
	v_mul_f32_e32 v26, v24, v47
	v_mul_f32_e32 v28, v24, v49
	v_add_f32_e32 v12, v12, v29
	v_add_f32_e32 v3, v3, v23
	v_fma_f32 v23, v24, v48, -v27
	v_mul_f32_e32 v24, v33, v47
	v_fmac_f32_e32 v26, v25, v46
	v_fmac_f32_e32 v28, v25, v48
	v_mul_f32_e32 v25, v32, v47
	v_add_f32_e32 v27, v22, v23
	v_fma_f32 v22, v32, v46, -v24
	v_mul_f32_e32 v23, v33, v49
	v_add_f32_e32 v26, v30, v26
	v_fmac_f32_e32 v25, v33, v46
	v_mul_f32_e32 v29, v32, v49
	v_add_f32_e32 v14, v14, v22
	v_fma_f32 v22, v32, v48, -v23
	s_waitcnt lgkmcnt(0)
	v_mul_f32_e32 v23, v35, v19
	v_mul_f32_e32 v30, v34, v19
	v_mul_f32_e32 v32, v35, v21
	v_add_f32_e32 v15, v15, v25
	v_add_f32_e32 v11, v11, v22
	v_fma_f32 v31, v34, v18, -v23
	ds_read2_b64 v[22:25], v9 offset0:96 offset1:112
	v_fmac_f32_e32 v30, v35, v18
	v_fmac_f32_e32 v29, v33, v48
	v_add_f32_e32 v28, v54, v28
	v_add_f32_e32 v3, v3, v31
	v_fma_f32 v31, v34, v20, -v32
	v_add_f32_e32 v26, v26, v30
	v_mul_f32_e32 v30, v51, v19
	v_mul_f32_e32 v19, v50, v19
	v_add_f32_e32 v12, v12, v29
	v_add_f32_e32 v27, v27, v31
	v_mul_f32_e32 v31, v51, v21
	v_mul_f32_e32 v29, v34, v21
	v_fma_f32 v30, v50, v18, -v30
	v_fmac_f32_e32 v19, v51, v18
	v_mul_f32_e32 v32, v50, v21
	v_fma_f32 v18, v50, v20, -v31
	v_fmac_f32_e32 v29, v35, v20
	v_add_f32_e32 v14, v14, v30
	v_add_f32_e32 v15, v15, v19
	v_fmac_f32_e32 v32, v51, v20
	v_add_f32_e32 v11, v11, v18
	ds_read2_b64 v[18:21], v9 offset0:128 offset1:144
	v_add_f32_e32 v33, v28, v29
	s_waitcnt lgkmcnt(1)
	v_mul_f32_e32 v28, v37, v23
	v_mul_f32_e32 v29, v36, v23
	;; [unrolled: 1-line block ×4, first 2 shown]
	v_add_f32_e32 v12, v12, v32
	v_fma_f32 v28, v36, v22, -v28
	v_fmac_f32_e32 v29, v37, v22
	v_fma_f32 v30, v36, v24, -v30
	v_fmac_f32_e32 v31, v37, v24
	v_mul_f32_e32 v32, v53, v25
	v_add_f32_e32 v3, v3, v28
	v_mul_f32_e32 v28, v53, v23
	v_mul_f32_e32 v23, v52, v23
	v_add_f32_e32 v34, v26, v29
	v_add_f32_e32 v35, v27, v30
	;; [unrolled: 1-line block ×3, first 2 shown]
	v_fma_f32 v30, v52, v22, -v28
	ds_read_b128 v[26:29], v10 offset:1056
	v_fmac_f32_e32 v23, v53, v22
	v_mul_f32_e32 v31, v52, v25
	v_fma_f32 v22, v52, v24, -v32
	s_waitcnt lgkmcnt(1)
	v_mul_f32_e32 v25, v39, v19
	v_add_f32_e32 v14, v14, v30
	v_add_f32_e32 v15, v15, v23
	v_fmac_f32_e32 v31, v53, v24
	v_add_f32_e32 v11, v11, v22
	v_fma_f32 v30, v38, v18, -v25
	ds_read2_b64 v[22:25], v9 offset0:160 offset1:176
	v_mul_f32_e32 v32, v39, v21
	v_mul_f32_e32 v37, v38, v19
	;; [unrolled: 1-line block ×3, first 2 shown]
	v_add_f32_e32 v12, v12, v31
	v_add_f32_e32 v3, v3, v30
	v_fma_f32 v38, v38, v20, -v32
	v_fmac_f32_e32 v37, v39, v18
	ds_read_b128 v[30:33], v10 offset:1072
	v_fmac_f32_e32 v46, v39, v20
	s_waitcnt lgkmcnt(2)
	v_mul_f32_e32 v47, v27, v19
	v_mul_f32_e32 v19, v26, v19
	v_add_f32_e32 v35, v35, v38
	v_mul_f32_e32 v38, v27, v21
	v_add_f32_e32 v34, v34, v37
	v_fma_f32 v37, v26, v18, -v47
	v_fmac_f32_e32 v19, v27, v18
	v_mul_f32_e32 v39, v26, v21
	v_fma_f32 v18, v26, v20, -v38
	v_add_f32_e32 v36, v36, v46
	s_waitcnt lgkmcnt(1)
	v_mul_f32_e32 v21, v41, v23
	v_add_f32_e32 v14, v14, v37
	v_add_f32_e32 v15, v15, v19
	v_fmac_f32_e32 v39, v27, v20
	v_mul_f32_e32 v26, v40, v23
	v_add_f32_e32 v11, v11, v18
	v_fma_f32 v27, v40, v22, -v21
	ds_read2_b64 v[18:21], v9 offset0:192 offset1:208
	v_mul_f32_e32 v37, v41, v25
	v_fmac_f32_e32 v26, v41, v22
	v_add_f32_e32 v12, v12, v39
	v_add_f32_e32 v3, v3, v27
	v_mul_f32_e32 v27, v40, v25
	v_fma_f32 v37, v40, v24, -v37
	v_add_f32_e32 v26, v34, v26
	v_mul_f32_e32 v34, v29, v23
	v_mul_f32_e32 v23, v28, v23
	v_fmac_f32_e32 v27, v41, v24
	v_add_f32_e32 v35, v35, v37
	v_mul_f32_e32 v37, v29, v25
	v_fma_f32 v34, v28, v22, -v34
	v_fmac_f32_e32 v23, v29, v22
	v_add_f32_e32 v27, v36, v27
	v_mul_f32_e32 v36, v28, v25
	v_fma_f32 v22, v28, v24, -v37
	v_add_f32_e32 v14, v14, v34
	v_add_f32_e32 v15, v15, v23
	s_waitcnt lgkmcnt(0)
	v_mul_f32_e32 v28, v43, v19
	v_fmac_f32_e32 v36, v29, v24
	v_add_f32_e32 v11, v11, v22
	ds_read2_b64 v[22:25], v9 offset0:224 offset1:240
	v_mul_f32_e32 v29, v42, v19
	v_fma_f32 v28, v42, v18, -v28
	v_mul_f32_e32 v34, v43, v21
	v_add_f32_e32 v12, v12, v36
	v_mul_f32_e32 v36, v42, v21
	v_fmac_f32_e32 v29, v43, v18
	v_add_f32_e32 v3, v3, v28
	v_mul_f32_e32 v28, v31, v19
	v_fma_f32 v34, v42, v20, -v34
	v_mul_f32_e32 v19, v30, v19
	v_add_f32_e32 v26, v26, v29
	v_fmac_f32_e32 v36, v43, v20
	v_fma_f32 v28, v30, v18, -v28
	v_add_f32_e32 v29, v35, v34
	v_mul_f32_e32 v34, v31, v21
	v_fmac_f32_e32 v19, v31, v18
	v_mul_f32_e32 v18, v30, v21
	v_add_f32_e32 v14, v14, v28
	v_add_f32_e32 v27, v27, v36
	v_fma_f32 v21, v30, v20, -v34
	s_waitcnt lgkmcnt(0)
	v_mul_f32_e32 v28, v45, v23
	v_mul_f32_e32 v30, v44, v23
	v_add_f32_e32 v15, v15, v19
	v_fmac_f32_e32 v18, v31, v20
	v_add_f32_e32 v11, v11, v21
	v_fma_f32 v19, v44, v22, -v28
	v_fmac_f32_e32 v30, v45, v22
	v_mul_f32_e32 v28, v45, v25
	v_mul_f32_e32 v31, v44, v25
	v_add_f32_e32 v12, v12, v18
	v_add_f32_e32 v20, v3, v19
	;; [unrolled: 1-line block ×3, first 2 shown]
	v_fma_f32 v3, v44, v24, -v28
	v_mul_f32_e32 v19, v33, v23
	v_mul_f32_e32 v23, v32, v23
	;; [unrolled: 1-line block ×4, first 2 shown]
	v_fmac_f32_e32 v31, v45, v24
	v_add_f32_e32 v18, v29, v3
	v_fma_f32 v3, v32, v22, -v19
	v_fmac_f32_e32 v23, v33, v22
	v_fma_f32 v22, v32, v24, -v26
	v_fmac_f32_e32 v25, v33, v24
	v_add_f32_e32 v19, v27, v31
	v_add_f32_e32 v14, v14, v3
	;; [unrolled: 1-line block ×5, first 2 shown]
	s_barrier
	buffer_gl0_inv
	s_cbranch_vccz .LBB115_11
.LBB115_3:                              ; =>This Inner Loop Header: Depth=1
	v_add_co_u32 v22, s9, v13, s20
	v_add_co_ci_u32_e64 v23, null, 0, s21, s9
	v_cmp_le_i64_e32 vcc_lo, s[16:17], v[22:23]
	s_or_b32 s9, s1, vcc_lo
	s_and_saveexec_b32 s24, s9
	s_xor_b32 s9, exec_lo, s24
; %bb.4:                                ;   in Loop: Header=BB115_3 Depth=1
	v_mov_b32_e32 v3, v2
	ds_write_b64 v16, v[2:3]
; %bb.5:                                ;   in Loop: Header=BB115_3 Depth=1
	s_andn2_saveexec_b32 s9, s9
	s_cbranch_execz .LBB115_7
; %bb.6:                                ;   in Loop: Header=BB115_3 Depth=1
	global_load_dwordx2 v[22:23], v[6:7], off
	s_waitcnt vmcnt(0)
	ds_write_b64 v16, v[22:23]
.LBB115_7:                              ;   in Loop: Header=BB115_3 Depth=1
	s_or_b32 exec_lo, exec_lo, s9
	v_add_co_u32 v22, s9, v8, s20
	v_add_co_ci_u32_e64 v23, null, 0, s21, s9
	v_cmp_le_i64_e32 vcc_lo, s[16:17], v[22:23]
	s_or_b32 s9, vcc_lo, s0
	s_and_saveexec_b32 s24, s9
	s_xor_b32 s9, exec_lo, s24
; %bb.8:                                ;   in Loop: Header=BB115_3 Depth=1
	ds_write_b32 v17, v2
; %bb.9:                                ;   in Loop: Header=BB115_3 Depth=1
	s_or_saveexec_b32 s9, s9
	v_mov_b32_e32 v3, 0
	s_xor_b32 exec_lo, exec_lo, s9
	s_cbranch_execz .LBB115_2
; %bb.10:                               ;   in Loop: Header=BB115_3 Depth=1
	global_load_dwordx2 v[22:23], v[4:5], off offset:-4
	s_waitcnt vmcnt(0)
	v_xor_b32_e32 v3, 0x80000000, v23
	ds_write_b32 v17, v22
	s_branch .LBB115_2
.LBB115_11:
	s_clause 0x1
	s_load_dwordx4 s[28:31], s[4:5], 0x78
	s_load_dwordx8 s[20:27], s[4:5], 0x58
	v_add_co_u32 v1, s2, s2, v1
	v_add_co_ci_u32_e64 v2, null, s3, 0, s2
	s_waitcnt lgkmcnt(0)
	s_mul_i32 s1, s31, s8
	s_mul_hi_u32 s4, s30, s8
	s_mul_i32 s0, s30, s8
	s_add_i32 s1, s4, s1
	s_lshl_b64 s[0:1], s[0:1], 3
	s_add_u32 s3, s26, s0
	s_addc_u32 s4, s27, s1
	s_or_b32 s1, s10, s11
	v_cmp_gt_i64_e64 s0, s[14:15], v[1:2]
	s_bitset0_b32 s1, 31
	s_cmp_lg_u32 s1, 0
	s_mov_b32 s1, -1
	s_cbranch_scc1 .LBB115_23
; %bb.12:
	s_and_saveexec_b32 s5, s0
	s_cbranch_execz .LBB115_22
; %bb.13:
	v_mul_lo_u32 v5, v2, s28
	v_mul_lo_u32 v6, v1, s29
	v_mad_u64_u32 v[3:4], null, v1, s28, 0
	v_add3_u32 v4, v4, v6, v5
	v_add_co_u32 v5, s1, s6, v0
	v_add_co_ci_u32_e64 v6, null, s7, 0, s1
	v_lshlrev_b64 v[7:8], 3, v[3:4]
	v_cmp_gt_i64_e32 vcc_lo, s[12:13], v[5:6]
	v_lshlrev_b64 v[3:4], 3, v[5:6]
	v_add_co_u32 v7, s1, s3, v7
	v_add_co_ci_u32_e64 v8, null, s4, v8, s1
	s_and_saveexec_b32 s2, vcc_lo
	s_cbranch_execz .LBB115_15
; %bb.14:
	v_mul_f32_e32 v9, s19, v21
	v_mul_f32_e32 v10, s18, v21
	v_add_co_u32 v16, s1, v7, v3
	v_add_co_ci_u32_e64 v17, null, v8, v4, s1
	v_fma_f32 v9, v20, s18, -v9
	v_fmac_f32_e32 v10, s19, v20
	global_store_dwordx2 v[16:17], v[9:10], off
.LBB115_15:
	s_or_b32 exec_lo, exec_lo, s2
	v_add_co_u32 v5, s1, v5, 16
	v_add_co_ci_u32_e64 v6, null, 0, v6, s1
	v_cmp_gt_i64_e64 s1, s[12:13], v[5:6]
	s_and_saveexec_b32 s9, s1
	s_cbranch_execz .LBB115_17
; %bb.16:
	v_mul_f32_e32 v5, s19, v19
	v_mul_f32_e32 v6, s18, v19
	v_add_co_u32 v9, s2, v7, v3
	v_add_co_ci_u32_e64 v10, null, v8, v4, s2
	v_fma_f32 v5, v18, s18, -v5
	v_fmac_f32_e32 v6, s19, v18
	global_store_dwordx2 v[9:10], v[5:6], off offset:128
.LBB115_17:
	s_or_b32 exec_lo, exec_lo, s9
	v_add_co_u32 v5, s2, v1, 16
	v_add_co_ci_u32_e64 v6, null, 0, v2, s2
	v_cmp_gt_i64_e64 s2, s[14:15], v[5:6]
	s_and_b32 exec_lo, exec_lo, s2
	s_cbranch_execz .LBB115_22
; %bb.18:
	s_lshl_b64 s[16:17], s[28:29], 7
	v_add_co_u32 v5, s2, v7, s16
	v_add_co_ci_u32_e64 v6, null, s17, v8, s2
	v_add_co_u32 v3, s2, v5, v3
	v_add_co_ci_u32_e64 v4, null, v6, v4, s2
	s_and_saveexec_b32 s2, vcc_lo
	s_cbranch_execz .LBB115_20
; %bb.19:
	v_mul_f32_e32 v5, s19, v15
	v_mul_f32_e32 v6, s18, v15
	v_fma_f32 v5, v14, s18, -v5
	v_fmac_f32_e32 v6, s19, v14
	global_store_dwordx2 v[3:4], v[5:6], off
.LBB115_20:
	s_or_b32 exec_lo, exec_lo, s2
	s_and_b32 exec_lo, exec_lo, s1
	s_cbranch_execz .LBB115_22
; %bb.21:
	v_mul_f32_e32 v5, s19, v12
	v_mul_f32_e32 v6, s18, v12
	v_fma_f32 v5, v11, s18, -v5
	v_fmac_f32_e32 v6, s19, v11
	global_store_dwordx2 v[3:4], v[5:6], off offset:128
.LBB115_22:
	s_or_b32 exec_lo, exec_lo, s5
	s_mov_b32 s1, 0
.LBB115_23:
	s_andn2_b32 vcc_lo, exec_lo, s1
	s_cbranch_vccnz .LBB115_34
; %bb.24:
	s_and_saveexec_b32 s1, s0
	s_cbranch_execz .LBB115_34
; %bb.25:
	v_mul_lo_u32 v5, v2, s22
	v_mul_lo_u32 v6, v1, s23
	v_mad_u64_u32 v[3:4], null, v1, s22, 0
	v_mul_lo_u32 v9, v2, s28
	v_mul_lo_u32 v10, v1, s29
	v_mad_u64_u32 v[7:8], null, v1, s28, 0
	s_mul_i32 s0, s25, s8
	s_mul_hi_u32 s1, s24, s8
	v_add3_u32 v4, v4, v6, v5
	s_add_i32 s1, s1, s0
	s_mul_i32 s0, s24, s8
	v_add_co_u32 v5, s2, s6, v0
	v_add3_u32 v8, v8, v10, v9
	v_lshlrev_b64 v[3:4], 3, v[3:4]
	s_lshl_b64 s[0:1], s[0:1], 3
	v_add_co_ci_u32_e64 v6, null, s7, 0, s2
	v_lshlrev_b64 v[8:9], 3, v[7:8]
	s_add_u32 s0, s20, s0
	s_addc_u32 s1, s21, s1
	v_add_co_u32 v0, s0, s0, v3
	v_add_co_ci_u32_e64 v7, null, s1, v4, s0
	v_add_co_u32 v8, s0, s3, v8
	v_cmp_gt_i64_e32 vcc_lo, s[12:13], v[5:6]
	v_lshlrev_b64 v[3:4], 3, v[5:6]
	v_add_co_ci_u32_e64 v9, null, s4, v9, s0
	s_and_saveexec_b32 s1, vcc_lo
	s_cbranch_execz .LBB115_27
; %bb.26:
	v_add_co_u32 v16, s0, v0, v3
	v_add_co_ci_u32_e64 v17, null, v7, v4, s0
	v_mul_f32_e32 v10, s19, v21
	v_mul_f32_e32 v13, s18, v21
	global_load_dwordx2 v[16:17], v[16:17], off
	v_fma_f32 v10, v20, s18, -v10
	v_fmac_f32_e32 v13, s19, v20
	s_waitcnt vmcnt(0)
	v_mul_f32_e32 v21, s11, v17
	v_mul_f32_e32 v17, s10, v17
	v_fma_f32 v20, v16, s10, -v21
	v_fmac_f32_e32 v17, s11, v16
	v_add_f32_e32 v16, v10, v20
	v_add_co_u32 v20, s0, v8, v3
	v_add_f32_e32 v17, v13, v17
	v_add_co_ci_u32_e64 v21, null, v9, v4, s0
	global_store_dwordx2 v[20:21], v[16:17], off
.LBB115_27:
	s_or_b32 exec_lo, exec_lo, s1
	v_add_co_u32 v5, s0, v5, 16
	v_add_co_ci_u32_e64 v6, null, 0, v6, s0
	v_cmp_gt_i64_e64 s0, s[12:13], v[5:6]
	s_and_saveexec_b32 s2, s0
	s_cbranch_execz .LBB115_29
; %bb.28:
	v_add_co_u32 v5, s1, v0, v3
	v_add_co_ci_u32_e64 v6, null, v7, v4, s1
	v_mul_f32_e32 v10, s19, v19
	v_mul_f32_e32 v13, s18, v19
	global_load_dwordx2 v[5:6], v[5:6], off offset:128
	v_fma_f32 v10, v18, s18, -v10
	v_fmac_f32_e32 v13, s19, v18
	s_waitcnt vmcnt(0)
	v_mul_f32_e32 v16, s11, v6
	v_mul_f32_e32 v6, s10, v6
	v_fma_f32 v16, v5, s10, -v16
	v_fmac_f32_e32 v6, s11, v5
	v_add_f32_e32 v5, v10, v16
	v_add_co_u32 v16, s1, v8, v3
	v_add_f32_e32 v6, v13, v6
	v_add_co_ci_u32_e64 v17, null, v9, v4, s1
	global_store_dwordx2 v[16:17], v[5:6], off offset:128
.LBB115_29:
	s_or_b32 exec_lo, exec_lo, s2
	v_add_co_u32 v1, s1, v1, 16
	v_add_co_ci_u32_e64 v2, null, 0, v2, s1
	v_cmp_gt_i64_e64 s1, s[14:15], v[1:2]
	s_and_b32 exec_lo, exec_lo, s1
	s_cbranch_execz .LBB115_34
; %bb.30:
	s_lshl_b64 s[2:3], s[22:23], 7
	v_add_co_u32 v0, s1, v0, s2
	v_add_co_ci_u32_e64 v1, null, s3, v7, s1
	s_lshl_b64 s[2:3], s[28:29], 7
	v_add_co_u32 v2, s1, v8, s2
	v_add_co_ci_u32_e64 v7, null, s3, v9, s1
	v_add_co_u32 v5, s1, v0, v3
	v_add_co_ci_u32_e64 v6, null, v1, v4, s1
	;; [unrolled: 2-line block ×3, first 2 shown]
	s_and_saveexec_b32 s1, vcc_lo
	s_cbranch_execz .LBB115_32
; %bb.31:
	global_load_dwordx2 v[2:3], v[5:6], off
	v_mul_f32_e32 v4, s19, v15
	v_mul_f32_e32 v7, s18, v15
	v_fma_f32 v4, v14, s18, -v4
	v_fmac_f32_e32 v7, s19, v14
	s_waitcnt vmcnt(0)
	v_mul_f32_e32 v8, s11, v3
	v_mul_f32_e32 v3, s10, v3
	v_fma_f32 v8, v2, s10, -v8
	v_fmac_f32_e32 v3, s11, v2
	v_add_f32_e32 v2, v4, v8
	v_add_f32_e32 v3, v7, v3
	global_store_dwordx2 v[0:1], v[2:3], off
.LBB115_32:
	s_or_b32 exec_lo, exec_lo, s1
	s_and_b32 exec_lo, exec_lo, s0
	s_cbranch_execz .LBB115_34
; %bb.33:
	global_load_dwordx2 v[2:3], v[5:6], off offset:128
	v_mul_f32_e32 v4, s19, v12
	v_mul_f32_e32 v5, s18, v12
	v_fma_f32 v4, v11, s18, -v4
	v_fmac_f32_e32 v5, s19, v11
	s_waitcnt vmcnt(0)
	v_mul_f32_e32 v6, s11, v3
	v_mul_f32_e32 v3, s10, v3
	v_fma_f32 v6, v2, s10, -v6
	v_fmac_f32_e32 v3, s11, v2
	v_add_f32_e32 v2, v4, v6
	v_add_f32_e32 v3, v5, v3
	global_store_dwordx2 v[0:1], v[2:3], off offset:128
.LBB115_34:
	s_endpgm
	.section	.rodata,"a",@progbits
	.p2align	6, 0x0
	.amdhsa_kernel _ZN12_GLOBAL__N_135rocblas_gemm_batched_general_kernelI19rocblas_complex_numIfELi16ELi16ELi32ELi32ELi8ELi32ELi8ELi8ELi32ELc84ELc67EKS2_S3_S2_EEvlllT_PT11_llS6_llS4_PT12_llPT13_lli
		.amdhsa_group_segment_fixed_size 4096
		.amdhsa_private_segment_fixed_size 0
		.amdhsa_kernarg_size 140
		.amdhsa_user_sgpr_count 6
		.amdhsa_user_sgpr_private_segment_buffer 1
		.amdhsa_user_sgpr_dispatch_ptr 0
		.amdhsa_user_sgpr_queue_ptr 0
		.amdhsa_user_sgpr_kernarg_segment_ptr 1
		.amdhsa_user_sgpr_dispatch_id 0
		.amdhsa_user_sgpr_flat_scratch_init 0
		.amdhsa_user_sgpr_private_segment_size 0
		.amdhsa_wavefront_size32 1
		.amdhsa_uses_dynamic_stack 0
		.amdhsa_system_sgpr_private_segment_wavefront_offset 0
		.amdhsa_system_sgpr_workgroup_id_x 1
		.amdhsa_system_sgpr_workgroup_id_y 1
		.amdhsa_system_sgpr_workgroup_id_z 1
		.amdhsa_system_sgpr_workgroup_info 0
		.amdhsa_system_vgpr_workitem_id 1
		.amdhsa_next_free_vgpr 59
		.amdhsa_next_free_sgpr 36
		.amdhsa_reserve_vcc 1
		.amdhsa_reserve_flat_scratch 0
		.amdhsa_float_round_mode_32 0
		.amdhsa_float_round_mode_16_64 0
		.amdhsa_float_denorm_mode_32 3
		.amdhsa_float_denorm_mode_16_64 3
		.amdhsa_dx10_clamp 1
		.amdhsa_ieee_mode 1
		.amdhsa_fp16_overflow 0
		.amdhsa_workgroup_processor_mode 1
		.amdhsa_memory_ordered 1
		.amdhsa_forward_progress 1
		.amdhsa_shared_vgpr_count 0
		.amdhsa_exception_fp_ieee_invalid_op 0
		.amdhsa_exception_fp_denorm_src 0
		.amdhsa_exception_fp_ieee_div_zero 0
		.amdhsa_exception_fp_ieee_overflow 0
		.amdhsa_exception_fp_ieee_underflow 0
		.amdhsa_exception_fp_ieee_inexact 0
		.amdhsa_exception_int_div_zero 0
	.end_amdhsa_kernel
	.section	.text._ZN12_GLOBAL__N_135rocblas_gemm_batched_general_kernelI19rocblas_complex_numIfELi16ELi16ELi32ELi32ELi8ELi32ELi8ELi8ELi32ELc84ELc67EKS2_S3_S2_EEvlllT_PT11_llS6_llS4_PT12_llPT13_lli,"axG",@progbits,_ZN12_GLOBAL__N_135rocblas_gemm_batched_general_kernelI19rocblas_complex_numIfELi16ELi16ELi32ELi32ELi8ELi32ELi8ELi8ELi32ELc84ELc67EKS2_S3_S2_EEvlllT_PT11_llS6_llS4_PT12_llPT13_lli,comdat
.Lfunc_end115:
	.size	_ZN12_GLOBAL__N_135rocblas_gemm_batched_general_kernelI19rocblas_complex_numIfELi16ELi16ELi32ELi32ELi8ELi32ELi8ELi8ELi32ELc84ELc67EKS2_S3_S2_EEvlllT_PT11_llS6_llS4_PT12_llPT13_lli, .Lfunc_end115-_ZN12_GLOBAL__N_135rocblas_gemm_batched_general_kernelI19rocblas_complex_numIfELi16ELi16ELi32ELi32ELi8ELi32ELi8ELi8ELi32ELc84ELc67EKS2_S3_S2_EEvlllT_PT11_llS6_llS4_PT12_llPT13_lli
                                        ; -- End function
	.set _ZN12_GLOBAL__N_135rocblas_gemm_batched_general_kernelI19rocblas_complex_numIfELi16ELi16ELi32ELi32ELi8ELi32ELi8ELi8ELi32ELc84ELc67EKS2_S3_S2_EEvlllT_PT11_llS6_llS4_PT12_llPT13_lli.num_vgpr, 59
	.set _ZN12_GLOBAL__N_135rocblas_gemm_batched_general_kernelI19rocblas_complex_numIfELi16ELi16ELi32ELi32ELi8ELi32ELi8ELi8ELi32ELc84ELc67EKS2_S3_S2_EEvlllT_PT11_llS6_llS4_PT12_llPT13_lli.num_agpr, 0
	.set _ZN12_GLOBAL__N_135rocblas_gemm_batched_general_kernelI19rocblas_complex_numIfELi16ELi16ELi32ELi32ELi8ELi32ELi8ELi8ELi32ELc84ELc67EKS2_S3_S2_EEvlllT_PT11_llS6_llS4_PT12_llPT13_lli.numbered_sgpr, 36
	.set _ZN12_GLOBAL__N_135rocblas_gemm_batched_general_kernelI19rocblas_complex_numIfELi16ELi16ELi32ELi32ELi8ELi32ELi8ELi8ELi32ELc84ELc67EKS2_S3_S2_EEvlllT_PT11_llS6_llS4_PT12_llPT13_lli.num_named_barrier, 0
	.set _ZN12_GLOBAL__N_135rocblas_gemm_batched_general_kernelI19rocblas_complex_numIfELi16ELi16ELi32ELi32ELi8ELi32ELi8ELi8ELi32ELc84ELc67EKS2_S3_S2_EEvlllT_PT11_llS6_llS4_PT12_llPT13_lli.private_seg_size, 0
	.set _ZN12_GLOBAL__N_135rocblas_gemm_batched_general_kernelI19rocblas_complex_numIfELi16ELi16ELi32ELi32ELi8ELi32ELi8ELi8ELi32ELc84ELc67EKS2_S3_S2_EEvlllT_PT11_llS6_llS4_PT12_llPT13_lli.uses_vcc, 1
	.set _ZN12_GLOBAL__N_135rocblas_gemm_batched_general_kernelI19rocblas_complex_numIfELi16ELi16ELi32ELi32ELi8ELi32ELi8ELi8ELi32ELc84ELc67EKS2_S3_S2_EEvlllT_PT11_llS6_llS4_PT12_llPT13_lli.uses_flat_scratch, 0
	.set _ZN12_GLOBAL__N_135rocblas_gemm_batched_general_kernelI19rocblas_complex_numIfELi16ELi16ELi32ELi32ELi8ELi32ELi8ELi8ELi32ELc84ELc67EKS2_S3_S2_EEvlllT_PT11_llS6_llS4_PT12_llPT13_lli.has_dyn_sized_stack, 0
	.set _ZN12_GLOBAL__N_135rocblas_gemm_batched_general_kernelI19rocblas_complex_numIfELi16ELi16ELi32ELi32ELi8ELi32ELi8ELi8ELi32ELc84ELc67EKS2_S3_S2_EEvlllT_PT11_llS6_llS4_PT12_llPT13_lli.has_recursion, 0
	.set _ZN12_GLOBAL__N_135rocblas_gemm_batched_general_kernelI19rocblas_complex_numIfELi16ELi16ELi32ELi32ELi8ELi32ELi8ELi8ELi32ELc84ELc67EKS2_S3_S2_EEvlllT_PT11_llS6_llS4_PT12_llPT13_lli.has_indirect_call, 0
	.section	.AMDGPU.csdata,"",@progbits
; Kernel info:
; codeLenInByte = 3024
; TotalNumSgprs: 38
; NumVgprs: 59
; ScratchSize: 0
; MemoryBound: 1
; FloatMode: 240
; IeeeMode: 1
; LDSByteSize: 4096 bytes/workgroup (compile time only)
; SGPRBlocks: 0
; VGPRBlocks: 7
; NumSGPRsForWavesPerEU: 38
; NumVGPRsForWavesPerEU: 59
; Occupancy: 16
; WaveLimiterHint : 1
; COMPUTE_PGM_RSRC2:SCRATCH_EN: 0
; COMPUTE_PGM_RSRC2:USER_SGPR: 6
; COMPUTE_PGM_RSRC2:TRAP_HANDLER: 0
; COMPUTE_PGM_RSRC2:TGID_X_EN: 1
; COMPUTE_PGM_RSRC2:TGID_Y_EN: 1
; COMPUTE_PGM_RSRC2:TGID_Z_EN: 1
; COMPUTE_PGM_RSRC2:TIDIG_COMP_CNT: 1
	.section	.text._ZN12_GLOBAL__N_125rocblas_gemm_scale_kernelILi32ELi32E19rocblas_complex_numIdEPS2_EEviiT1_T2_llli,"axG",@progbits,_ZN12_GLOBAL__N_125rocblas_gemm_scale_kernelILi32ELi32E19rocblas_complex_numIdEPS2_EEviiT1_T2_llli,comdat
	.globl	_ZN12_GLOBAL__N_125rocblas_gemm_scale_kernelILi32ELi32E19rocblas_complex_numIdEPS2_EEviiT1_T2_llli ; -- Begin function _ZN12_GLOBAL__N_125rocblas_gemm_scale_kernelILi32ELi32E19rocblas_complex_numIdEPS2_EEviiT1_T2_llli
	.p2align	8
	.type	_ZN12_GLOBAL__N_125rocblas_gemm_scale_kernelILi32ELi32E19rocblas_complex_numIdEPS2_EEviiT1_T2_llli,@function
_ZN12_GLOBAL__N_125rocblas_gemm_scale_kernelILi32ELi32E19rocblas_complex_numIdEPS2_EEviiT1_T2_llli: ; @_ZN12_GLOBAL__N_125rocblas_gemm_scale_kernelILi32ELi32E19rocblas_complex_numIdEPS2_EEviiT1_T2_llli
; %bb.0:
	s_load_dwordx2 s[0:1], s[4:5], 0x0
	v_lshl_add_u32 v0, s6, 5, v0
	v_lshl_add_u32 v1, s7, 5, v1
	s_waitcnt lgkmcnt(0)
	v_cmp_gt_u32_e32 vcc_lo, s0, v0
	v_cmp_gt_u32_e64 s0, s1, v1
	s_and_b32 s0, vcc_lo, s0
	s_and_saveexec_b32 s1, s0
	s_cbranch_execz .LBB116_4
; %bb.1:
	s_clause 0x1
	s_load_dwordx8 s[12:19], s[4:5], 0x8
	s_load_dwordx4 s[0:3], s[4:5], 0x28
	s_waitcnt lgkmcnt(0)
	v_cmp_neq_f64_e64 s4, s[12:13], 0
	v_mad_u64_u32 v[4:5], null, s0, v1, 0
	v_cmp_neq_f64_e64 s5, s[14:15], 0
	s_mul_i32 s0, s3, s8
	s_mul_hi_u32 s3, s2, s8
	s_mul_i32 s2, s2, s8
	s_add_i32 s3, s3, s0
	s_lshl_b64 s[2:3], s[2:3], 4
	v_mov_b32_e32 v2, v5
	s_add_u32 s2, s16, s2
	s_addc_u32 s3, s17, s3
	v_mad_u64_u32 v[1:2], null, s1, v1, v[2:3]
	s_lshl_b64 s[0:1], s[18:19], 4
	v_mov_b32_e32 v2, 0
	s_add_u32 s0, s2, s0
	v_mov_b32_e32 v3, 0
	s_addc_u32 s1, s3, s1
	v_mov_b32_e32 v5, v1
	v_mov_b32_e32 v1, 0
	s_or_b32 s2, s4, s5
	s_andn2_b32 vcc_lo, exec_lo, s2
	v_lshlrev_b64 v[6:7], 4, v[4:5]
	v_lshlrev_b64 v[4:5], 4, v[0:1]
	v_mov_b32_e32 v0, 0
	v_mov_b32_e32 v1, 0
	s_cbranch_vccnz .LBB116_3
; %bb.2:
	v_add_co_u32 v0, vcc_lo, s0, v6
	v_add_co_ci_u32_e64 v1, null, s1, v7, vcc_lo
	v_add_co_u32 v0, vcc_lo, v0, v4
	v_add_co_ci_u32_e64 v1, null, v1, v5, vcc_lo
	global_load_dwordx4 v[8:11], v[0:1], off
	s_waitcnt vmcnt(0)
	v_mul_f64 v[0:1], s[14:15], v[10:11]
	v_mul_f64 v[2:3], s[12:13], v[10:11]
	v_fma_f64 v[0:1], s[12:13], v[8:9], -v[0:1]
	v_fma_f64 v[2:3], s[14:15], v[8:9], v[2:3]
.LBB116_3:
	v_add_co_u32 v6, vcc_lo, s0, v6
	v_add_co_ci_u32_e64 v7, null, s1, v7, vcc_lo
	v_add_co_u32 v4, vcc_lo, v6, v4
	v_add_co_ci_u32_e64 v5, null, v7, v5, vcc_lo
	global_store_dwordx4 v[4:5], v[0:3], off
.LBB116_4:
	s_endpgm
	.section	.rodata,"a",@progbits
	.p2align	6, 0x0
	.amdhsa_kernel _ZN12_GLOBAL__N_125rocblas_gemm_scale_kernelILi32ELi32E19rocblas_complex_numIdEPS2_EEviiT1_T2_llli
		.amdhsa_group_segment_fixed_size 0
		.amdhsa_private_segment_fixed_size 0
		.amdhsa_kernarg_size 60
		.amdhsa_user_sgpr_count 6
		.amdhsa_user_sgpr_private_segment_buffer 1
		.amdhsa_user_sgpr_dispatch_ptr 0
		.amdhsa_user_sgpr_queue_ptr 0
		.amdhsa_user_sgpr_kernarg_segment_ptr 1
		.amdhsa_user_sgpr_dispatch_id 0
		.amdhsa_user_sgpr_flat_scratch_init 0
		.amdhsa_user_sgpr_private_segment_size 0
		.amdhsa_wavefront_size32 1
		.amdhsa_uses_dynamic_stack 0
		.amdhsa_system_sgpr_private_segment_wavefront_offset 0
		.amdhsa_system_sgpr_workgroup_id_x 1
		.amdhsa_system_sgpr_workgroup_id_y 1
		.amdhsa_system_sgpr_workgroup_id_z 1
		.amdhsa_system_sgpr_workgroup_info 0
		.amdhsa_system_vgpr_workitem_id 1
		.amdhsa_next_free_vgpr 12
		.amdhsa_next_free_sgpr 20
		.amdhsa_reserve_vcc 1
		.amdhsa_reserve_flat_scratch 0
		.amdhsa_float_round_mode_32 0
		.amdhsa_float_round_mode_16_64 0
		.amdhsa_float_denorm_mode_32 3
		.amdhsa_float_denorm_mode_16_64 3
		.amdhsa_dx10_clamp 1
		.amdhsa_ieee_mode 1
		.amdhsa_fp16_overflow 0
		.amdhsa_workgroup_processor_mode 1
		.amdhsa_memory_ordered 1
		.amdhsa_forward_progress 1
		.amdhsa_shared_vgpr_count 0
		.amdhsa_exception_fp_ieee_invalid_op 0
		.amdhsa_exception_fp_denorm_src 0
		.amdhsa_exception_fp_ieee_div_zero 0
		.amdhsa_exception_fp_ieee_overflow 0
		.amdhsa_exception_fp_ieee_underflow 0
		.amdhsa_exception_fp_ieee_inexact 0
		.amdhsa_exception_int_div_zero 0
	.end_amdhsa_kernel
	.section	.text._ZN12_GLOBAL__N_125rocblas_gemm_scale_kernelILi32ELi32E19rocblas_complex_numIdEPS2_EEviiT1_T2_llli,"axG",@progbits,_ZN12_GLOBAL__N_125rocblas_gemm_scale_kernelILi32ELi32E19rocblas_complex_numIdEPS2_EEviiT1_T2_llli,comdat
.Lfunc_end116:
	.size	_ZN12_GLOBAL__N_125rocblas_gemm_scale_kernelILi32ELi32E19rocblas_complex_numIdEPS2_EEviiT1_T2_llli, .Lfunc_end116-_ZN12_GLOBAL__N_125rocblas_gemm_scale_kernelILi32ELi32E19rocblas_complex_numIdEPS2_EEviiT1_T2_llli
                                        ; -- End function
	.set _ZN12_GLOBAL__N_125rocblas_gemm_scale_kernelILi32ELi32E19rocblas_complex_numIdEPS2_EEviiT1_T2_llli.num_vgpr, 12
	.set _ZN12_GLOBAL__N_125rocblas_gemm_scale_kernelILi32ELi32E19rocblas_complex_numIdEPS2_EEviiT1_T2_llli.num_agpr, 0
	.set _ZN12_GLOBAL__N_125rocblas_gemm_scale_kernelILi32ELi32E19rocblas_complex_numIdEPS2_EEviiT1_T2_llli.numbered_sgpr, 20
	.set _ZN12_GLOBAL__N_125rocblas_gemm_scale_kernelILi32ELi32E19rocblas_complex_numIdEPS2_EEviiT1_T2_llli.num_named_barrier, 0
	.set _ZN12_GLOBAL__N_125rocblas_gemm_scale_kernelILi32ELi32E19rocblas_complex_numIdEPS2_EEviiT1_T2_llli.private_seg_size, 0
	.set _ZN12_GLOBAL__N_125rocblas_gemm_scale_kernelILi32ELi32E19rocblas_complex_numIdEPS2_EEviiT1_T2_llli.uses_vcc, 1
	.set _ZN12_GLOBAL__N_125rocblas_gemm_scale_kernelILi32ELi32E19rocblas_complex_numIdEPS2_EEviiT1_T2_llli.uses_flat_scratch, 0
	.set _ZN12_GLOBAL__N_125rocblas_gemm_scale_kernelILi32ELi32E19rocblas_complex_numIdEPS2_EEviiT1_T2_llli.has_dyn_sized_stack, 0
	.set _ZN12_GLOBAL__N_125rocblas_gemm_scale_kernelILi32ELi32E19rocblas_complex_numIdEPS2_EEviiT1_T2_llli.has_recursion, 0
	.set _ZN12_GLOBAL__N_125rocblas_gemm_scale_kernelILi32ELi32E19rocblas_complex_numIdEPS2_EEviiT1_T2_llli.has_indirect_call, 0
	.section	.AMDGPU.csdata,"",@progbits
; Kernel info:
; codeLenInByte = 324
; TotalNumSgprs: 22
; NumVgprs: 12
; ScratchSize: 0
; MemoryBound: 0
; FloatMode: 240
; IeeeMode: 1
; LDSByteSize: 0 bytes/workgroup (compile time only)
; SGPRBlocks: 0
; VGPRBlocks: 1
; NumSGPRsForWavesPerEU: 22
; NumVGPRsForWavesPerEU: 12
; Occupancy: 16
; WaveLimiterHint : 0
; COMPUTE_PGM_RSRC2:SCRATCH_EN: 0
; COMPUTE_PGM_RSRC2:USER_SGPR: 6
; COMPUTE_PGM_RSRC2:TRAP_HANDLER: 0
; COMPUTE_PGM_RSRC2:TGID_X_EN: 1
; COMPUTE_PGM_RSRC2:TGID_Y_EN: 1
; COMPUTE_PGM_RSRC2:TGID_Z_EN: 1
; COMPUTE_PGM_RSRC2:TIDIG_COMP_CNT: 1
	.section	.text._ZN12_GLOBAL__N_120gemm_ex_scale_kernelILi32ELi32E19rocblas_complex_numIdEPKS2_PS2_EEviiT1_T2_lllT3_llli,"axG",@progbits,_ZN12_GLOBAL__N_120gemm_ex_scale_kernelILi32ELi32E19rocblas_complex_numIdEPKS2_PS2_EEviiT1_T2_lllT3_llli,comdat
	.globl	_ZN12_GLOBAL__N_120gemm_ex_scale_kernelILi32ELi32E19rocblas_complex_numIdEPKS2_PS2_EEviiT1_T2_lllT3_llli ; -- Begin function _ZN12_GLOBAL__N_120gemm_ex_scale_kernelILi32ELi32E19rocblas_complex_numIdEPKS2_PS2_EEviiT1_T2_lllT3_llli
	.p2align	8
	.type	_ZN12_GLOBAL__N_120gemm_ex_scale_kernelILi32ELi32E19rocblas_complex_numIdEPKS2_PS2_EEviiT1_T2_lllT3_llli,@function
_ZN12_GLOBAL__N_120gemm_ex_scale_kernelILi32ELi32E19rocblas_complex_numIdEPKS2_PS2_EEviiT1_T2_lllT3_llli: ; @_ZN12_GLOBAL__N_120gemm_ex_scale_kernelILi32ELi32E19rocblas_complex_numIdEPKS2_PS2_EEviiT1_T2_lllT3_llli
; %bb.0:
	s_load_dwordx2 s[0:1], s[4:5], 0x0
	v_lshl_add_u32 v4, s6, 5, v0
	v_lshl_add_u32 v6, s7, 5, v1
	s_waitcnt lgkmcnt(0)
	v_cmp_gt_u32_e32 vcc_lo, s0, v4
	v_cmp_gt_u32_e64 s0, s1, v6
	s_and_b32 s0, vcc_lo, s0
	s_and_saveexec_b32 s1, s0
	s_cbranch_execz .LBB117_6
; %bb.1:
	s_load_dwordx16 s[12:27], s[4:5], 0x8
	v_mov_b32_e32 v5, 0
	s_waitcnt lgkmcnt(0)
	v_cmp_neq_f64_e64 s0, s[14:15], 0
	v_cmp_neq_f64_e64 s1, s[12:13], 0
	s_or_b32 s0, s1, s0
	s_and_b32 vcc_lo, exec_lo, s0
	s_mov_b32 s0, 0
	s_cbranch_vccz .LBB117_3
; %bb.2:
	s_mov_b32 s0, -1
.LBB117_3:
	v_mov_b32_e32 v2, 0
	v_mov_b32_e32 v0, 0
	;; [unrolled: 1-line block ×4, first 2 shown]
	s_andn2_b32 vcc_lo, exec_lo, s0
	s_cbranch_vccnz .LBB117_5
; %bb.4:
	v_mad_u64_u32 v[0:1], null, s20, v6, 0
	s_mul_i32 s1, s23, s8
	s_mul_hi_u32 s2, s22, s8
	s_mul_i32 s0, s22, s8
	s_add_i32 s1, s2, s1
	s_lshl_b64 s[0:1], s[0:1], 4
	v_mad_u64_u32 v[1:2], null, s21, v6, v[1:2]
	s_add_u32 s2, s16, s0
	s_addc_u32 s3, s17, s1
	s_lshl_b64 s[0:1], s[18:19], 4
	v_lshlrev_b64 v[2:3], 4, v[4:5]
	s_add_u32 s0, s2, s0
	s_addc_u32 s1, s3, s1
	v_lshlrev_b64 v[0:1], 4, v[0:1]
	v_add_co_u32 v0, vcc_lo, s0, v0
	v_add_co_ci_u32_e64 v1, null, s1, v1, vcc_lo
	v_add_co_u32 v0, vcc_lo, v0, v2
	v_add_co_ci_u32_e64 v1, null, v1, v3, vcc_lo
	global_load_dwordx4 v[7:10], v[0:1], off
	s_waitcnt vmcnt(0)
	v_mul_f64 v[0:1], s[14:15], v[9:10]
	v_mul_f64 v[2:3], s[12:13], v[9:10]
	v_fma_f64 v[0:1], s[12:13], v[7:8], -v[0:1]
	v_fma_f64 v[2:3], s[14:15], v[7:8], v[2:3]
.LBB117_5:
	s_load_dwordx4 s[0:3], s[4:5], 0x48
	v_lshlrev_b64 v[4:5], 4, v[4:5]
	s_waitcnt lgkmcnt(0)
	v_mad_u64_u32 v[7:8], null, s0, v6, 0
	s_mul_i32 s0, s2, s8
	v_mad_u64_u32 v[8:9], null, s1, v6, v[8:9]
	s_mul_i32 s1, s3, s8
	s_mul_hi_u32 s3, s2, s8
	s_add_i32 s1, s3, s1
	s_lshl_b64 s[0:1], s[0:1], 4
	v_lshlrev_b64 v[6:7], 4, v[7:8]
	s_add_u32 s2, s24, s0
	s_addc_u32 s3, s25, s1
	s_lshl_b64 s[0:1], s[26:27], 4
	s_add_u32 s0, s2, s0
	s_addc_u32 s1, s3, s1
	v_add_co_u32 v6, vcc_lo, s0, v6
	v_add_co_ci_u32_e64 v7, null, s1, v7, vcc_lo
	v_add_co_u32 v4, vcc_lo, v6, v4
	v_add_co_ci_u32_e64 v5, null, v7, v5, vcc_lo
	global_store_dwordx4 v[4:5], v[0:3], off
.LBB117_6:
	s_endpgm
	.section	.rodata,"a",@progbits
	.p2align	6, 0x0
	.amdhsa_kernel _ZN12_GLOBAL__N_120gemm_ex_scale_kernelILi32ELi32E19rocblas_complex_numIdEPKS2_PS2_EEviiT1_T2_lllT3_llli
		.amdhsa_group_segment_fixed_size 0
		.amdhsa_private_segment_fixed_size 0
		.amdhsa_kernarg_size 92
		.amdhsa_user_sgpr_count 6
		.amdhsa_user_sgpr_private_segment_buffer 1
		.amdhsa_user_sgpr_dispatch_ptr 0
		.amdhsa_user_sgpr_queue_ptr 0
		.amdhsa_user_sgpr_kernarg_segment_ptr 1
		.amdhsa_user_sgpr_dispatch_id 0
		.amdhsa_user_sgpr_flat_scratch_init 0
		.amdhsa_user_sgpr_private_segment_size 0
		.amdhsa_wavefront_size32 1
		.amdhsa_uses_dynamic_stack 0
		.amdhsa_system_sgpr_private_segment_wavefront_offset 0
		.amdhsa_system_sgpr_workgroup_id_x 1
		.amdhsa_system_sgpr_workgroup_id_y 1
		.amdhsa_system_sgpr_workgroup_id_z 1
		.amdhsa_system_sgpr_workgroup_info 0
		.amdhsa_system_vgpr_workitem_id 1
		.amdhsa_next_free_vgpr 11
		.amdhsa_next_free_sgpr 28
		.amdhsa_reserve_vcc 1
		.amdhsa_reserve_flat_scratch 0
		.amdhsa_float_round_mode_32 0
		.amdhsa_float_round_mode_16_64 0
		.amdhsa_float_denorm_mode_32 3
		.amdhsa_float_denorm_mode_16_64 3
		.amdhsa_dx10_clamp 1
		.amdhsa_ieee_mode 1
		.amdhsa_fp16_overflow 0
		.amdhsa_workgroup_processor_mode 1
		.amdhsa_memory_ordered 1
		.amdhsa_forward_progress 1
		.amdhsa_shared_vgpr_count 0
		.amdhsa_exception_fp_ieee_invalid_op 0
		.amdhsa_exception_fp_denorm_src 0
		.amdhsa_exception_fp_ieee_div_zero 0
		.amdhsa_exception_fp_ieee_overflow 0
		.amdhsa_exception_fp_ieee_underflow 0
		.amdhsa_exception_fp_ieee_inexact 0
		.amdhsa_exception_int_div_zero 0
	.end_amdhsa_kernel
	.section	.text._ZN12_GLOBAL__N_120gemm_ex_scale_kernelILi32ELi32E19rocblas_complex_numIdEPKS2_PS2_EEviiT1_T2_lllT3_llli,"axG",@progbits,_ZN12_GLOBAL__N_120gemm_ex_scale_kernelILi32ELi32E19rocblas_complex_numIdEPKS2_PS2_EEviiT1_T2_lllT3_llli,comdat
.Lfunc_end117:
	.size	_ZN12_GLOBAL__N_120gemm_ex_scale_kernelILi32ELi32E19rocblas_complex_numIdEPKS2_PS2_EEviiT1_T2_lllT3_llli, .Lfunc_end117-_ZN12_GLOBAL__N_120gemm_ex_scale_kernelILi32ELi32E19rocblas_complex_numIdEPKS2_PS2_EEviiT1_T2_lllT3_llli
                                        ; -- End function
	.set _ZN12_GLOBAL__N_120gemm_ex_scale_kernelILi32ELi32E19rocblas_complex_numIdEPKS2_PS2_EEviiT1_T2_lllT3_llli.num_vgpr, 11
	.set _ZN12_GLOBAL__N_120gemm_ex_scale_kernelILi32ELi32E19rocblas_complex_numIdEPKS2_PS2_EEviiT1_T2_lllT3_llli.num_agpr, 0
	.set _ZN12_GLOBAL__N_120gemm_ex_scale_kernelILi32ELi32E19rocblas_complex_numIdEPKS2_PS2_EEviiT1_T2_lllT3_llli.numbered_sgpr, 28
	.set _ZN12_GLOBAL__N_120gemm_ex_scale_kernelILi32ELi32E19rocblas_complex_numIdEPKS2_PS2_EEviiT1_T2_lllT3_llli.num_named_barrier, 0
	.set _ZN12_GLOBAL__N_120gemm_ex_scale_kernelILi32ELi32E19rocblas_complex_numIdEPKS2_PS2_EEviiT1_T2_lllT3_llli.private_seg_size, 0
	.set _ZN12_GLOBAL__N_120gemm_ex_scale_kernelILi32ELi32E19rocblas_complex_numIdEPKS2_PS2_EEviiT1_T2_lllT3_llli.uses_vcc, 1
	.set _ZN12_GLOBAL__N_120gemm_ex_scale_kernelILi32ELi32E19rocblas_complex_numIdEPKS2_PS2_EEviiT1_T2_lllT3_llli.uses_flat_scratch, 0
	.set _ZN12_GLOBAL__N_120gemm_ex_scale_kernelILi32ELi32E19rocblas_complex_numIdEPKS2_PS2_EEviiT1_T2_lllT3_llli.has_dyn_sized_stack, 0
	.set _ZN12_GLOBAL__N_120gemm_ex_scale_kernelILi32ELi32E19rocblas_complex_numIdEPKS2_PS2_EEviiT1_T2_lllT3_llli.has_recursion, 0
	.set _ZN12_GLOBAL__N_120gemm_ex_scale_kernelILi32ELi32E19rocblas_complex_numIdEPKS2_PS2_EEviiT1_T2_lllT3_llli.has_indirect_call, 0
	.section	.AMDGPU.csdata,"",@progbits
; Kernel info:
; codeLenInByte = 404
; TotalNumSgprs: 30
; NumVgprs: 11
; ScratchSize: 0
; MemoryBound: 0
; FloatMode: 240
; IeeeMode: 1
; LDSByteSize: 0 bytes/workgroup (compile time only)
; SGPRBlocks: 0
; VGPRBlocks: 1
; NumSGPRsForWavesPerEU: 30
; NumVGPRsForWavesPerEU: 11
; Occupancy: 16
; WaveLimiterHint : 0
; COMPUTE_PGM_RSRC2:SCRATCH_EN: 0
; COMPUTE_PGM_RSRC2:USER_SGPR: 6
; COMPUTE_PGM_RSRC2:TRAP_HANDLER: 0
; COMPUTE_PGM_RSRC2:TGID_X_EN: 1
; COMPUTE_PGM_RSRC2:TGID_Y_EN: 1
; COMPUTE_PGM_RSRC2:TGID_Z_EN: 1
; COMPUTE_PGM_RSRC2:TIDIG_COMP_CNT: 1
	.section	.text._ZN12_GLOBAL__N_127rocblas_gemm_batched_kernelI19rocblas_complex_numIdELi16ELi16ELi64ELi64ELi4ELi64ELi4ELi4ELi64ELc78ELc78EKS2_S3_S2_EEvlllT_PT11_llS6_llS4_PT12_llPT13_lli,"axG",@progbits,_ZN12_GLOBAL__N_127rocblas_gemm_batched_kernelI19rocblas_complex_numIdELi16ELi16ELi64ELi64ELi4ELi64ELi4ELi4ELi64ELc78ELc78EKS2_S3_S2_EEvlllT_PT11_llS6_llS4_PT12_llPT13_lli,comdat
	.globl	_ZN12_GLOBAL__N_127rocblas_gemm_batched_kernelI19rocblas_complex_numIdELi16ELi16ELi64ELi64ELi4ELi64ELi4ELi4ELi64ELc78ELc78EKS2_S3_S2_EEvlllT_PT11_llS6_llS4_PT12_llPT13_lli ; -- Begin function _ZN12_GLOBAL__N_127rocblas_gemm_batched_kernelI19rocblas_complex_numIdELi16ELi16ELi64ELi64ELi4ELi64ELi4ELi4ELi64ELc78ELc78EKS2_S3_S2_EEvlllT_PT11_llS6_llS4_PT12_llPT13_lli
	.p2align	8
	.type	_ZN12_GLOBAL__N_127rocblas_gemm_batched_kernelI19rocblas_complex_numIdELi16ELi16ELi64ELi64ELi4ELi64ELi4ELi4ELi64ELc78ELc78EKS2_S3_S2_EEvlllT_PT11_llS6_llS4_PT12_llPT13_lli,@function
_ZN12_GLOBAL__N_127rocblas_gemm_batched_kernelI19rocblas_complex_numIdELi16ELi16ELi64ELi64ELi4ELi64ELi4ELi4ELi64ELc78ELc78EKS2_S3_S2_EEvlllT_PT11_llS6_llS4_PT12_llPT13_lli: ; @_ZN12_GLOBAL__N_127rocblas_gemm_batched_kernelI19rocblas_complex_numIdELi16ELi16ELi64ELi64ELi4ELi64ELi4ELi4ELi64ELc78ELc78EKS2_S3_S2_EEvlllT_PT11_llS6_llS4_PT12_llPT13_lli
; %bb.0:
	s_clause 0x1
	s_load_dwordx16 s[12:27], s[4:5], 0x10
	s_load_dwordx16 s[36:51], s[4:5], 0x50
	s_mov_b32 s2, s7
	s_ashr_i32 s7, s6, 31
	s_ashr_i32 s3, s2, 31
	s_lshl_b64 s[0:1], s[6:7], 6
	s_lshl_b64 s[2:3], s[2:3], 6
	s_waitcnt lgkmcnt(0)
	v_cmp_lt_i64_e64 s9, s[12:13], 1
	s_and_b32 vcc_lo, exec_lo, s9
	s_cbranch_vccnz .LBB118_3
; %bb.1:
	v_lshl_add_u32 v2, v1, 4, v0
	v_and_b32_e32 v3, 3, v0
	s_mul_i32 s6, s23, s8
	s_mul_hi_u32 s7, s22, s8
	v_mov_b32_e32 v76, 0
	v_lshrrev_b32_e32 v4, 6, v2
	v_lshrrev_b32_e32 v5, 2, v2
	v_lshlrev_b32_e32 v7, 4, v3
	v_and_b32_e32 v6, 63, v2
	s_add_i32 s7, s7, s6
	v_mad_u64_u32 v[2:3], null, s20, v4, s[0:1]
	v_lshl_or_b32 v9, v5, 6, v7
	v_add_co_u32 v5, s6, v5, s2
	v_lshlrev_b32_e32 v8, 4, v6
	v_add_co_ci_u32_e64 v10, null, 0, s3, s6
	v_add_nc_u32_e32 v92, 0x1000, v9
	s_mul_i32 s6, s22, s8
	v_lshl_or_b32 v91, v4, 10, v8
	v_mad_u64_u32 v[3:4], null, s21, v4, v[3:4]
	v_mul_lo_u32 v8, s27, v5
	v_mul_lo_u32 v9, s26, v10
	v_mad_u64_u32 v[4:5], null, s26, v5, 0
	v_add_co_u32 v2, vcc_lo, v2, v6
	s_lshl_b64 s[6:7], s[6:7], 4
	v_add_co_ci_u32_e64 v3, null, 0, v3, vcc_lo
	s_add_u32 s9, s18, s6
	v_add3_u32 v5, v5, v9, v8
	s_addc_u32 s10, s19, s7
	s_mul_i32 s6, s37, s8
	s_mul_hi_u32 s7, s36, s8
	v_lshlrev_b64 v[2:3], 4, v[2:3]
	v_lshlrev_b64 v[4:5], 4, v[4:5]
	s_add_i32 s7, s7, s6
	s_mul_i32 s6, s36, s8
	v_mov_b32_e32 v74, 0
	s_lshl_b64 s[6:7], s[6:7], 4
	v_mov_b32_e32 v12, 0
	v_add_co_u32 v4, vcc_lo, v4, s6
	v_add_co_ci_u32_e64 v5, null, s7, v5, vcc_lo
	v_add_co_u32 v26, vcc_lo, s9, v2
	v_add_co_ci_u32_e64 v27, null, s10, v3, vcc_lo
	;; [unrolled: 2-line block ×3, first 2 shown]
	v_mov_b32_e32 v10, 0
	v_add_co_u32 v28, vcc_lo, s24, v2
	v_mov_b32_e32 v16, 0
	v_mov_b32_e32 v14, 0
	;; [unrolled: 1-line block ×28, first 2 shown]
	v_lshlrev_b32_e32 v90, 4, v0
	v_lshl_add_u32 v93, v1, 6, 0x1000
	v_mov_b32_e32 v77, 0
	v_mov_b32_e32 v75, 0
	;; [unrolled: 1-line block ×32, first 2 shown]
	v_add_co_ci_u32_e64 v29, null, s25, v3, vcc_lo
	s_lshl_b64 s[6:7], s[20:21], 6
	s_mov_b64 s[10:11], 0
.LBB118_2:                              ; =>This Inner Loop Header: Depth=1
	global_load_dwordx4 v[2:5], v[26:27], off
	s_add_u32 s10, s10, 4
	s_addc_u32 s11, s11, 0
	v_add_co_u32 v26, vcc_lo, v26, s6
	v_cmp_lt_i64_e64 s9, s[10:11], s[12:13]
	v_add_co_ci_u32_e64 v27, null, s7, v27, vcc_lo
	s_waitcnt vmcnt(0)
	ds_write2_b64 v91, v[2:3], v[4:5] offset1:1
	global_load_dwordx4 v[2:5], v[28:29], off
	v_add_co_u32 v28, vcc_lo, v28, 64
	v_add_co_ci_u32_e64 v29, null, 0, v29, vcc_lo
	s_and_b32 vcc_lo, exec_lo, s9
	s_waitcnt vmcnt(0)
	ds_write2_b64 v92, v[2:3], v[4:5] offset1:1
	s_waitcnt lgkmcnt(0)
	s_barrier
	buffer_gl0_inv
	ds_read_b128 v[78:81], v93
	ds_read_b128 v[82:85], v93 offset:16
	ds_read_b128 v[6:9], v93 offset:32
	;; [unrolled: 1-line block ×3, first 2 shown]
	ds_read_b128 v[86:89], v90
	s_waitcnt lgkmcnt(0)
	v_mul_f64 v[94:95], v[80:81], v[88:89]
	v_mul_f64 v[96:97], v[78:79], v[88:89]
	v_fma_f64 v[94:95], v[78:79], v[86:87], -v[94:95]
	v_fma_f64 v[96:97], v[80:81], v[86:87], v[96:97]
	v_add_f64 v[98:99], v[48:49], v[94:95]
	v_add_f64 v[100:101], v[96:97], v[52:53]
	ds_read_b128 v[94:97], v90 offset:256
	s_waitcnt lgkmcnt(0)
	v_mul_f64 v[48:49], v[80:81], v[96:97]
	v_mul_f64 v[52:53], v[78:79], v[96:97]
	v_fma_f64 v[48:49], v[78:79], v[94:95], -v[48:49]
	v_fma_f64 v[52:53], v[80:81], v[94:95], v[52:53]
	v_add_f64 v[102:103], v[34:35], v[48:49]
	v_add_f64 v[104:105], v[52:53], v[36:37]
	ds_read_b128 v[34:37], v90 offset:512
	s_waitcnt lgkmcnt(0)
	v_mul_f64 v[48:49], v[80:81], v[36:37]
	v_mul_f64 v[52:53], v[78:79], v[36:37]
	v_fma_f64 v[48:49], v[78:79], v[34:35], -v[48:49]
	v_fma_f64 v[52:53], v[80:81], v[34:35], v[52:53]
	v_add_f64 v[106:107], v[30:31], v[48:49]
	v_add_f64 v[108:109], v[52:53], v[32:33]
	ds_read_b128 v[30:33], v90 offset:768
	s_waitcnt lgkmcnt(0)
	v_mul_f64 v[48:49], v[80:81], v[32:33]
	v_mul_f64 v[52:53], v[78:79], v[32:33]
	v_fma_f64 v[48:49], v[78:79], v[30:31], -v[48:49]
	v_fma_f64 v[52:53], v[80:81], v[30:31], v[52:53]
	v_add_f64 v[78:79], v[22:23], v[48:49]
	v_add_f64 v[80:81], v[52:53], v[24:25]
	ds_read_b128 v[22:25], v93 offset:1024
	s_waitcnt lgkmcnt(0)
	v_mul_f64 v[48:49], v[24:25], v[88:89]
	v_mul_f64 v[52:53], v[22:23], v[88:89]
	v_fma_f64 v[48:49], v[22:23], v[86:87], -v[48:49]
	v_fma_f64 v[52:53], v[24:25], v[86:87], v[52:53]
	v_add_f64 v[70:71], v[70:71], v[48:49]
	v_mul_f64 v[48:49], v[24:25], v[96:97]
	v_add_f64 v[72:73], v[52:53], v[72:73]
	v_mul_f64 v[52:53], v[22:23], v[96:97]
	v_fma_f64 v[48:49], v[22:23], v[94:95], -v[48:49]
	v_fma_f64 v[52:53], v[24:25], v[94:95], v[52:53]
	v_add_f64 v[110:111], v[62:63], v[48:49]
	v_mul_f64 v[48:49], v[24:25], v[36:37]
	v_add_f64 v[112:113], v[52:53], v[64:65]
	;; [unrolled: 6-line block ×3, first 2 shown]
	v_fma_f64 v[48:49], v[22:23], v[30:31], -v[48:49]
	v_mul_f64 v[22:23], v[22:23], v[32:33]
	v_add_f64 v[118:119], v[42:43], v[48:49]
	v_fma_f64 v[22:23], v[24:25], v[30:31], v[22:23]
	v_add_f64 v[120:121], v[22:23], v[46:47]
	ds_read_b128 v[22:25], v93 offset:2048
	s_waitcnt lgkmcnt(0)
	v_mul_f64 v[42:43], v[24:25], v[88:89]
	v_mul_f64 v[46:47], v[22:23], v[88:89]
	v_fma_f64 v[42:43], v[22:23], v[86:87], -v[42:43]
	v_fma_f64 v[46:47], v[24:25], v[86:87], v[46:47]
	v_add_f64 v[122:123], v[66:67], v[42:43]
	v_mul_f64 v[42:43], v[24:25], v[96:97]
	v_add_f64 v[124:125], v[46:47], v[68:69]
	v_mul_f64 v[46:47], v[22:23], v[96:97]
	v_fma_f64 v[42:43], v[22:23], v[94:95], -v[42:43]
	v_fma_f64 v[46:47], v[24:25], v[94:95], v[46:47]
	v_add_f64 v[126:127], v[56:57], v[42:43]
	v_mul_f64 v[42:43], v[24:25], v[36:37]
	v_add_f64 v[128:129], v[46:47], v[60:61]
	;; [unrolled: 6-line block ×3, first 2 shown]
	v_fma_f64 v[42:43], v[22:23], v[30:31], -v[42:43]
	v_mul_f64 v[22:23], v[22:23], v[32:33]
	v_add_f64 v[134:135], v[38:39], v[42:43]
	v_fma_f64 v[22:23], v[24:25], v[30:31], v[22:23]
	v_add_f64 v[136:137], v[22:23], v[40:41]
	ds_read_b128 v[22:25], v93 offset:3072
	s_waitcnt lgkmcnt(0)
	v_mul_f64 v[38:39], v[24:25], v[88:89]
	v_mul_f64 v[40:41], v[22:23], v[88:89]
	v_fma_f64 v[38:39], v[22:23], v[86:87], -v[38:39]
	v_fma_f64 v[40:41], v[24:25], v[86:87], v[40:41]
	v_add_f64 v[58:59], v[18:19], v[38:39]
	v_add_f64 v[60:61], v[40:41], v[20:21]
	v_mul_f64 v[18:19], v[24:25], v[96:97]
	v_mul_f64 v[20:21], v[22:23], v[96:97]
	v_fma_f64 v[18:19], v[22:23], v[94:95], -v[18:19]
	v_fma_f64 v[20:21], v[24:25], v[94:95], v[20:21]
	v_add_f64 v[54:55], v[14:15], v[18:19]
	v_add_f64 v[56:57], v[20:21], v[16:17]
	v_mul_f64 v[14:15], v[24:25], v[36:37]
	v_mul_f64 v[16:17], v[22:23], v[36:37]
	ds_read_b128 v[18:21], v90 offset:1280
	v_fma_f64 v[14:15], v[22:23], v[34:35], -v[14:15]
	v_fma_f64 v[16:17], v[24:25], v[34:35], v[16:17]
	v_add_f64 v[50:51], v[10:11], v[14:15]
	v_add_f64 v[52:53], v[16:17], v[12:13]
	v_mul_f64 v[10:11], v[24:25], v[32:33]
	v_mul_f64 v[12:13], v[22:23], v[32:33]
	ds_read_b128 v[14:17], v90 offset:1536
	v_fma_f64 v[10:11], v[22:23], v[30:31], -v[10:11]
	v_fma_f64 v[12:13], v[24:25], v[30:31], v[12:13]
	ds_read_b128 v[22:25], v90 offset:1024
	v_add_f64 v[46:47], v[74:75], v[10:11]
	v_add_f64 v[48:49], v[12:13], v[76:77]
	s_waitcnt lgkmcnt(0)
	v_mul_f64 v[10:11], v[84:85], v[24:25]
	v_mul_f64 v[12:13], v[82:83], v[24:25]
	ds_read_b128 v[74:77], v93 offset:1040
	v_fma_f64 v[10:11], v[82:83], v[22:23], -v[10:11]
	v_fma_f64 v[12:13], v[84:85], v[22:23], v[12:13]
	s_waitcnt lgkmcnt(0)
	v_mul_f64 v[62:63], v[76:77], v[24:25]
	v_mul_f64 v[64:65], v[74:75], v[24:25]
	;; [unrolled: 1-line block ×4, first 2 shown]
	v_add_f64 v[42:43], v[98:99], v[10:11]
	v_add_f64 v[44:45], v[12:13], v[100:101]
	v_mul_f64 v[10:11], v[84:85], v[20:21]
	v_mul_f64 v[12:13], v[82:83], v[20:21]
	v_fma_f64 v[62:63], v[74:75], v[22:23], -v[62:63]
	v_fma_f64 v[64:65], v[76:77], v[22:23], v[64:65]
	v_fma_f64 v[66:67], v[74:75], v[18:19], -v[66:67]
	v_fma_f64 v[68:69], v[76:77], v[18:19], v[68:69]
	;; [unrolled: 2-line block ×3, first 2 shown]
	v_add_f64 v[62:63], v[70:71], v[62:63]
	v_mul_f64 v[70:71], v[76:77], v[16:17]
	v_add_f64 v[64:65], v[64:65], v[72:73]
	v_mul_f64 v[72:73], v[74:75], v[16:17]
	v_add_f64 v[66:67], v[110:111], v[66:67]
	v_add_f64 v[68:69], v[68:69], v[112:113]
	;; [unrolled: 1-line block ×4, first 2 shown]
	v_mul_f64 v[10:11], v[84:85], v[16:17]
	v_mul_f64 v[12:13], v[82:83], v[16:17]
	v_fma_f64 v[70:71], v[74:75], v[14:15], -v[70:71]
	v_fma_f64 v[72:73], v[76:77], v[14:15], v[72:73]
	v_fma_f64 v[10:11], v[82:83], v[14:15], -v[10:11]
	v_fma_f64 v[12:13], v[84:85], v[14:15], v[12:13]
	v_add_f64 v[70:71], v[114:115], v[70:71]
	v_add_f64 v[72:73], v[72:73], v[116:117]
	;; [unrolled: 1-line block ×4, first 2 shown]
	ds_read_b128 v[10:13], v90 offset:1792
	s_waitcnt lgkmcnt(0)
	v_mul_f64 v[30:31], v[84:85], v[12:13]
	v_mul_f64 v[32:33], v[82:83], v[12:13]
	v_fma_f64 v[30:31], v[82:83], v[10:11], -v[30:31]
	v_fma_f64 v[32:33], v[84:85], v[10:11], v[32:33]
	v_add_f64 v[30:31], v[78:79], v[30:31]
	v_mul_f64 v[78:79], v[76:77], v[12:13]
	v_add_f64 v[32:33], v[32:33], v[80:81]
	v_fma_f64 v[78:79], v[74:75], v[10:11], -v[78:79]
	v_mul_f64 v[74:75], v[74:75], v[12:13]
	v_fma_f64 v[76:77], v[76:77], v[10:11], v[74:75]
	v_add_f64 v[74:75], v[118:119], v[78:79]
	ds_read_b128 v[78:81], v93 offset:2064
	s_waitcnt lgkmcnt(0)
	v_mul_f64 v[82:83], v[80:81], v[24:25]
	v_mul_f64 v[86:87], v[80:81], v[20:21]
	;; [unrolled: 1-line block ×7, first 2 shown]
	v_add_f64 v[76:77], v[76:77], v[120:121]
	v_fma_f64 v[82:83], v[78:79], v[22:23], -v[82:83]
	v_fma_f64 v[86:87], v[78:79], v[18:19], -v[86:87]
	;; [unrolled: 1-line block ×4, first 2 shown]
	v_mul_f64 v[78:79], v[78:79], v[12:13]
	v_fma_f64 v[84:85], v[80:81], v[22:23], v[84:85]
	v_fma_f64 v[88:89], v[80:81], v[18:19], v[88:89]
	;; [unrolled: 1-line block ×3, first 2 shown]
	v_add_f64 v[82:83], v[122:123], v[82:83]
	v_add_f64 v[86:87], v[126:127], v[86:87]
	;; [unrolled: 1-line block ×4, first 2 shown]
	v_fma_f64 v[78:79], v[80:81], v[10:11], v[78:79]
	v_add_f64 v[84:85], v[84:85], v[124:125]
	v_add_f64 v[88:89], v[88:89], v[128:129]
	;; [unrolled: 1-line block ×4, first 2 shown]
	ds_read_b128 v[78:81], v93 offset:3088
	s_waitcnt lgkmcnt(0)
	v_mul_f64 v[102:103], v[80:81], v[24:25]
	v_mul_f64 v[24:25], v[78:79], v[24:25]
	v_fma_f64 v[102:103], v[78:79], v[22:23], -v[102:103]
	v_fma_f64 v[22:23], v[80:81], v[22:23], v[24:25]
	v_add_f64 v[58:59], v[58:59], v[102:103]
	v_add_f64 v[60:61], v[22:23], v[60:61]
	v_mul_f64 v[22:23], v[80:81], v[20:21]
	v_mul_f64 v[20:21], v[78:79], v[20:21]
	v_fma_f64 v[22:23], v[78:79], v[18:19], -v[22:23]
	v_fma_f64 v[18:19], v[80:81], v[18:19], v[20:21]
	v_add_f64 v[54:55], v[54:55], v[22:23]
	v_add_f64 v[56:57], v[18:19], v[56:57]
	;; [unrolled: 6-line block ×4, first 2 shown]
	ds_read_b128 v[10:13], v90 offset:2048
	s_waitcnt lgkmcnt(0)
	v_mul_f64 v[14:15], v[8:9], v[12:13]
	v_mul_f64 v[16:17], v[6:7], v[12:13]
	v_fma_f64 v[14:15], v[6:7], v[10:11], -v[14:15]
	v_fma_f64 v[16:17], v[8:9], v[10:11], v[16:17]
	v_add_f64 v[42:43], v[42:43], v[14:15]
	v_add_f64 v[44:45], v[16:17], v[44:45]
	ds_read_b128 v[14:17], v90 offset:2304
	s_waitcnt lgkmcnt(0)
	v_mul_f64 v[18:19], v[8:9], v[16:17]
	v_mul_f64 v[20:21], v[6:7], v[16:17]
	v_fma_f64 v[18:19], v[6:7], v[14:15], -v[18:19]
	v_fma_f64 v[20:21], v[8:9], v[14:15], v[20:21]
	v_add_f64 v[38:39], v[38:39], v[18:19]
	v_add_f64 v[40:41], v[20:21], v[40:41]
	;; [unrolled: 8-line block ×3, first 2 shown]
	ds_read_b128 v[22:25], v90 offset:2816
	s_waitcnt lgkmcnt(0)
	v_mul_f64 v[34:35], v[8:9], v[24:25]
	v_fma_f64 v[34:35], v[6:7], v[22:23], -v[34:35]
	v_mul_f64 v[6:7], v[6:7], v[24:25]
	v_add_f64 v[106:107], v[30:31], v[34:35]
	v_fma_f64 v[6:7], v[8:9], v[22:23], v[6:7]
	v_add_f64 v[108:109], v[6:7], v[32:33]
	ds_read_b128 v[6:9], v93 offset:1056
	s_waitcnt lgkmcnt(0)
	v_mul_f64 v[30:31], v[8:9], v[12:13]
	v_mul_f64 v[32:33], v[6:7], v[12:13]
	v_fma_f64 v[30:31], v[6:7], v[10:11], -v[30:31]
	v_fma_f64 v[32:33], v[8:9], v[10:11], v[32:33]
	v_add_f64 v[62:63], v[62:63], v[30:31]
	v_mul_f64 v[30:31], v[8:9], v[16:17]
	v_add_f64 v[64:65], v[32:33], v[64:65]
	v_mul_f64 v[32:33], v[6:7], v[16:17]
	v_fma_f64 v[30:31], v[6:7], v[14:15], -v[30:31]
	v_fma_f64 v[32:33], v[8:9], v[14:15], v[32:33]
	v_add_f64 v[66:67], v[66:67], v[30:31]
	v_mul_f64 v[30:31], v[8:9], v[20:21]
	v_add_f64 v[68:69], v[32:33], v[68:69]
	;; [unrolled: 6-line block ×3, first 2 shown]
	v_fma_f64 v[30:31], v[6:7], v[22:23], -v[30:31]
	v_mul_f64 v[6:7], v[6:7], v[24:25]
	v_add_f64 v[114:115], v[74:75], v[30:31]
	v_fma_f64 v[6:7], v[8:9], v[22:23], v[6:7]
	v_add_f64 v[116:117], v[6:7], v[76:77]
	ds_read_b128 v[6:9], v93 offset:2080
	s_waitcnt lgkmcnt(0)
	v_mul_f64 v[30:31], v[8:9], v[12:13]
	v_mul_f64 v[32:33], v[6:7], v[12:13]
	v_fma_f64 v[30:31], v[6:7], v[10:11], -v[30:31]
	v_fma_f64 v[32:33], v[8:9], v[10:11], v[32:33]
	v_add_f64 v[118:119], v[82:83], v[30:31]
	v_mul_f64 v[30:31], v[8:9], v[16:17]
	v_add_f64 v[120:121], v[32:33], v[84:85]
	v_mul_f64 v[32:33], v[6:7], v[16:17]
	v_fma_f64 v[30:31], v[6:7], v[14:15], -v[30:31]
	v_fma_f64 v[32:33], v[8:9], v[14:15], v[32:33]
	v_add_f64 v[122:123], v[86:87], v[30:31]
	v_mul_f64 v[30:31], v[8:9], v[20:21]
	v_add_f64 v[124:125], v[32:33], v[88:89]
	;; [unrolled: 6-line block ×3, first 2 shown]
	v_fma_f64 v[30:31], v[6:7], v[22:23], -v[30:31]
	v_mul_f64 v[6:7], v[6:7], v[24:25]
	v_add_f64 v[98:99], v[98:99], v[30:31]
	v_fma_f64 v[6:7], v[8:9], v[22:23], v[6:7]
	v_add_f64 v[100:101], v[6:7], v[100:101]
	ds_read_b128 v[6:9], v93 offset:3104
	s_waitcnt lgkmcnt(0)
	v_mul_f64 v[30:31], v[8:9], v[12:13]
	v_mul_f64 v[12:13], v[6:7], v[12:13]
	v_fma_f64 v[30:31], v[6:7], v[10:11], -v[30:31]
	v_fma_f64 v[10:11], v[8:9], v[10:11], v[12:13]
	v_mul_f64 v[12:13], v[6:7], v[16:17]
	v_add_f64 v[86:87], v[58:59], v[30:31]
	v_add_f64 v[88:89], v[10:11], v[60:61]
	v_mul_f64 v[10:11], v[8:9], v[16:17]
	v_fma_f64 v[12:13], v[8:9], v[14:15], v[12:13]
	v_fma_f64 v[10:11], v[6:7], v[14:15], -v[10:11]
	v_add_f64 v[84:85], v[12:13], v[56:57]
	v_mul_f64 v[12:13], v[6:7], v[20:21]
	ds_read_b128 v[14:17], v90 offset:3328
	v_add_f64 v[82:83], v[54:55], v[10:11]
	v_mul_f64 v[10:11], v[8:9], v[20:21]
	v_fma_f64 v[12:13], v[8:9], v[18:19], v[12:13]
	v_fma_f64 v[10:11], v[6:7], v[18:19], -v[10:11]
	ds_read_b128 v[18:21], v90 offset:3072
	v_add_f64 v[80:81], v[12:13], v[52:53]
	v_add_f64 v[78:79], v[50:51], v[10:11]
	v_mul_f64 v[10:11], v[8:9], v[24:25]
	v_fma_f64 v[10:11], v[6:7], v[22:23], -v[10:11]
	v_mul_f64 v[6:7], v[6:7], v[24:25]
	v_add_f64 v[74:75], v[46:47], v[10:11]
	v_fma_f64 v[6:7], v[8:9], v[22:23], v[6:7]
	s_waitcnt lgkmcnt(0)
	v_mul_f64 v[8:9], v[2:3], v[20:21]
	ds_read_b128 v[10:13], v90 offset:3584
	v_add_f64 v[76:77], v[6:7], v[48:49]
	v_mul_f64 v[6:7], v[4:5], v[20:21]
	v_fma_f64 v[8:9], v[4:5], v[18:19], v[8:9]
	v_fma_f64 v[6:7], v[2:3], v[18:19], -v[6:7]
	v_add_f64 v[52:53], v[8:9], v[44:45]
	v_mul_f64 v[8:9], v[2:3], v[16:17]
	v_add_f64 v[48:49], v[42:43], v[6:7]
	v_mul_f64 v[6:7], v[4:5], v[16:17]
	v_fma_f64 v[8:9], v[4:5], v[14:15], v[8:9]
	v_fma_f64 v[6:7], v[2:3], v[14:15], -v[6:7]
	v_add_f64 v[36:37], v[8:9], v[40:41]
	s_waitcnt lgkmcnt(0)
	v_mul_f64 v[8:9], v[2:3], v[12:13]
	v_add_f64 v[34:35], v[38:39], v[6:7]
	v_mul_f64 v[6:7], v[4:5], v[12:13]
	v_fma_f64 v[8:9], v[4:5], v[10:11], v[8:9]
	v_fma_f64 v[6:7], v[2:3], v[10:11], -v[6:7]
	v_add_f64 v[32:33], v[8:9], v[104:105]
	v_add_f64 v[30:31], v[102:103], v[6:7]
	ds_read_b128 v[6:9], v90 offset:3840
	s_waitcnt lgkmcnt(0)
	v_mul_f64 v[22:23], v[4:5], v[8:9]
	v_fma_f64 v[22:23], v[2:3], v[6:7], -v[22:23]
	v_mul_f64 v[2:3], v[2:3], v[8:9]
	v_add_f64 v[22:23], v[106:107], v[22:23]
	v_fma_f64 v[2:3], v[4:5], v[6:7], v[2:3]
	v_add_f64 v[24:25], v[2:3], v[108:109]
	ds_read_b128 v[2:5], v93 offset:1072
	s_waitcnt lgkmcnt(0)
	v_mul_f64 v[38:39], v[4:5], v[20:21]
	v_mul_f64 v[40:41], v[2:3], v[20:21]
	v_fma_f64 v[38:39], v[2:3], v[18:19], -v[38:39]
	v_fma_f64 v[40:41], v[4:5], v[18:19], v[40:41]
	v_add_f64 v[70:71], v[62:63], v[38:39]
	v_mul_f64 v[38:39], v[4:5], v[16:17]
	v_add_f64 v[72:73], v[40:41], v[64:65]
	v_mul_f64 v[40:41], v[2:3], v[16:17]
	v_fma_f64 v[38:39], v[2:3], v[14:15], -v[38:39]
	v_fma_f64 v[40:41], v[4:5], v[14:15], v[40:41]
	v_add_f64 v[62:63], v[66:67], v[38:39]
	v_mul_f64 v[38:39], v[4:5], v[12:13]
	v_add_f64 v[64:65], v[40:41], v[68:69]
	v_mul_f64 v[40:41], v[2:3], v[12:13]
	v_fma_f64 v[38:39], v[2:3], v[10:11], -v[38:39]
	v_fma_f64 v[40:41], v[4:5], v[10:11], v[40:41]
	v_add_f64 v[54:55], v[110:111], v[38:39]
	v_mul_f64 v[38:39], v[4:5], v[8:9]
	v_add_f64 v[58:59], v[40:41], v[112:113]
	v_fma_f64 v[38:39], v[2:3], v[6:7], -v[38:39]
	v_mul_f64 v[2:3], v[2:3], v[8:9]
	v_add_f64 v[42:43], v[114:115], v[38:39]
	v_fma_f64 v[2:3], v[4:5], v[6:7], v[2:3]
	v_add_f64 v[46:47], v[2:3], v[116:117]
	ds_read_b128 v[2:5], v93 offset:2096
	s_waitcnt lgkmcnt(0)
	v_mul_f64 v[38:39], v[4:5], v[20:21]
	v_mul_f64 v[40:41], v[2:3], v[20:21]
	v_fma_f64 v[38:39], v[2:3], v[18:19], -v[38:39]
	v_fma_f64 v[40:41], v[4:5], v[18:19], v[40:41]
	v_add_f64 v[66:67], v[118:119], v[38:39]
	v_mul_f64 v[38:39], v[4:5], v[16:17]
	v_add_f64 v[68:69], v[40:41], v[120:121]
	v_mul_f64 v[40:41], v[2:3], v[16:17]
	v_fma_f64 v[38:39], v[2:3], v[14:15], -v[38:39]
	v_fma_f64 v[40:41], v[4:5], v[14:15], v[40:41]
	v_add_f64 v[56:57], v[122:123], v[38:39]
	v_mul_f64 v[38:39], v[4:5], v[12:13]
	v_add_f64 v[60:61], v[40:41], v[124:125]
	;; [unrolled: 6-line block ×3, first 2 shown]
	v_fma_f64 v[38:39], v[2:3], v[6:7], -v[38:39]
	v_mul_f64 v[2:3], v[2:3], v[8:9]
	v_add_f64 v[38:39], v[98:99], v[38:39]
	v_fma_f64 v[2:3], v[4:5], v[6:7], v[2:3]
	v_add_f64 v[40:41], v[2:3], v[100:101]
	ds_read_b128 v[2:5], v93 offset:3120
	s_waitcnt lgkmcnt(0)
	s_barrier
	buffer_gl0_inv
	v_mul_f64 v[94:95], v[4:5], v[20:21]
	v_mul_f64 v[20:21], v[2:3], v[20:21]
	v_fma_f64 v[94:95], v[2:3], v[18:19], -v[94:95]
	v_fma_f64 v[20:21], v[4:5], v[18:19], v[20:21]
	v_add_f64 v[18:19], v[86:87], v[94:95]
	v_mul_f64 v[86:87], v[4:5], v[16:17]
	v_mul_f64 v[16:17], v[2:3], v[16:17]
	v_add_f64 v[20:21], v[20:21], v[88:89]
	v_fma_f64 v[86:87], v[2:3], v[14:15], -v[86:87]
	v_fma_f64 v[16:17], v[4:5], v[14:15], v[16:17]
	v_add_f64 v[14:15], v[82:83], v[86:87]
	v_mul_f64 v[82:83], v[4:5], v[12:13]
	v_mul_f64 v[12:13], v[2:3], v[12:13]
	v_add_f64 v[16:17], v[16:17], v[84:85]
	v_fma_f64 v[82:83], v[2:3], v[10:11], -v[82:83]
	v_fma_f64 v[12:13], v[4:5], v[10:11], v[12:13]
	v_add_f64 v[10:11], v[78:79], v[82:83]
	v_mul_f64 v[78:79], v[4:5], v[8:9]
	v_add_f64 v[12:13], v[12:13], v[80:81]
	v_fma_f64 v[78:79], v[2:3], v[6:7], -v[78:79]
	v_mul_f64 v[2:3], v[2:3], v[8:9]
	v_add_f64 v[74:75], v[74:75], v[78:79]
	v_fma_f64 v[2:3], v[4:5], v[6:7], v[2:3]
	v_add_f64 v[76:77], v[2:3], v[76:77]
	s_cbranch_vccnz .LBB118_2
	s_branch .LBB118_4
.LBB118_3:
	v_mov_b32_e32 v48, 0
	v_mov_b32_e32 v52, 0
	;; [unrolled: 1-line block ×64, first 2 shown]
.LBB118_4:
	s_load_dwordx2 s[4:5], s[4:5], 0x90
	v_cmp_neq_f64_e64 s6, s[38:39], 0
	v_cmp_neq_f64_e64 s7, s[40:41], 0
	v_add_co_u32 v6, s2, s2, v1
	v_add_co_u32 v0, s0, s0, v0
	v_add_co_ci_u32_e64 v7, null, s3, 0, s2
	v_add_co_ci_u32_e64 v1, null, s1, 0, s0
	s_waitcnt lgkmcnt(0)
	s_mul_i32 s5, s5, s8
	s_mul_hi_u32 s9, s4, s8
	s_mul_i32 s4, s4, s8
	s_add_i32 s5, s9, s5
	s_lshl_b64 s[4:5], s[4:5], 4
	s_add_u32 s2, s48, s4
	s_addc_u32 s3, s49, s5
	s_or_b32 s4, s6, s7
	s_and_b32 vcc_lo, exec_lo, s4
	s_cbranch_vccnz .LBB118_6
; %bb.5:
	v_mul_f64 v[4:5], s[16:17], v[52:53]
	v_mul_f64 v[8:9], s[14:15], v[52:53]
	v_mul_lo_u32 v78, v7, s50
	v_mul_lo_u32 v79, v6, s51
	v_mad_u64_u32 v[2:3], null, v6, s50, 0
	v_mul_f64 v[26:27], s[16:17], v[36:37]
	v_mul_f64 v[28:29], s[14:15], v[36:37]
	;; [unrolled: 1-line block ×6, first 2 shown]
	v_add3_u32 v3, v3, v79, v78
	v_mul_f64 v[78:79], s[16:17], v[32:33]
	v_mul_f64 v[88:89], s[14:15], v[72:73]
	;; [unrolled: 1-line block ×4, first 2 shown]
	v_lshlrev_b64 v[2:3], 4, v[2:3]
	v_mul_f64 v[94:95], s[16:17], v[58:59]
	v_mul_f64 v[96:97], s[14:15], v[58:59]
	;; [unrolled: 1-line block ×4, first 2 shown]
	s_lshl_b64 s[0:1], s[50:51], 8
	v_add_co_u32 v104, vcc_lo, s2, v2
	v_add_co_ci_u32_e64 v105, null, s3, v3, vcc_lo
	v_fma_f64 v[2:3], s[14:15], v[48:49], -v[4:5]
	v_fma_f64 v[4:5], s[16:17], v[48:49], v[8:9]
	v_lshlrev_b64 v[8:9], 4, v[0:1]
	v_fma_f64 v[26:27], s[14:15], v[34:35], -v[26:27]
	v_fma_f64 v[28:29], s[16:17], v[34:35], v[28:29]
	v_fma_f64 v[80:81], s[16:17], v[30:31], v[80:81]
	v_fma_f64 v[82:83], s[14:15], v[22:23], -v[82:83]
	v_fma_f64 v[84:85], s[16:17], v[22:23], v[84:85]
	v_add_co_u32 v102, vcc_lo, v104, v8
	v_fma_f64 v[78:79], s[14:15], v[30:31], -v[78:79]
	v_add_co_ci_u32_e64 v103, null, v105, v9, vcc_lo
	v_fma_f64 v[86:87], s[14:15], v[70:71], -v[86:87]
	v_fma_f64 v[88:89], s[16:17], v[70:71], v[88:89]
	v_fma_f64 v[90:91], s[14:15], v[62:63], -v[90:91]
	v_fma_f64 v[92:93], s[16:17], v[62:63], v[92:93]
	;; [unrolled: 2-line block ×3, first 2 shown]
	v_add_co_u32 v106, vcc_lo, v104, s0
	v_add_co_ci_u32_e64 v107, null, s1, v105, vcc_lo
	global_store_dwordx4 v[102:103], v[2:5], off
	v_fma_f64 v[2:3], s[14:15], v[42:43], -v[98:99]
	v_fma_f64 v[4:5], s[16:17], v[42:43], v[100:101]
	v_add_co_u32 v104, vcc_lo, v106, v8
	v_add_co_ci_u32_e64 v105, null, v107, v9, vcc_lo
	global_store_dwordx4 v[102:103], v[26:29], off offset:256
	global_store_dwordx4 v[102:103], v[78:81], off offset:512
	;; [unrolled: 1-line block ×3, first 2 shown]
	global_store_dwordx4 v[104:105], v[86:89], off
	global_store_dwordx4 v[104:105], v[90:93], off offset:256
	global_store_dwordx4 v[104:105], v[94:97], off offset:512
	v_mul_f64 v[26:27], s[16:17], v[68:69]
	v_mul_f64 v[28:29], s[14:15], v[68:69]
	;; [unrolled: 1-line block ×12, first 2 shown]
	global_store_dwordx4 v[104:105], v[2:5], off offset:768
	v_mul_f64 v[2:3], s[16:17], v[76:77]
	v_mul_f64 v[4:5], s[14:15], v[76:77]
	;; [unrolled: 1-line block ×4, first 2 shown]
	v_add_co_u32 v104, vcc_lo, v106, s0
	v_add_co_ci_u32_e64 v105, null, s1, v107, vcc_lo
	v_fma_f64 v[26:27], s[14:15], v[66:67], -v[26:27]
	v_fma_f64 v[28:29], s[16:17], v[66:67], v[28:29]
	v_fma_f64 v[78:79], s[14:15], v[56:57], -v[78:79]
	v_fma_f64 v[80:81], s[16:17], v[56:57], v[80:81]
	;; [unrolled: 2-line block ×6, first 2 shown]
	v_add_co_u32 v106, vcc_lo, v104, s0
	v_fma_f64 v[102:103], s[14:15], v[74:75], -v[2:3]
	v_fma_f64 v[2:3], s[16:17], v[74:75], v[4:5]
	v_fma_f64 v[98:99], s[14:15], v[10:11], -v[98:99]
	v_fma_f64 v[100:101], s[16:17], v[10:11], v[100:101]
	v_add_co_ci_u32_e64 v107, null, s1, v105, vcc_lo
	v_add_co_u32 v4, vcc_lo, v104, v8
	v_add_co_ci_u32_e64 v5, null, v105, v9, vcc_lo
	v_add_co_u32 v8, vcc_lo, v106, v8
	v_add_co_ci_u32_e64 v9, null, v107, v9, vcc_lo
	global_store_dwordx4 v[4:5], v[26:29], off
	global_store_dwordx4 v[4:5], v[78:81], off offset:256
	global_store_dwordx4 v[4:5], v[82:85], off offset:512
	;; [unrolled: 1-line block ×3, first 2 shown]
	global_store_dwordx4 v[8:9], v[90:93], off
	v_add_co_u32 v4, vcc_lo, 0x300, v8
	v_add_co_ci_u32_e64 v5, null, 0, v9, vcc_lo
	global_store_dwordx4 v[8:9], v[94:97], off offset:256
	global_store_dwordx4 v[8:9], v[98:101], off offset:512
	global_store_dwordx2 v[8:9], v[102:103], off offset:768
	s_cbranch_execz .LBB118_7
	s_branch .LBB118_8
.LBB118_6:
                                        ; implicit-def: $vgpr2_vgpr3
                                        ; implicit-def: $vgpr4_vgpr5
.LBB118_7:
	v_mul_lo_u32 v4, v7, s44
	v_mul_lo_u32 v5, v6, s45
	v_mad_u64_u32 v[2:3], null, v6, s44, 0
	s_mul_i32 s1, s47, s8
	s_mul_hi_u32 s4, s46, s8
	s_mul_i32 s0, s46, s8
	s_add_i32 s1, s4, s1
	v_mul_f64 v[26:27], s[16:17], v[52:53]
	s_lshl_b64 s[0:1], s[0:1], 4
	v_add3_u32 v3, v3, v5, v4
	s_add_u32 s0, s42, s0
	v_lshlrev_b64 v[4:5], 4, v[0:1]
	s_addc_u32 s1, s43, s1
	v_mul_f64 v[28:29], s[14:15], v[52:53]
	v_lshlrev_b64 v[2:3], 4, v[2:3]
	v_add_co_u32 v78, vcc_lo, s0, v2
	v_add_co_ci_u32_e64 v79, null, s1, v3, vcc_lo
	s_lshl_b64 s[0:1], s[44:45], 8
	v_add_co_u32 v8, vcc_lo, v78, v4
	v_add_co_ci_u32_e64 v9, null, v79, v5, vcc_lo
	v_fma_f64 v[26:27], s[14:15], v[48:49], -v[26:27]
	global_load_dwordx4 v[0:3], v[8:9], off
	v_fma_f64 v[28:29], s[16:17], v[48:49], v[28:29]
	s_waitcnt vmcnt(0)
	v_mul_f64 v[52:53], s[40:41], v[2:3]
	v_mul_f64 v[2:3], s[38:39], v[2:3]
	v_fma_f64 v[48:49], s[38:39], v[0:1], -v[52:53]
	v_fma_f64 v[2:3], s[40:41], v[0:1], v[2:3]
	v_mul_lo_u32 v0, v7, s50
	v_mul_lo_u32 v1, v6, s51
	v_mad_u64_u32 v[6:7], null, v6, s50, 0
	v_add3_u32 v7, v7, v1, v0
	v_lshlrev_b64 v[6:7], 4, v[6:7]
	v_add_f64 v[0:1], v[26:27], v[48:49]
	v_add_f64 v[2:3], v[28:29], v[2:3]
	v_add_co_u32 v48, vcc_lo, s2, v6
	v_add_co_ci_u32_e64 v49, null, s3, v7, vcc_lo
	v_mul_f64 v[26:27], s[16:17], v[36:37]
	v_add_co_u32 v6, vcc_lo, v48, v4
	v_add_co_ci_u32_e64 v7, null, v49, v5, vcc_lo
	v_mul_f64 v[28:29], s[14:15], v[36:37]
	s_lshl_b64 s[2:3], s[50:51], 8
	global_store_dwordx4 v[6:7], v[0:3], off
	global_load_dwordx4 v[0:3], v[8:9], off offset:256
	v_fma_f64 v[26:27], s[14:15], v[34:35], -v[26:27]
	v_fma_f64 v[28:29], s[16:17], v[34:35], v[28:29]
	s_waitcnt vmcnt(0)
	v_mul_f64 v[36:37], s[40:41], v[2:3]
	v_mul_f64 v[2:3], s[38:39], v[2:3]
	v_fma_f64 v[34:35], s[38:39], v[0:1], -v[36:37]
	v_fma_f64 v[2:3], s[40:41], v[0:1], v[2:3]
	v_add_f64 v[0:1], v[26:27], v[34:35]
	v_add_f64 v[2:3], v[28:29], v[2:3]
	v_mul_f64 v[26:27], s[16:17], v[32:33]
	v_mul_f64 v[28:29], s[14:15], v[32:33]
	global_store_dwordx4 v[6:7], v[0:3], off offset:256
	global_load_dwordx4 v[0:3], v[8:9], off offset:512
	v_fma_f64 v[26:27], s[14:15], v[30:31], -v[26:27]
	v_fma_f64 v[28:29], s[16:17], v[30:31], v[28:29]
	s_waitcnt vmcnt(0)
	v_mul_f64 v[32:33], s[40:41], v[2:3]
	v_mul_f64 v[2:3], s[38:39], v[2:3]
	v_fma_f64 v[30:31], s[38:39], v[0:1], -v[32:33]
	v_fma_f64 v[2:3], s[40:41], v[0:1], v[2:3]
	v_add_f64 v[0:1], v[26:27], v[30:31]
	v_add_f64 v[2:3], v[28:29], v[2:3]
	v_add_co_u32 v28, vcc_lo, v78, s0
	v_add_co_ci_u32_e64 v29, null, s1, v79, vcc_lo
	global_store_dwordx4 v[6:7], v[0:3], off offset:512
	global_load_dwordx4 v[0:3], v[8:9], off offset:768
	v_mul_f64 v[8:9], s[16:17], v[24:25]
	v_mul_f64 v[24:25], s[14:15], v[24:25]
	v_fma_f64 v[8:9], s[14:15], v[22:23], -v[8:9]
	v_fma_f64 v[22:23], s[16:17], v[22:23], v[24:25]
	s_waitcnt vmcnt(0)
	v_mul_f64 v[26:27], s[40:41], v[2:3]
	v_mul_f64 v[2:3], s[38:39], v[2:3]
	v_fma_f64 v[24:25], s[38:39], v[0:1], -v[26:27]
	v_fma_f64 v[2:3], s[40:41], v[0:1], v[2:3]
	v_add_f64 v[0:1], v[8:9], v[24:25]
	v_add_f64 v[2:3], v[22:23], v[2:3]
	v_add_co_u32 v8, vcc_lo, v28, v4
	v_add_co_ci_u32_e64 v9, null, v29, v5, vcc_lo
	v_mul_f64 v[22:23], s[14:15], v[72:73]
	v_add_co_u32 v30, vcc_lo, v48, s2
	v_add_co_ci_u32_e64 v31, null, s3, v49, vcc_lo
	global_store_dwordx4 v[6:7], v[0:3], off offset:768
	global_load_dwordx4 v[0:3], v[8:9], off
	v_mul_f64 v[6:7], s[16:17], v[72:73]
	v_fma_f64 v[22:23], s[16:17], v[70:71], v[22:23]
	v_fma_f64 v[6:7], s[14:15], v[70:71], -v[6:7]
	s_waitcnt vmcnt(0)
	v_mul_f64 v[24:25], s[40:41], v[2:3]
	v_mul_f64 v[2:3], s[38:39], v[2:3]
	v_fma_f64 v[24:25], s[38:39], v[0:1], -v[24:25]
	v_fma_f64 v[2:3], s[40:41], v[0:1], v[2:3]
	v_add_f64 v[0:1], v[6:7], v[24:25]
	v_add_f64 v[2:3], v[22:23], v[2:3]
	v_add_co_u32 v6, vcc_lo, v30, v4
	v_add_co_ci_u32_e64 v7, null, v31, v5, vcc_lo
	v_mul_f64 v[22:23], s[16:17], v[64:65]
	v_mul_f64 v[24:25], s[14:15], v[64:65]
	v_add_co_u32 v28, vcc_lo, v28, s0
	v_add_co_ci_u32_e64 v29, null, s1, v29, vcc_lo
	global_store_dwordx4 v[6:7], v[0:3], off
	global_load_dwordx4 v[0:3], v[8:9], off offset:256
	v_fma_f64 v[22:23], s[14:15], v[62:63], -v[22:23]
	v_fma_f64 v[24:25], s[16:17], v[62:63], v[24:25]
	s_waitcnt vmcnt(0)
	v_mul_f64 v[26:27], s[40:41], v[2:3]
	v_mul_f64 v[2:3], s[38:39], v[2:3]
	v_fma_f64 v[26:27], s[38:39], v[0:1], -v[26:27]
	v_fma_f64 v[2:3], s[40:41], v[0:1], v[2:3]
	v_add_f64 v[0:1], v[22:23], v[26:27]
	v_add_f64 v[2:3], v[24:25], v[2:3]
	v_mul_f64 v[22:23], s[16:17], v[58:59]
	v_mul_f64 v[24:25], s[14:15], v[58:59]
	global_store_dwordx4 v[6:7], v[0:3], off offset:256
	global_load_dwordx4 v[0:3], v[8:9], off offset:512
	v_fma_f64 v[22:23], s[14:15], v[54:55], -v[22:23]
	v_fma_f64 v[24:25], s[16:17], v[54:55], v[24:25]
	s_waitcnt vmcnt(0)
	v_mul_f64 v[26:27], s[40:41], v[2:3]
	v_mul_f64 v[2:3], s[38:39], v[2:3]
	v_fma_f64 v[26:27], s[38:39], v[0:1], -v[26:27]
	v_fma_f64 v[2:3], s[40:41], v[0:1], v[2:3]
	v_add_f64 v[0:1], v[22:23], v[26:27]
	v_add_f64 v[2:3], v[24:25], v[2:3]
	v_mul_f64 v[22:23], s[14:15], v[46:47]
	global_store_dwordx4 v[6:7], v[0:3], off offset:512
	global_load_dwordx4 v[0:3], v[8:9], off offset:768
	v_mul_f64 v[8:9], s[16:17], v[46:47]
	v_fma_f64 v[22:23], s[16:17], v[42:43], v[22:23]
	v_fma_f64 v[8:9], s[14:15], v[42:43], -v[8:9]
	s_waitcnt vmcnt(0)
	v_mul_f64 v[24:25], s[40:41], v[2:3]
	v_mul_f64 v[2:3], s[38:39], v[2:3]
	v_fma_f64 v[24:25], s[38:39], v[0:1], -v[24:25]
	v_fma_f64 v[2:3], s[40:41], v[0:1], v[2:3]
	v_add_f64 v[0:1], v[8:9], v[24:25]
	v_add_f64 v[2:3], v[22:23], v[2:3]
	v_add_co_u32 v8, vcc_lo, v28, v4
	v_add_co_ci_u32_e64 v9, null, v29, v5, vcc_lo
	v_mul_f64 v[22:23], s[14:15], v[68:69]
	v_add_co_u32 v30, vcc_lo, v30, s2
	v_add_co_ci_u32_e64 v31, null, s3, v31, vcc_lo
	global_store_dwordx4 v[6:7], v[0:3], off offset:768
	global_load_dwordx4 v[0:3], v[8:9], off
	v_mul_f64 v[6:7], s[16:17], v[68:69]
	v_fma_f64 v[22:23], s[16:17], v[66:67], v[22:23]
	v_fma_f64 v[6:7], s[14:15], v[66:67], -v[6:7]
	s_waitcnt vmcnt(0)
	v_mul_f64 v[24:25], s[40:41], v[2:3]
	v_mul_f64 v[2:3], s[38:39], v[2:3]
	v_fma_f64 v[24:25], s[38:39], v[0:1], -v[24:25]
	v_fma_f64 v[2:3], s[40:41], v[0:1], v[2:3]
	v_add_f64 v[0:1], v[6:7], v[24:25]
	v_add_f64 v[2:3], v[22:23], v[2:3]
	v_add_co_u32 v6, vcc_lo, v30, v4
	v_add_co_ci_u32_e64 v7, null, v31, v5, vcc_lo
	v_mul_f64 v[22:23], s[16:17], v[60:61]
	v_mul_f64 v[24:25], s[14:15], v[60:61]
	global_store_dwordx4 v[6:7], v[0:3], off
	global_load_dwordx4 v[0:3], v[8:9], off offset:256
	v_fma_f64 v[22:23], s[14:15], v[56:57], -v[22:23]
	v_fma_f64 v[24:25], s[16:17], v[56:57], v[24:25]
	s_waitcnt vmcnt(0)
	v_mul_f64 v[26:27], s[40:41], v[2:3]
	v_mul_f64 v[2:3], s[38:39], v[2:3]
	v_fma_f64 v[26:27], s[38:39], v[0:1], -v[26:27]
	v_fma_f64 v[2:3], s[40:41], v[0:1], v[2:3]
	v_add_f64 v[0:1], v[22:23], v[26:27]
	v_add_f64 v[2:3], v[24:25], v[2:3]
	v_mul_f64 v[22:23], s[16:17], v[50:51]
	v_mul_f64 v[24:25], s[14:15], v[50:51]
	global_store_dwordx4 v[6:7], v[0:3], off offset:256
	global_load_dwordx4 v[0:3], v[8:9], off offset:512
	v_fma_f64 v[22:23], s[14:15], v[44:45], -v[22:23]
	v_fma_f64 v[24:25], s[16:17], v[44:45], v[24:25]
	s_waitcnt vmcnt(0)
	v_mul_f64 v[26:27], s[40:41], v[2:3]
	v_mul_f64 v[2:3], s[38:39], v[2:3]
	v_fma_f64 v[26:27], s[38:39], v[0:1], -v[26:27]
	v_fma_f64 v[2:3], s[40:41], v[0:1], v[2:3]
	v_add_f64 v[0:1], v[22:23], v[26:27]
	v_add_f64 v[2:3], v[24:25], v[2:3]
	v_mul_f64 v[22:23], s[14:15], v[40:41]
	global_store_dwordx4 v[6:7], v[0:3], off offset:512
	global_load_dwordx4 v[0:3], v[8:9], off offset:768
	v_mul_f64 v[8:9], s[16:17], v[40:41]
	v_fma_f64 v[22:23], s[16:17], v[38:39], v[22:23]
	v_fma_f64 v[8:9], s[14:15], v[38:39], -v[8:9]
	s_waitcnt vmcnt(0)
	v_mul_f64 v[24:25], s[40:41], v[2:3]
	v_mul_f64 v[2:3], s[38:39], v[2:3]
	v_fma_f64 v[24:25], s[38:39], v[0:1], -v[24:25]
	v_fma_f64 v[2:3], s[40:41], v[0:1], v[2:3]
	v_add_f64 v[0:1], v[8:9], v[24:25]
	v_add_f64 v[2:3], v[22:23], v[2:3]
	v_add_co_u32 v8, vcc_lo, v28, s0
	v_add_co_ci_u32_e64 v9, null, s1, v29, vcc_lo
	v_add_co_u32 v8, vcc_lo, v8, v4
	v_add_co_ci_u32_e64 v9, null, v9, v5, vcc_lo
	global_store_dwordx4 v[6:7], v[0:3], off offset:768
	global_load_dwordx4 v[0:3], v[8:9], off
	v_mul_f64 v[6:7], s[16:17], v[20:21]
	v_mul_f64 v[20:21], s[14:15], v[20:21]
	v_fma_f64 v[6:7], s[14:15], v[18:19], -v[6:7]
	v_fma_f64 v[18:19], s[16:17], v[18:19], v[20:21]
	s_waitcnt vmcnt(0)
	v_mul_f64 v[22:23], s[40:41], v[2:3]
	v_mul_f64 v[2:3], s[38:39], v[2:3]
	v_fma_f64 v[20:21], s[38:39], v[0:1], -v[22:23]
	v_fma_f64 v[2:3], s[40:41], v[0:1], v[2:3]
	v_add_f64 v[0:1], v[6:7], v[20:21]
	v_add_f64 v[2:3], v[18:19], v[2:3]
	v_add_co_u32 v6, vcc_lo, v30, s2
	v_add_co_ci_u32_e64 v7, null, s3, v31, vcc_lo
	v_add_co_u32 v6, vcc_lo, v6, v4
	v_add_co_ci_u32_e64 v7, null, v7, v5, vcc_lo
	v_mul_f64 v[4:5], s[16:17], v[16:17]
	v_mul_f64 v[16:17], s[14:15], v[16:17]
	global_store_dwordx4 v[6:7], v[0:3], off
	global_load_dwordx4 v[0:3], v[8:9], off offset:256
	v_fma_f64 v[4:5], s[14:15], v[14:15], -v[4:5]
	v_fma_f64 v[14:15], s[16:17], v[14:15], v[16:17]
	s_waitcnt vmcnt(0)
	v_mul_f64 v[18:19], s[40:41], v[2:3]
	v_mul_f64 v[2:3], s[38:39], v[2:3]
	v_fma_f64 v[16:17], s[38:39], v[0:1], -v[18:19]
	v_fma_f64 v[2:3], s[40:41], v[0:1], v[2:3]
	v_add_f64 v[0:1], v[4:5], v[16:17]
	v_add_f64 v[2:3], v[14:15], v[2:3]
	v_mul_f64 v[4:5], s[16:17], v[12:13]
	v_mul_f64 v[12:13], s[14:15], v[12:13]
	global_store_dwordx4 v[6:7], v[0:3], off offset:256
	global_load_dwordx4 v[0:3], v[8:9], off offset:512
	v_fma_f64 v[4:5], s[14:15], v[10:11], -v[4:5]
	v_fma_f64 v[10:11], s[16:17], v[10:11], v[12:13]
	s_waitcnt vmcnt(0)
	v_mul_f64 v[14:15], s[40:41], v[2:3]
	v_mul_f64 v[2:3], s[38:39], v[2:3]
	v_fma_f64 v[12:13], s[38:39], v[0:1], -v[14:15]
	v_fma_f64 v[2:3], s[40:41], v[0:1], v[2:3]
	v_add_f64 v[0:1], v[4:5], v[12:13]
	v_add_f64 v[2:3], v[10:11], v[2:3]
	v_mul_f64 v[4:5], s[16:17], v[76:77]
	global_store_dwordx4 v[6:7], v[0:3], off offset:512
	global_load_dwordx4 v[0:3], v[8:9], off offset:768
	v_mul_f64 v[8:9], s[14:15], v[76:77]
	v_fma_f64 v[4:5], s[14:15], v[74:75], -v[4:5]
	v_fma_f64 v[8:9], s[16:17], v[74:75], v[8:9]
	s_waitcnt vmcnt(0)
	v_mul_f64 v[10:11], s[40:41], v[2:3]
	v_mul_f64 v[2:3], s[38:39], v[2:3]
	v_fma_f64 v[10:11], s[38:39], v[0:1], -v[10:11]
	v_fma_f64 v[0:1], s[40:41], v[0:1], v[2:3]
	v_add_f64 v[10:11], v[4:5], v[10:11]
	v_add_f64 v[2:3], v[8:9], v[0:1]
	v_add_co_u32 v4, vcc_lo, 0x300, v6
	v_add_co_ci_u32_e64 v5, null, 0, v7, vcc_lo
	global_store_dwordx2 v[6:7], v[10:11], off offset:768
.LBB118_8:
	global_store_dwordx2 v[4:5], v[2:3], off offset:8
	s_endpgm
	.section	.rodata,"a",@progbits
	.p2align	6, 0x0
	.amdhsa_kernel _ZN12_GLOBAL__N_127rocblas_gemm_batched_kernelI19rocblas_complex_numIdELi16ELi16ELi64ELi64ELi4ELi64ELi4ELi4ELi64ELc78ELc78EKS2_S3_S2_EEvlllT_PT11_llS6_llS4_PT12_llPT13_lli
		.amdhsa_group_segment_fixed_size 8192
		.amdhsa_private_segment_fixed_size 0
		.amdhsa_kernarg_size 156
		.amdhsa_user_sgpr_count 6
		.amdhsa_user_sgpr_private_segment_buffer 1
		.amdhsa_user_sgpr_dispatch_ptr 0
		.amdhsa_user_sgpr_queue_ptr 0
		.amdhsa_user_sgpr_kernarg_segment_ptr 1
		.amdhsa_user_sgpr_dispatch_id 0
		.amdhsa_user_sgpr_flat_scratch_init 0
		.amdhsa_user_sgpr_private_segment_size 0
		.amdhsa_wavefront_size32 1
		.amdhsa_uses_dynamic_stack 0
		.amdhsa_system_sgpr_private_segment_wavefront_offset 0
		.amdhsa_system_sgpr_workgroup_id_x 1
		.amdhsa_system_sgpr_workgroup_id_y 1
		.amdhsa_system_sgpr_workgroup_id_z 1
		.amdhsa_system_sgpr_workgroup_info 0
		.amdhsa_system_vgpr_workitem_id 1
		.amdhsa_next_free_vgpr 138
		.amdhsa_next_free_sgpr 52
		.amdhsa_reserve_vcc 1
		.amdhsa_reserve_flat_scratch 0
		.amdhsa_float_round_mode_32 0
		.amdhsa_float_round_mode_16_64 0
		.amdhsa_float_denorm_mode_32 3
		.amdhsa_float_denorm_mode_16_64 3
		.amdhsa_dx10_clamp 1
		.amdhsa_ieee_mode 1
		.amdhsa_fp16_overflow 0
		.amdhsa_workgroup_processor_mode 1
		.amdhsa_memory_ordered 1
		.amdhsa_forward_progress 1
		.amdhsa_shared_vgpr_count 0
		.amdhsa_exception_fp_ieee_invalid_op 0
		.amdhsa_exception_fp_denorm_src 0
		.amdhsa_exception_fp_ieee_div_zero 0
		.amdhsa_exception_fp_ieee_overflow 0
		.amdhsa_exception_fp_ieee_underflow 0
		.amdhsa_exception_fp_ieee_inexact 0
		.amdhsa_exception_int_div_zero 0
	.end_amdhsa_kernel
	.section	.text._ZN12_GLOBAL__N_127rocblas_gemm_batched_kernelI19rocblas_complex_numIdELi16ELi16ELi64ELi64ELi4ELi64ELi4ELi4ELi64ELc78ELc78EKS2_S3_S2_EEvlllT_PT11_llS6_llS4_PT12_llPT13_lli,"axG",@progbits,_ZN12_GLOBAL__N_127rocblas_gemm_batched_kernelI19rocblas_complex_numIdELi16ELi16ELi64ELi64ELi4ELi64ELi4ELi4ELi64ELc78ELc78EKS2_S3_S2_EEvlllT_PT11_llS6_llS4_PT12_llPT13_lli,comdat
.Lfunc_end118:
	.size	_ZN12_GLOBAL__N_127rocblas_gemm_batched_kernelI19rocblas_complex_numIdELi16ELi16ELi64ELi64ELi4ELi64ELi4ELi4ELi64ELc78ELc78EKS2_S3_S2_EEvlllT_PT11_llS6_llS4_PT12_llPT13_lli, .Lfunc_end118-_ZN12_GLOBAL__N_127rocblas_gemm_batched_kernelI19rocblas_complex_numIdELi16ELi16ELi64ELi64ELi4ELi64ELi4ELi4ELi64ELc78ELc78EKS2_S3_S2_EEvlllT_PT11_llS6_llS4_PT12_llPT13_lli
                                        ; -- End function
	.set _ZN12_GLOBAL__N_127rocblas_gemm_batched_kernelI19rocblas_complex_numIdELi16ELi16ELi64ELi64ELi4ELi64ELi4ELi4ELi64ELc78ELc78EKS2_S3_S2_EEvlllT_PT11_llS6_llS4_PT12_llPT13_lli.num_vgpr, 138
	.set _ZN12_GLOBAL__N_127rocblas_gemm_batched_kernelI19rocblas_complex_numIdELi16ELi16ELi64ELi64ELi4ELi64ELi4ELi4ELi64ELc78ELc78EKS2_S3_S2_EEvlllT_PT11_llS6_llS4_PT12_llPT13_lli.num_agpr, 0
	.set _ZN12_GLOBAL__N_127rocblas_gemm_batched_kernelI19rocblas_complex_numIdELi16ELi16ELi64ELi64ELi4ELi64ELi4ELi4ELi64ELc78ELc78EKS2_S3_S2_EEvlllT_PT11_llS6_llS4_PT12_llPT13_lli.numbered_sgpr, 52
	.set _ZN12_GLOBAL__N_127rocblas_gemm_batched_kernelI19rocblas_complex_numIdELi16ELi16ELi64ELi64ELi4ELi64ELi4ELi4ELi64ELc78ELc78EKS2_S3_S2_EEvlllT_PT11_llS6_llS4_PT12_llPT13_lli.num_named_barrier, 0
	.set _ZN12_GLOBAL__N_127rocblas_gemm_batched_kernelI19rocblas_complex_numIdELi16ELi16ELi64ELi64ELi4ELi64ELi4ELi4ELi64ELc78ELc78EKS2_S3_S2_EEvlllT_PT11_llS6_llS4_PT12_llPT13_lli.private_seg_size, 0
	.set _ZN12_GLOBAL__N_127rocblas_gemm_batched_kernelI19rocblas_complex_numIdELi16ELi16ELi64ELi64ELi4ELi64ELi4ELi4ELi64ELc78ELc78EKS2_S3_S2_EEvlllT_PT11_llS6_llS4_PT12_llPT13_lli.uses_vcc, 1
	.set _ZN12_GLOBAL__N_127rocblas_gemm_batched_kernelI19rocblas_complex_numIdELi16ELi16ELi64ELi64ELi4ELi64ELi4ELi4ELi64ELc78ELc78EKS2_S3_S2_EEvlllT_PT11_llS6_llS4_PT12_llPT13_lli.uses_flat_scratch, 0
	.set _ZN12_GLOBAL__N_127rocblas_gemm_batched_kernelI19rocblas_complex_numIdELi16ELi16ELi64ELi64ELi4ELi64ELi4ELi4ELi64ELc78ELc78EKS2_S3_S2_EEvlllT_PT11_llS6_llS4_PT12_llPT13_lli.has_dyn_sized_stack, 0
	.set _ZN12_GLOBAL__N_127rocblas_gemm_batched_kernelI19rocblas_complex_numIdELi16ELi16ELi64ELi64ELi4ELi64ELi4ELi4ELi64ELc78ELc78EKS2_S3_S2_EEvlllT_PT11_llS6_llS4_PT12_llPT13_lli.has_recursion, 0
	.set _ZN12_GLOBAL__N_127rocblas_gemm_batched_kernelI19rocblas_complex_numIdELi16ELi16ELi64ELi64ELi4ELi64ELi4ELi4ELi64ELc78ELc78EKS2_S3_S2_EEvlllT_PT11_llS6_llS4_PT12_llPT13_lli.has_indirect_call, 0
	.section	.AMDGPU.csdata,"",@progbits
; Kernel info:
; codeLenInByte = 7376
; TotalNumSgprs: 54
; NumVgprs: 138
; ScratchSize: 0
; MemoryBound: 0
; FloatMode: 240
; IeeeMode: 1
; LDSByteSize: 8192 bytes/workgroup (compile time only)
; SGPRBlocks: 0
; VGPRBlocks: 17
; NumSGPRsForWavesPerEU: 54
; NumVGPRsForWavesPerEU: 138
; Occupancy: 7
; WaveLimiterHint : 1
; COMPUTE_PGM_RSRC2:SCRATCH_EN: 0
; COMPUTE_PGM_RSRC2:USER_SGPR: 6
; COMPUTE_PGM_RSRC2:TRAP_HANDLER: 0
; COMPUTE_PGM_RSRC2:TGID_X_EN: 1
; COMPUTE_PGM_RSRC2:TGID_Y_EN: 1
; COMPUTE_PGM_RSRC2:TGID_Z_EN: 1
; COMPUTE_PGM_RSRC2:TIDIG_COMP_CNT: 1
	.section	.text._ZN12_GLOBAL__N_127rocblas_gemm_batched_kernelI19rocblas_complex_numIdELi16ELi16ELi64ELi64ELi4ELi64ELi4ELi4ELi64ELc84ELc78EKS2_S3_S2_EEvlllT_PT11_llS6_llS4_PT12_llPT13_lli,"axG",@progbits,_ZN12_GLOBAL__N_127rocblas_gemm_batched_kernelI19rocblas_complex_numIdELi16ELi16ELi64ELi64ELi4ELi64ELi4ELi4ELi64ELc84ELc78EKS2_S3_S2_EEvlllT_PT11_llS6_llS4_PT12_llPT13_lli,comdat
	.globl	_ZN12_GLOBAL__N_127rocblas_gemm_batched_kernelI19rocblas_complex_numIdELi16ELi16ELi64ELi64ELi4ELi64ELi4ELi4ELi64ELc84ELc78EKS2_S3_S2_EEvlllT_PT11_llS6_llS4_PT12_llPT13_lli ; -- Begin function _ZN12_GLOBAL__N_127rocblas_gemm_batched_kernelI19rocblas_complex_numIdELi16ELi16ELi64ELi64ELi4ELi64ELi4ELi4ELi64ELc84ELc78EKS2_S3_S2_EEvlllT_PT11_llS6_llS4_PT12_llPT13_lli
	.p2align	8
	.type	_ZN12_GLOBAL__N_127rocblas_gemm_batched_kernelI19rocblas_complex_numIdELi16ELi16ELi64ELi64ELi4ELi64ELi4ELi4ELi64ELc84ELc78EKS2_S3_S2_EEvlllT_PT11_llS6_llS4_PT12_llPT13_lli,@function
_ZN12_GLOBAL__N_127rocblas_gemm_batched_kernelI19rocblas_complex_numIdELi16ELi16ELi64ELi64ELi4ELi64ELi4ELi4ELi64ELc84ELc78EKS2_S3_S2_EEvlllT_PT11_llS6_llS4_PT12_llPT13_lli: ; @_ZN12_GLOBAL__N_127rocblas_gemm_batched_kernelI19rocblas_complex_numIdELi16ELi16ELi64ELi64ELi4ELi64ELi4ELi4ELi64ELc84ELc78EKS2_S3_S2_EEvlllT_PT11_llS6_llS4_PT12_llPT13_lli
; %bb.0:
	s_clause 0x1
	s_load_dwordx16 s[12:27], s[4:5], 0x10
	s_load_dwordx16 s[36:51], s[4:5], 0x50
	s_mov_b32 s2, s7
	s_ashr_i32 s7, s6, 31
	s_ashr_i32 s3, s2, 31
	s_lshl_b64 s[0:1], s[6:7], 6
	s_lshl_b64 s[2:3], s[2:3], 6
	s_waitcnt lgkmcnt(0)
	v_cmp_lt_i64_e64 s9, s[12:13], 1
	s_and_b32 vcc_lo, exec_lo, s9
	s_cbranch_vccnz .LBB119_3
; %bb.1:
	v_lshl_add_u32 v2, v1, 4, v0
	v_and_b32_e32 v4, 3, v0
	s_mul_hi_u32 s7, s22, s8
	v_mov_b32_e32 v76, 0
	v_mov_b32_e32 v74, 0
	v_and_b32_e32 v3, 63, v2
	v_lshrrev_b32_e32 v5, 2, v2
	v_lshlrev_b32_e32 v9, 4, v4
	v_lshrrev_b32_e32 v8, 6, v2
	v_mov_b32_e32 v12, 0
	v_add_co_u32 v6, s6, s0, v3
	v_add_co_ci_u32_e64 v7, null, s1, 0, s6
	v_lshlrev_b32_e32 v4, 4, v3
	v_mul_lo_u32 v10, s21, v6
	v_mad_u64_u32 v[2:3], null, s20, v6, 0
	v_mul_lo_u32 v7, s20, v7
	v_lshl_or_b32 v6, v5, 6, v9
	v_add_co_u32 v5, s6, v5, s2
	v_add_co_ci_u32_e64 v11, null, 0, s3, s6
	v_lshl_or_b32 v91, v8, 10, v4
	v_add_nc_u32_e32 v92, 0x1000, v6
	v_add3_u32 v3, v3, v7, v10
	v_mul_lo_u32 v6, s27, v5
	v_mul_lo_u32 v7, s26, v11
	v_mad_u64_u32 v[4:5], null, s26, v5, 0
	s_mul_i32 s6, s23, s8
	v_lshlrev_b64 v[2:3], 4, v[2:3]
	s_add_i32 s7, s7, s6
	s_mul_i32 s6, s22, s8
	v_lshlrev_b32_e32 v8, 4, v8
	s_lshl_b64 s[6:7], s[6:7], 4
	v_add3_u32 v5, v5, v7, v6
	v_add_co_u32 v6, vcc_lo, v2, s6
	v_add_co_ci_u32_e64 v7, null, s7, v3, vcc_lo
	s_mul_i32 s6, s37, s8
	s_mul_hi_u32 s7, s36, s8
	v_lshlrev_b64 v[2:3], 4, v[4:5]
	s_add_i32 s7, s7, s6
	s_mul_i32 s6, s36, s8
	v_add_co_u32 v4, vcc_lo, v6, v8
	s_lshl_b64 s[6:7], s[6:7], 4
	v_add_co_ci_u32_e64 v5, null, 0, v7, vcc_lo
	v_add_co_u32 v2, vcc_lo, v2, s6
	v_add_co_ci_u32_e64 v3, null, s7, v3, vcc_lo
	v_add_co_u32 v26, vcc_lo, s18, v4
	;; [unrolled: 2-line block ×3, first 2 shown]
	v_add_co_ci_u32_e64 v3, null, 0, v3, vcc_lo
	v_mov_b32_e32 v10, 0
	v_add_co_u32 v28, vcc_lo, s24, v2
	v_mov_b32_e32 v16, 0
	v_mov_b32_e32 v14, 0
	v_mov_b32_e32 v20, 0
	v_mov_b32_e32 v18, 0
	v_mov_b32_e32 v40, 0
	v_mov_b32_e32 v38, 0
	v_mov_b32_e32 v50, 0
	v_mov_b32_e32 v44, 0
	v_mov_b32_e32 v60, 0
	v_mov_b32_e32 v56, 0
	v_mov_b32_e32 v68, 0
	v_mov_b32_e32 v66, 0
	v_mov_b32_e32 v46, 0
	v_mov_b32_e32 v42, 0
	v_mov_b32_e32 v58, 0
	v_mov_b32_e32 v54, 0
	v_mov_b32_e32 v64, 0
	v_mov_b32_e32 v62, 0
	v_mov_b32_e32 v72, 0
	v_mov_b32_e32 v70, 0
	v_mov_b32_e32 v24, 0
	v_mov_b32_e32 v22, 0
	v_mov_b32_e32 v32, 0
	v_mov_b32_e32 v30, 0
	v_mov_b32_e32 v36, 0
	v_mov_b32_e32 v34, 0
	v_mov_b32_e32 v52, 0
	v_mov_b32_e32 v48, 0
	v_lshlrev_b32_e32 v90, 4, v0
	v_lshl_add_u32 v93, v1, 6, 0x1000
	v_mov_b32_e32 v77, 0
	v_mov_b32_e32 v75, 0
	;; [unrolled: 1-line block ×32, first 2 shown]
	v_add_co_ci_u32_e64 v29, null, s25, v3, vcc_lo
	s_mov_b64 s[6:7], 0
.LBB119_2:                              ; =>This Inner Loop Header: Depth=1
	global_load_dwordx4 v[2:5], v[26:27], off
	s_add_u32 s6, s6, 4
	s_addc_u32 s7, s7, 0
	v_add_co_u32 v26, vcc_lo, v26, 64
	v_cmp_lt_i64_e64 s9, s[6:7], s[12:13]
	v_add_co_ci_u32_e64 v27, null, 0, v27, vcc_lo
	s_waitcnt vmcnt(0)
	ds_write2_b64 v91, v[2:3], v[4:5] offset1:1
	global_load_dwordx4 v[2:5], v[28:29], off
	v_add_co_u32 v28, vcc_lo, v28, 64
	v_add_co_ci_u32_e64 v29, null, 0, v29, vcc_lo
	s_and_b32 vcc_lo, exec_lo, s9
	s_waitcnt vmcnt(0)
	ds_write2_b64 v92, v[2:3], v[4:5] offset1:1
	s_waitcnt lgkmcnt(0)
	s_barrier
	buffer_gl0_inv
	ds_read_b128 v[78:81], v93
	ds_read_b128 v[82:85], v93 offset:16
	ds_read_b128 v[6:9], v93 offset:32
	;; [unrolled: 1-line block ×3, first 2 shown]
	ds_read_b128 v[86:89], v90
	s_waitcnt lgkmcnt(0)
	v_mul_f64 v[94:95], v[80:81], v[88:89]
	v_mul_f64 v[96:97], v[78:79], v[88:89]
	v_fma_f64 v[94:95], v[78:79], v[86:87], -v[94:95]
	v_fma_f64 v[96:97], v[80:81], v[86:87], v[96:97]
	v_add_f64 v[98:99], v[48:49], v[94:95]
	v_add_f64 v[100:101], v[96:97], v[52:53]
	ds_read_b128 v[94:97], v90 offset:256
	s_waitcnt lgkmcnt(0)
	v_mul_f64 v[48:49], v[80:81], v[96:97]
	v_mul_f64 v[52:53], v[78:79], v[96:97]
	v_fma_f64 v[48:49], v[78:79], v[94:95], -v[48:49]
	v_fma_f64 v[52:53], v[80:81], v[94:95], v[52:53]
	v_add_f64 v[102:103], v[34:35], v[48:49]
	v_add_f64 v[104:105], v[52:53], v[36:37]
	ds_read_b128 v[34:37], v90 offset:512
	;; [unrolled: 8-line block ×4, first 2 shown]
	s_waitcnt lgkmcnt(0)
	v_mul_f64 v[48:49], v[24:25], v[88:89]
	v_mul_f64 v[52:53], v[22:23], v[88:89]
	v_fma_f64 v[48:49], v[22:23], v[86:87], -v[48:49]
	v_fma_f64 v[52:53], v[24:25], v[86:87], v[52:53]
	v_add_f64 v[70:71], v[70:71], v[48:49]
	v_mul_f64 v[48:49], v[24:25], v[96:97]
	v_add_f64 v[72:73], v[52:53], v[72:73]
	v_mul_f64 v[52:53], v[22:23], v[96:97]
	v_fma_f64 v[48:49], v[22:23], v[94:95], -v[48:49]
	v_fma_f64 v[52:53], v[24:25], v[94:95], v[52:53]
	v_add_f64 v[110:111], v[62:63], v[48:49]
	v_mul_f64 v[48:49], v[24:25], v[36:37]
	v_add_f64 v[112:113], v[52:53], v[64:65]
	;; [unrolled: 6-line block ×3, first 2 shown]
	v_fma_f64 v[48:49], v[22:23], v[30:31], -v[48:49]
	v_mul_f64 v[22:23], v[22:23], v[32:33]
	v_add_f64 v[118:119], v[42:43], v[48:49]
	v_fma_f64 v[22:23], v[24:25], v[30:31], v[22:23]
	v_add_f64 v[120:121], v[22:23], v[46:47]
	ds_read_b128 v[22:25], v93 offset:2048
	s_waitcnt lgkmcnt(0)
	v_mul_f64 v[42:43], v[24:25], v[88:89]
	v_mul_f64 v[46:47], v[22:23], v[88:89]
	v_fma_f64 v[42:43], v[22:23], v[86:87], -v[42:43]
	v_fma_f64 v[46:47], v[24:25], v[86:87], v[46:47]
	v_add_f64 v[122:123], v[66:67], v[42:43]
	v_mul_f64 v[42:43], v[24:25], v[96:97]
	v_add_f64 v[124:125], v[46:47], v[68:69]
	v_mul_f64 v[46:47], v[22:23], v[96:97]
	v_fma_f64 v[42:43], v[22:23], v[94:95], -v[42:43]
	v_fma_f64 v[46:47], v[24:25], v[94:95], v[46:47]
	v_add_f64 v[126:127], v[56:57], v[42:43]
	v_mul_f64 v[42:43], v[24:25], v[36:37]
	v_add_f64 v[128:129], v[46:47], v[60:61]
	;; [unrolled: 6-line block ×3, first 2 shown]
	v_fma_f64 v[42:43], v[22:23], v[30:31], -v[42:43]
	v_mul_f64 v[22:23], v[22:23], v[32:33]
	v_add_f64 v[134:135], v[38:39], v[42:43]
	v_fma_f64 v[22:23], v[24:25], v[30:31], v[22:23]
	v_add_f64 v[136:137], v[22:23], v[40:41]
	ds_read_b128 v[22:25], v93 offset:3072
	s_waitcnt lgkmcnt(0)
	v_mul_f64 v[38:39], v[24:25], v[88:89]
	v_mul_f64 v[40:41], v[22:23], v[88:89]
	v_fma_f64 v[38:39], v[22:23], v[86:87], -v[38:39]
	v_fma_f64 v[40:41], v[24:25], v[86:87], v[40:41]
	v_add_f64 v[58:59], v[18:19], v[38:39]
	v_add_f64 v[60:61], v[40:41], v[20:21]
	v_mul_f64 v[18:19], v[24:25], v[96:97]
	v_mul_f64 v[20:21], v[22:23], v[96:97]
	v_fma_f64 v[18:19], v[22:23], v[94:95], -v[18:19]
	v_fma_f64 v[20:21], v[24:25], v[94:95], v[20:21]
	v_add_f64 v[54:55], v[14:15], v[18:19]
	v_add_f64 v[56:57], v[20:21], v[16:17]
	v_mul_f64 v[14:15], v[24:25], v[36:37]
	v_mul_f64 v[16:17], v[22:23], v[36:37]
	ds_read_b128 v[18:21], v90 offset:1280
	v_fma_f64 v[14:15], v[22:23], v[34:35], -v[14:15]
	v_fma_f64 v[16:17], v[24:25], v[34:35], v[16:17]
	v_add_f64 v[50:51], v[10:11], v[14:15]
	v_add_f64 v[52:53], v[16:17], v[12:13]
	v_mul_f64 v[10:11], v[24:25], v[32:33]
	v_mul_f64 v[12:13], v[22:23], v[32:33]
	ds_read_b128 v[14:17], v90 offset:1536
	v_fma_f64 v[10:11], v[22:23], v[30:31], -v[10:11]
	v_fma_f64 v[12:13], v[24:25], v[30:31], v[12:13]
	ds_read_b128 v[22:25], v90 offset:1024
	v_add_f64 v[46:47], v[74:75], v[10:11]
	v_add_f64 v[48:49], v[12:13], v[76:77]
	s_waitcnt lgkmcnt(0)
	v_mul_f64 v[10:11], v[84:85], v[24:25]
	v_mul_f64 v[12:13], v[82:83], v[24:25]
	ds_read_b128 v[74:77], v93 offset:1040
	v_fma_f64 v[10:11], v[82:83], v[22:23], -v[10:11]
	v_fma_f64 v[12:13], v[84:85], v[22:23], v[12:13]
	s_waitcnt lgkmcnt(0)
	v_mul_f64 v[62:63], v[76:77], v[24:25]
	v_mul_f64 v[64:65], v[74:75], v[24:25]
	;; [unrolled: 1-line block ×4, first 2 shown]
	v_add_f64 v[42:43], v[98:99], v[10:11]
	v_add_f64 v[44:45], v[12:13], v[100:101]
	v_mul_f64 v[10:11], v[84:85], v[20:21]
	v_mul_f64 v[12:13], v[82:83], v[20:21]
	v_fma_f64 v[62:63], v[74:75], v[22:23], -v[62:63]
	v_fma_f64 v[64:65], v[76:77], v[22:23], v[64:65]
	v_fma_f64 v[66:67], v[74:75], v[18:19], -v[66:67]
	v_fma_f64 v[68:69], v[76:77], v[18:19], v[68:69]
	;; [unrolled: 2-line block ×3, first 2 shown]
	v_add_f64 v[62:63], v[70:71], v[62:63]
	v_mul_f64 v[70:71], v[76:77], v[16:17]
	v_add_f64 v[64:65], v[64:65], v[72:73]
	v_mul_f64 v[72:73], v[74:75], v[16:17]
	v_add_f64 v[66:67], v[110:111], v[66:67]
	v_add_f64 v[68:69], v[68:69], v[112:113]
	;; [unrolled: 1-line block ×4, first 2 shown]
	v_mul_f64 v[10:11], v[84:85], v[16:17]
	v_mul_f64 v[12:13], v[82:83], v[16:17]
	v_fma_f64 v[70:71], v[74:75], v[14:15], -v[70:71]
	v_fma_f64 v[72:73], v[76:77], v[14:15], v[72:73]
	v_fma_f64 v[10:11], v[82:83], v[14:15], -v[10:11]
	v_fma_f64 v[12:13], v[84:85], v[14:15], v[12:13]
	v_add_f64 v[70:71], v[114:115], v[70:71]
	v_add_f64 v[72:73], v[72:73], v[116:117]
	v_add_f64 v[34:35], v[106:107], v[10:11]
	v_add_f64 v[36:37], v[12:13], v[108:109]
	ds_read_b128 v[10:13], v90 offset:1792
	s_waitcnt lgkmcnt(0)
	v_mul_f64 v[30:31], v[84:85], v[12:13]
	v_mul_f64 v[32:33], v[82:83], v[12:13]
	v_fma_f64 v[30:31], v[82:83], v[10:11], -v[30:31]
	v_fma_f64 v[32:33], v[84:85], v[10:11], v[32:33]
	v_add_f64 v[30:31], v[78:79], v[30:31]
	v_mul_f64 v[78:79], v[76:77], v[12:13]
	v_add_f64 v[32:33], v[32:33], v[80:81]
	v_fma_f64 v[78:79], v[74:75], v[10:11], -v[78:79]
	v_mul_f64 v[74:75], v[74:75], v[12:13]
	v_fma_f64 v[76:77], v[76:77], v[10:11], v[74:75]
	v_add_f64 v[74:75], v[118:119], v[78:79]
	ds_read_b128 v[78:81], v93 offset:2064
	s_waitcnt lgkmcnt(0)
	v_mul_f64 v[82:83], v[80:81], v[24:25]
	v_mul_f64 v[86:87], v[80:81], v[20:21]
	;; [unrolled: 1-line block ×7, first 2 shown]
	v_add_f64 v[76:77], v[76:77], v[120:121]
	v_fma_f64 v[82:83], v[78:79], v[22:23], -v[82:83]
	v_fma_f64 v[86:87], v[78:79], v[18:19], -v[86:87]
	;; [unrolled: 1-line block ×4, first 2 shown]
	v_mul_f64 v[78:79], v[78:79], v[12:13]
	v_fma_f64 v[84:85], v[80:81], v[22:23], v[84:85]
	v_fma_f64 v[88:89], v[80:81], v[18:19], v[88:89]
	;; [unrolled: 1-line block ×3, first 2 shown]
	v_add_f64 v[82:83], v[122:123], v[82:83]
	v_add_f64 v[86:87], v[126:127], v[86:87]
	;; [unrolled: 1-line block ×4, first 2 shown]
	v_fma_f64 v[78:79], v[80:81], v[10:11], v[78:79]
	v_add_f64 v[84:85], v[84:85], v[124:125]
	v_add_f64 v[88:89], v[88:89], v[128:129]
	;; [unrolled: 1-line block ×4, first 2 shown]
	ds_read_b128 v[78:81], v93 offset:3088
	s_waitcnt lgkmcnt(0)
	v_mul_f64 v[102:103], v[80:81], v[24:25]
	v_mul_f64 v[24:25], v[78:79], v[24:25]
	v_fma_f64 v[102:103], v[78:79], v[22:23], -v[102:103]
	v_fma_f64 v[22:23], v[80:81], v[22:23], v[24:25]
	v_add_f64 v[58:59], v[58:59], v[102:103]
	v_add_f64 v[60:61], v[22:23], v[60:61]
	v_mul_f64 v[22:23], v[80:81], v[20:21]
	v_mul_f64 v[20:21], v[78:79], v[20:21]
	v_fma_f64 v[22:23], v[78:79], v[18:19], -v[22:23]
	v_fma_f64 v[18:19], v[80:81], v[18:19], v[20:21]
	v_add_f64 v[54:55], v[54:55], v[22:23]
	v_add_f64 v[56:57], v[18:19], v[56:57]
	;; [unrolled: 6-line block ×4, first 2 shown]
	ds_read_b128 v[10:13], v90 offset:2048
	s_waitcnt lgkmcnt(0)
	v_mul_f64 v[14:15], v[8:9], v[12:13]
	v_mul_f64 v[16:17], v[6:7], v[12:13]
	v_fma_f64 v[14:15], v[6:7], v[10:11], -v[14:15]
	v_fma_f64 v[16:17], v[8:9], v[10:11], v[16:17]
	v_add_f64 v[42:43], v[42:43], v[14:15]
	v_add_f64 v[44:45], v[16:17], v[44:45]
	ds_read_b128 v[14:17], v90 offset:2304
	s_waitcnt lgkmcnt(0)
	v_mul_f64 v[18:19], v[8:9], v[16:17]
	v_mul_f64 v[20:21], v[6:7], v[16:17]
	v_fma_f64 v[18:19], v[6:7], v[14:15], -v[18:19]
	v_fma_f64 v[20:21], v[8:9], v[14:15], v[20:21]
	v_add_f64 v[38:39], v[38:39], v[18:19]
	v_add_f64 v[40:41], v[20:21], v[40:41]
	;; [unrolled: 8-line block ×3, first 2 shown]
	ds_read_b128 v[22:25], v90 offset:2816
	s_waitcnt lgkmcnt(0)
	v_mul_f64 v[34:35], v[8:9], v[24:25]
	v_fma_f64 v[34:35], v[6:7], v[22:23], -v[34:35]
	v_mul_f64 v[6:7], v[6:7], v[24:25]
	v_add_f64 v[106:107], v[30:31], v[34:35]
	v_fma_f64 v[6:7], v[8:9], v[22:23], v[6:7]
	v_add_f64 v[108:109], v[6:7], v[32:33]
	ds_read_b128 v[6:9], v93 offset:1056
	s_waitcnt lgkmcnt(0)
	v_mul_f64 v[30:31], v[8:9], v[12:13]
	v_mul_f64 v[32:33], v[6:7], v[12:13]
	v_fma_f64 v[30:31], v[6:7], v[10:11], -v[30:31]
	v_fma_f64 v[32:33], v[8:9], v[10:11], v[32:33]
	v_add_f64 v[62:63], v[62:63], v[30:31]
	v_mul_f64 v[30:31], v[8:9], v[16:17]
	v_add_f64 v[64:65], v[32:33], v[64:65]
	v_mul_f64 v[32:33], v[6:7], v[16:17]
	v_fma_f64 v[30:31], v[6:7], v[14:15], -v[30:31]
	v_fma_f64 v[32:33], v[8:9], v[14:15], v[32:33]
	v_add_f64 v[66:67], v[66:67], v[30:31]
	v_mul_f64 v[30:31], v[8:9], v[20:21]
	v_add_f64 v[68:69], v[32:33], v[68:69]
	;; [unrolled: 6-line block ×3, first 2 shown]
	v_fma_f64 v[30:31], v[6:7], v[22:23], -v[30:31]
	v_mul_f64 v[6:7], v[6:7], v[24:25]
	v_add_f64 v[114:115], v[74:75], v[30:31]
	v_fma_f64 v[6:7], v[8:9], v[22:23], v[6:7]
	v_add_f64 v[116:117], v[6:7], v[76:77]
	ds_read_b128 v[6:9], v93 offset:2080
	s_waitcnt lgkmcnt(0)
	v_mul_f64 v[30:31], v[8:9], v[12:13]
	v_mul_f64 v[32:33], v[6:7], v[12:13]
	v_fma_f64 v[30:31], v[6:7], v[10:11], -v[30:31]
	v_fma_f64 v[32:33], v[8:9], v[10:11], v[32:33]
	v_add_f64 v[118:119], v[82:83], v[30:31]
	v_mul_f64 v[30:31], v[8:9], v[16:17]
	v_add_f64 v[120:121], v[32:33], v[84:85]
	v_mul_f64 v[32:33], v[6:7], v[16:17]
	v_fma_f64 v[30:31], v[6:7], v[14:15], -v[30:31]
	v_fma_f64 v[32:33], v[8:9], v[14:15], v[32:33]
	v_add_f64 v[122:123], v[86:87], v[30:31]
	v_mul_f64 v[30:31], v[8:9], v[20:21]
	v_add_f64 v[124:125], v[32:33], v[88:89]
	;; [unrolled: 6-line block ×3, first 2 shown]
	v_fma_f64 v[30:31], v[6:7], v[22:23], -v[30:31]
	v_mul_f64 v[6:7], v[6:7], v[24:25]
	v_add_f64 v[98:99], v[98:99], v[30:31]
	v_fma_f64 v[6:7], v[8:9], v[22:23], v[6:7]
	v_add_f64 v[100:101], v[6:7], v[100:101]
	ds_read_b128 v[6:9], v93 offset:3104
	s_waitcnt lgkmcnt(0)
	v_mul_f64 v[30:31], v[8:9], v[12:13]
	v_mul_f64 v[12:13], v[6:7], v[12:13]
	v_fma_f64 v[30:31], v[6:7], v[10:11], -v[30:31]
	v_fma_f64 v[10:11], v[8:9], v[10:11], v[12:13]
	v_mul_f64 v[12:13], v[6:7], v[16:17]
	v_add_f64 v[86:87], v[58:59], v[30:31]
	v_add_f64 v[88:89], v[10:11], v[60:61]
	v_mul_f64 v[10:11], v[8:9], v[16:17]
	v_fma_f64 v[12:13], v[8:9], v[14:15], v[12:13]
	v_fma_f64 v[10:11], v[6:7], v[14:15], -v[10:11]
	v_add_f64 v[84:85], v[12:13], v[56:57]
	v_mul_f64 v[12:13], v[6:7], v[20:21]
	ds_read_b128 v[14:17], v90 offset:3328
	v_add_f64 v[82:83], v[54:55], v[10:11]
	v_mul_f64 v[10:11], v[8:9], v[20:21]
	v_fma_f64 v[12:13], v[8:9], v[18:19], v[12:13]
	v_fma_f64 v[10:11], v[6:7], v[18:19], -v[10:11]
	ds_read_b128 v[18:21], v90 offset:3072
	v_add_f64 v[80:81], v[12:13], v[52:53]
	v_add_f64 v[78:79], v[50:51], v[10:11]
	v_mul_f64 v[10:11], v[8:9], v[24:25]
	v_fma_f64 v[10:11], v[6:7], v[22:23], -v[10:11]
	v_mul_f64 v[6:7], v[6:7], v[24:25]
	v_add_f64 v[74:75], v[46:47], v[10:11]
	v_fma_f64 v[6:7], v[8:9], v[22:23], v[6:7]
	s_waitcnt lgkmcnt(0)
	v_mul_f64 v[8:9], v[2:3], v[20:21]
	ds_read_b128 v[10:13], v90 offset:3584
	v_add_f64 v[76:77], v[6:7], v[48:49]
	v_mul_f64 v[6:7], v[4:5], v[20:21]
	v_fma_f64 v[8:9], v[4:5], v[18:19], v[8:9]
	v_fma_f64 v[6:7], v[2:3], v[18:19], -v[6:7]
	v_add_f64 v[52:53], v[8:9], v[44:45]
	v_mul_f64 v[8:9], v[2:3], v[16:17]
	v_add_f64 v[48:49], v[42:43], v[6:7]
	v_mul_f64 v[6:7], v[4:5], v[16:17]
	v_fma_f64 v[8:9], v[4:5], v[14:15], v[8:9]
	v_fma_f64 v[6:7], v[2:3], v[14:15], -v[6:7]
	v_add_f64 v[36:37], v[8:9], v[40:41]
	s_waitcnt lgkmcnt(0)
	v_mul_f64 v[8:9], v[2:3], v[12:13]
	v_add_f64 v[34:35], v[38:39], v[6:7]
	v_mul_f64 v[6:7], v[4:5], v[12:13]
	v_fma_f64 v[8:9], v[4:5], v[10:11], v[8:9]
	v_fma_f64 v[6:7], v[2:3], v[10:11], -v[6:7]
	v_add_f64 v[32:33], v[8:9], v[104:105]
	v_add_f64 v[30:31], v[102:103], v[6:7]
	ds_read_b128 v[6:9], v90 offset:3840
	s_waitcnt lgkmcnt(0)
	v_mul_f64 v[22:23], v[4:5], v[8:9]
	v_fma_f64 v[22:23], v[2:3], v[6:7], -v[22:23]
	v_mul_f64 v[2:3], v[2:3], v[8:9]
	v_add_f64 v[22:23], v[106:107], v[22:23]
	v_fma_f64 v[2:3], v[4:5], v[6:7], v[2:3]
	v_add_f64 v[24:25], v[2:3], v[108:109]
	ds_read_b128 v[2:5], v93 offset:1072
	s_waitcnt lgkmcnt(0)
	v_mul_f64 v[38:39], v[4:5], v[20:21]
	v_mul_f64 v[40:41], v[2:3], v[20:21]
	v_fma_f64 v[38:39], v[2:3], v[18:19], -v[38:39]
	v_fma_f64 v[40:41], v[4:5], v[18:19], v[40:41]
	v_add_f64 v[70:71], v[62:63], v[38:39]
	v_mul_f64 v[38:39], v[4:5], v[16:17]
	v_add_f64 v[72:73], v[40:41], v[64:65]
	v_mul_f64 v[40:41], v[2:3], v[16:17]
	v_fma_f64 v[38:39], v[2:3], v[14:15], -v[38:39]
	v_fma_f64 v[40:41], v[4:5], v[14:15], v[40:41]
	v_add_f64 v[62:63], v[66:67], v[38:39]
	v_mul_f64 v[38:39], v[4:5], v[12:13]
	v_add_f64 v[64:65], v[40:41], v[68:69]
	;; [unrolled: 6-line block ×3, first 2 shown]
	v_fma_f64 v[38:39], v[2:3], v[6:7], -v[38:39]
	v_mul_f64 v[2:3], v[2:3], v[8:9]
	v_add_f64 v[42:43], v[114:115], v[38:39]
	v_fma_f64 v[2:3], v[4:5], v[6:7], v[2:3]
	v_add_f64 v[46:47], v[2:3], v[116:117]
	ds_read_b128 v[2:5], v93 offset:2096
	s_waitcnt lgkmcnt(0)
	v_mul_f64 v[38:39], v[4:5], v[20:21]
	v_mul_f64 v[40:41], v[2:3], v[20:21]
	v_fma_f64 v[38:39], v[2:3], v[18:19], -v[38:39]
	v_fma_f64 v[40:41], v[4:5], v[18:19], v[40:41]
	v_add_f64 v[66:67], v[118:119], v[38:39]
	v_mul_f64 v[38:39], v[4:5], v[16:17]
	v_add_f64 v[68:69], v[40:41], v[120:121]
	v_mul_f64 v[40:41], v[2:3], v[16:17]
	v_fma_f64 v[38:39], v[2:3], v[14:15], -v[38:39]
	v_fma_f64 v[40:41], v[4:5], v[14:15], v[40:41]
	v_add_f64 v[56:57], v[122:123], v[38:39]
	v_mul_f64 v[38:39], v[4:5], v[12:13]
	v_add_f64 v[60:61], v[40:41], v[124:125]
	;; [unrolled: 6-line block ×3, first 2 shown]
	v_fma_f64 v[38:39], v[2:3], v[6:7], -v[38:39]
	v_mul_f64 v[2:3], v[2:3], v[8:9]
	v_add_f64 v[38:39], v[98:99], v[38:39]
	v_fma_f64 v[2:3], v[4:5], v[6:7], v[2:3]
	v_add_f64 v[40:41], v[2:3], v[100:101]
	ds_read_b128 v[2:5], v93 offset:3120
	s_waitcnt lgkmcnt(0)
	s_barrier
	buffer_gl0_inv
	v_mul_f64 v[94:95], v[4:5], v[20:21]
	v_mul_f64 v[20:21], v[2:3], v[20:21]
	v_fma_f64 v[94:95], v[2:3], v[18:19], -v[94:95]
	v_fma_f64 v[20:21], v[4:5], v[18:19], v[20:21]
	v_add_f64 v[18:19], v[86:87], v[94:95]
	v_mul_f64 v[86:87], v[4:5], v[16:17]
	v_mul_f64 v[16:17], v[2:3], v[16:17]
	v_add_f64 v[20:21], v[20:21], v[88:89]
	v_fma_f64 v[86:87], v[2:3], v[14:15], -v[86:87]
	v_fma_f64 v[16:17], v[4:5], v[14:15], v[16:17]
	v_add_f64 v[14:15], v[82:83], v[86:87]
	v_mul_f64 v[82:83], v[4:5], v[12:13]
	v_mul_f64 v[12:13], v[2:3], v[12:13]
	v_add_f64 v[16:17], v[16:17], v[84:85]
	v_fma_f64 v[82:83], v[2:3], v[10:11], -v[82:83]
	v_fma_f64 v[12:13], v[4:5], v[10:11], v[12:13]
	v_add_f64 v[10:11], v[78:79], v[82:83]
	v_mul_f64 v[78:79], v[4:5], v[8:9]
	v_add_f64 v[12:13], v[12:13], v[80:81]
	v_fma_f64 v[78:79], v[2:3], v[6:7], -v[78:79]
	v_mul_f64 v[2:3], v[2:3], v[8:9]
	v_add_f64 v[74:75], v[74:75], v[78:79]
	v_fma_f64 v[2:3], v[4:5], v[6:7], v[2:3]
	v_add_f64 v[76:77], v[2:3], v[76:77]
	s_cbranch_vccnz .LBB119_2
	s_branch .LBB119_4
.LBB119_3:
	v_mov_b32_e32 v48, 0
	v_mov_b32_e32 v52, 0
	;; [unrolled: 1-line block ×64, first 2 shown]
.LBB119_4:
	s_load_dwordx2 s[4:5], s[4:5], 0x90
	v_cmp_neq_f64_e64 s6, s[38:39], 0
	v_cmp_neq_f64_e64 s7, s[40:41], 0
	v_add_co_u32 v6, s2, s2, v1
	v_add_co_u32 v0, s0, s0, v0
	v_add_co_ci_u32_e64 v7, null, s3, 0, s2
	v_add_co_ci_u32_e64 v1, null, s1, 0, s0
	s_waitcnt lgkmcnt(0)
	s_mul_i32 s5, s5, s8
	s_mul_hi_u32 s9, s4, s8
	s_mul_i32 s4, s4, s8
	s_add_i32 s5, s9, s5
	s_lshl_b64 s[4:5], s[4:5], 4
	s_add_u32 s2, s48, s4
	s_addc_u32 s3, s49, s5
	s_or_b32 s4, s6, s7
	s_and_b32 vcc_lo, exec_lo, s4
	s_cbranch_vccnz .LBB119_6
; %bb.5:
	v_mul_f64 v[4:5], s[16:17], v[52:53]
	v_mul_f64 v[8:9], s[14:15], v[52:53]
	v_mul_lo_u32 v78, v7, s50
	v_mul_lo_u32 v79, v6, s51
	v_mad_u64_u32 v[2:3], null, v6, s50, 0
	v_mul_f64 v[26:27], s[16:17], v[36:37]
	v_mul_f64 v[28:29], s[14:15], v[36:37]
	;; [unrolled: 1-line block ×6, first 2 shown]
	v_add3_u32 v3, v3, v79, v78
	v_mul_f64 v[78:79], s[16:17], v[32:33]
	v_mul_f64 v[88:89], s[14:15], v[72:73]
	;; [unrolled: 1-line block ×4, first 2 shown]
	v_lshlrev_b64 v[2:3], 4, v[2:3]
	v_mul_f64 v[94:95], s[16:17], v[58:59]
	v_mul_f64 v[96:97], s[14:15], v[58:59]
	;; [unrolled: 1-line block ×4, first 2 shown]
	s_lshl_b64 s[0:1], s[50:51], 8
	v_add_co_u32 v104, vcc_lo, s2, v2
	v_add_co_ci_u32_e64 v105, null, s3, v3, vcc_lo
	v_fma_f64 v[2:3], s[14:15], v[48:49], -v[4:5]
	v_fma_f64 v[4:5], s[16:17], v[48:49], v[8:9]
	v_lshlrev_b64 v[8:9], 4, v[0:1]
	v_fma_f64 v[26:27], s[14:15], v[34:35], -v[26:27]
	v_fma_f64 v[28:29], s[16:17], v[34:35], v[28:29]
	v_fma_f64 v[80:81], s[16:17], v[30:31], v[80:81]
	v_fma_f64 v[82:83], s[14:15], v[22:23], -v[82:83]
	v_fma_f64 v[84:85], s[16:17], v[22:23], v[84:85]
	v_add_co_u32 v102, vcc_lo, v104, v8
	v_fma_f64 v[78:79], s[14:15], v[30:31], -v[78:79]
	v_add_co_ci_u32_e64 v103, null, v105, v9, vcc_lo
	v_fma_f64 v[86:87], s[14:15], v[70:71], -v[86:87]
	v_fma_f64 v[88:89], s[16:17], v[70:71], v[88:89]
	v_fma_f64 v[90:91], s[14:15], v[62:63], -v[90:91]
	v_fma_f64 v[92:93], s[16:17], v[62:63], v[92:93]
	v_fma_f64 v[94:95], s[14:15], v[54:55], -v[94:95]
	v_fma_f64 v[96:97], s[16:17], v[54:55], v[96:97]
	v_add_co_u32 v106, vcc_lo, v104, s0
	v_add_co_ci_u32_e64 v107, null, s1, v105, vcc_lo
	global_store_dwordx4 v[102:103], v[2:5], off
	v_fma_f64 v[2:3], s[14:15], v[42:43], -v[98:99]
	v_fma_f64 v[4:5], s[16:17], v[42:43], v[100:101]
	v_add_co_u32 v104, vcc_lo, v106, v8
	v_add_co_ci_u32_e64 v105, null, v107, v9, vcc_lo
	global_store_dwordx4 v[102:103], v[26:29], off offset:256
	global_store_dwordx4 v[102:103], v[78:81], off offset:512
	global_store_dwordx4 v[102:103], v[82:85], off offset:768
	global_store_dwordx4 v[104:105], v[86:89], off
	global_store_dwordx4 v[104:105], v[90:93], off offset:256
	global_store_dwordx4 v[104:105], v[94:97], off offset:512
	v_mul_f64 v[26:27], s[16:17], v[68:69]
	v_mul_f64 v[28:29], s[14:15], v[68:69]
	;; [unrolled: 1-line block ×12, first 2 shown]
	global_store_dwordx4 v[104:105], v[2:5], off offset:768
	v_mul_f64 v[2:3], s[16:17], v[76:77]
	v_mul_f64 v[4:5], s[14:15], v[76:77]
	v_mul_f64 v[98:99], s[16:17], v[12:13]
	v_mul_f64 v[100:101], s[14:15], v[12:13]
	v_add_co_u32 v104, vcc_lo, v106, s0
	v_add_co_ci_u32_e64 v105, null, s1, v107, vcc_lo
	v_fma_f64 v[26:27], s[14:15], v[66:67], -v[26:27]
	v_fma_f64 v[28:29], s[16:17], v[66:67], v[28:29]
	v_fma_f64 v[78:79], s[14:15], v[56:57], -v[78:79]
	v_fma_f64 v[80:81], s[16:17], v[56:57], v[80:81]
	v_fma_f64 v[82:83], s[14:15], v[44:45], -v[82:83]
	v_fma_f64 v[84:85], s[16:17], v[44:45], v[84:85]
	v_fma_f64 v[86:87], s[14:15], v[38:39], -v[86:87]
	v_fma_f64 v[88:89], s[16:17], v[38:39], v[88:89]
	v_fma_f64 v[90:91], s[14:15], v[18:19], -v[90:91]
	v_fma_f64 v[92:93], s[16:17], v[18:19], v[92:93]
	v_fma_f64 v[94:95], s[14:15], v[14:15], -v[94:95]
	v_fma_f64 v[96:97], s[16:17], v[14:15], v[96:97]
	v_add_co_u32 v106, vcc_lo, v104, s0
	v_fma_f64 v[102:103], s[14:15], v[74:75], -v[2:3]
	v_fma_f64 v[2:3], s[16:17], v[74:75], v[4:5]
	v_fma_f64 v[98:99], s[14:15], v[10:11], -v[98:99]
	v_fma_f64 v[100:101], s[16:17], v[10:11], v[100:101]
	v_add_co_ci_u32_e64 v107, null, s1, v105, vcc_lo
	v_add_co_u32 v4, vcc_lo, v104, v8
	v_add_co_ci_u32_e64 v5, null, v105, v9, vcc_lo
	v_add_co_u32 v8, vcc_lo, v106, v8
	v_add_co_ci_u32_e64 v9, null, v107, v9, vcc_lo
	global_store_dwordx4 v[4:5], v[26:29], off
	global_store_dwordx4 v[4:5], v[78:81], off offset:256
	global_store_dwordx4 v[4:5], v[82:85], off offset:512
	;; [unrolled: 1-line block ×3, first 2 shown]
	global_store_dwordx4 v[8:9], v[90:93], off
	v_add_co_u32 v4, vcc_lo, 0x300, v8
	v_add_co_ci_u32_e64 v5, null, 0, v9, vcc_lo
	global_store_dwordx4 v[8:9], v[94:97], off offset:256
	global_store_dwordx4 v[8:9], v[98:101], off offset:512
	global_store_dwordx2 v[8:9], v[102:103], off offset:768
	s_cbranch_execz .LBB119_7
	s_branch .LBB119_8
.LBB119_6:
                                        ; implicit-def: $vgpr2_vgpr3
                                        ; implicit-def: $vgpr4_vgpr5
.LBB119_7:
	v_mul_lo_u32 v4, v7, s44
	v_mul_lo_u32 v5, v6, s45
	v_mad_u64_u32 v[2:3], null, v6, s44, 0
	s_mul_i32 s1, s47, s8
	s_mul_hi_u32 s4, s46, s8
	s_mul_i32 s0, s46, s8
	s_add_i32 s1, s4, s1
	v_mul_f64 v[26:27], s[16:17], v[52:53]
	s_lshl_b64 s[0:1], s[0:1], 4
	v_add3_u32 v3, v3, v5, v4
	s_add_u32 s0, s42, s0
	v_lshlrev_b64 v[4:5], 4, v[0:1]
	s_addc_u32 s1, s43, s1
	v_mul_f64 v[28:29], s[14:15], v[52:53]
	v_lshlrev_b64 v[2:3], 4, v[2:3]
	v_add_co_u32 v78, vcc_lo, s0, v2
	v_add_co_ci_u32_e64 v79, null, s1, v3, vcc_lo
	s_lshl_b64 s[0:1], s[44:45], 8
	v_add_co_u32 v8, vcc_lo, v78, v4
	v_add_co_ci_u32_e64 v9, null, v79, v5, vcc_lo
	v_fma_f64 v[26:27], s[14:15], v[48:49], -v[26:27]
	global_load_dwordx4 v[0:3], v[8:9], off
	v_fma_f64 v[28:29], s[16:17], v[48:49], v[28:29]
	s_waitcnt vmcnt(0)
	v_mul_f64 v[52:53], s[40:41], v[2:3]
	v_mul_f64 v[2:3], s[38:39], v[2:3]
	v_fma_f64 v[48:49], s[38:39], v[0:1], -v[52:53]
	v_fma_f64 v[2:3], s[40:41], v[0:1], v[2:3]
	v_mul_lo_u32 v0, v7, s50
	v_mul_lo_u32 v1, v6, s51
	v_mad_u64_u32 v[6:7], null, v6, s50, 0
	v_add3_u32 v7, v7, v1, v0
	v_lshlrev_b64 v[6:7], 4, v[6:7]
	v_add_f64 v[0:1], v[26:27], v[48:49]
	v_add_f64 v[2:3], v[28:29], v[2:3]
	v_add_co_u32 v48, vcc_lo, s2, v6
	v_add_co_ci_u32_e64 v49, null, s3, v7, vcc_lo
	v_mul_f64 v[26:27], s[16:17], v[36:37]
	v_add_co_u32 v6, vcc_lo, v48, v4
	v_add_co_ci_u32_e64 v7, null, v49, v5, vcc_lo
	v_mul_f64 v[28:29], s[14:15], v[36:37]
	s_lshl_b64 s[2:3], s[50:51], 8
	global_store_dwordx4 v[6:7], v[0:3], off
	global_load_dwordx4 v[0:3], v[8:9], off offset:256
	v_fma_f64 v[26:27], s[14:15], v[34:35], -v[26:27]
	v_fma_f64 v[28:29], s[16:17], v[34:35], v[28:29]
	s_waitcnt vmcnt(0)
	v_mul_f64 v[36:37], s[40:41], v[2:3]
	v_mul_f64 v[2:3], s[38:39], v[2:3]
	v_fma_f64 v[34:35], s[38:39], v[0:1], -v[36:37]
	v_fma_f64 v[2:3], s[40:41], v[0:1], v[2:3]
	v_add_f64 v[0:1], v[26:27], v[34:35]
	v_add_f64 v[2:3], v[28:29], v[2:3]
	v_mul_f64 v[26:27], s[16:17], v[32:33]
	v_mul_f64 v[28:29], s[14:15], v[32:33]
	global_store_dwordx4 v[6:7], v[0:3], off offset:256
	global_load_dwordx4 v[0:3], v[8:9], off offset:512
	v_fma_f64 v[26:27], s[14:15], v[30:31], -v[26:27]
	v_fma_f64 v[28:29], s[16:17], v[30:31], v[28:29]
	s_waitcnt vmcnt(0)
	v_mul_f64 v[32:33], s[40:41], v[2:3]
	v_mul_f64 v[2:3], s[38:39], v[2:3]
	v_fma_f64 v[30:31], s[38:39], v[0:1], -v[32:33]
	v_fma_f64 v[2:3], s[40:41], v[0:1], v[2:3]
	v_add_f64 v[0:1], v[26:27], v[30:31]
	v_add_f64 v[2:3], v[28:29], v[2:3]
	v_add_co_u32 v28, vcc_lo, v78, s0
	v_add_co_ci_u32_e64 v29, null, s1, v79, vcc_lo
	global_store_dwordx4 v[6:7], v[0:3], off offset:512
	global_load_dwordx4 v[0:3], v[8:9], off offset:768
	v_mul_f64 v[8:9], s[16:17], v[24:25]
	v_mul_f64 v[24:25], s[14:15], v[24:25]
	v_fma_f64 v[8:9], s[14:15], v[22:23], -v[8:9]
	v_fma_f64 v[22:23], s[16:17], v[22:23], v[24:25]
	s_waitcnt vmcnt(0)
	v_mul_f64 v[26:27], s[40:41], v[2:3]
	v_mul_f64 v[2:3], s[38:39], v[2:3]
	v_fma_f64 v[24:25], s[38:39], v[0:1], -v[26:27]
	v_fma_f64 v[2:3], s[40:41], v[0:1], v[2:3]
	v_add_f64 v[0:1], v[8:9], v[24:25]
	v_add_f64 v[2:3], v[22:23], v[2:3]
	v_add_co_u32 v8, vcc_lo, v28, v4
	v_add_co_ci_u32_e64 v9, null, v29, v5, vcc_lo
	v_mul_f64 v[22:23], s[14:15], v[72:73]
	v_add_co_u32 v30, vcc_lo, v48, s2
	v_add_co_ci_u32_e64 v31, null, s3, v49, vcc_lo
	global_store_dwordx4 v[6:7], v[0:3], off offset:768
	global_load_dwordx4 v[0:3], v[8:9], off
	v_mul_f64 v[6:7], s[16:17], v[72:73]
	v_fma_f64 v[22:23], s[16:17], v[70:71], v[22:23]
	v_fma_f64 v[6:7], s[14:15], v[70:71], -v[6:7]
	s_waitcnt vmcnt(0)
	v_mul_f64 v[24:25], s[40:41], v[2:3]
	v_mul_f64 v[2:3], s[38:39], v[2:3]
	v_fma_f64 v[24:25], s[38:39], v[0:1], -v[24:25]
	v_fma_f64 v[2:3], s[40:41], v[0:1], v[2:3]
	v_add_f64 v[0:1], v[6:7], v[24:25]
	v_add_f64 v[2:3], v[22:23], v[2:3]
	v_add_co_u32 v6, vcc_lo, v30, v4
	v_add_co_ci_u32_e64 v7, null, v31, v5, vcc_lo
	v_mul_f64 v[22:23], s[16:17], v[64:65]
	v_mul_f64 v[24:25], s[14:15], v[64:65]
	v_add_co_u32 v28, vcc_lo, v28, s0
	v_add_co_ci_u32_e64 v29, null, s1, v29, vcc_lo
	global_store_dwordx4 v[6:7], v[0:3], off
	global_load_dwordx4 v[0:3], v[8:9], off offset:256
	v_fma_f64 v[22:23], s[14:15], v[62:63], -v[22:23]
	v_fma_f64 v[24:25], s[16:17], v[62:63], v[24:25]
	s_waitcnt vmcnt(0)
	v_mul_f64 v[26:27], s[40:41], v[2:3]
	v_mul_f64 v[2:3], s[38:39], v[2:3]
	v_fma_f64 v[26:27], s[38:39], v[0:1], -v[26:27]
	v_fma_f64 v[2:3], s[40:41], v[0:1], v[2:3]
	v_add_f64 v[0:1], v[22:23], v[26:27]
	v_add_f64 v[2:3], v[24:25], v[2:3]
	v_mul_f64 v[22:23], s[16:17], v[58:59]
	v_mul_f64 v[24:25], s[14:15], v[58:59]
	global_store_dwordx4 v[6:7], v[0:3], off offset:256
	global_load_dwordx4 v[0:3], v[8:9], off offset:512
	v_fma_f64 v[22:23], s[14:15], v[54:55], -v[22:23]
	v_fma_f64 v[24:25], s[16:17], v[54:55], v[24:25]
	s_waitcnt vmcnt(0)
	v_mul_f64 v[26:27], s[40:41], v[2:3]
	v_mul_f64 v[2:3], s[38:39], v[2:3]
	v_fma_f64 v[26:27], s[38:39], v[0:1], -v[26:27]
	v_fma_f64 v[2:3], s[40:41], v[0:1], v[2:3]
	v_add_f64 v[0:1], v[22:23], v[26:27]
	v_add_f64 v[2:3], v[24:25], v[2:3]
	v_mul_f64 v[22:23], s[14:15], v[46:47]
	global_store_dwordx4 v[6:7], v[0:3], off offset:512
	global_load_dwordx4 v[0:3], v[8:9], off offset:768
	v_mul_f64 v[8:9], s[16:17], v[46:47]
	v_fma_f64 v[22:23], s[16:17], v[42:43], v[22:23]
	v_fma_f64 v[8:9], s[14:15], v[42:43], -v[8:9]
	s_waitcnt vmcnt(0)
	v_mul_f64 v[24:25], s[40:41], v[2:3]
	v_mul_f64 v[2:3], s[38:39], v[2:3]
	v_fma_f64 v[24:25], s[38:39], v[0:1], -v[24:25]
	v_fma_f64 v[2:3], s[40:41], v[0:1], v[2:3]
	v_add_f64 v[0:1], v[8:9], v[24:25]
	v_add_f64 v[2:3], v[22:23], v[2:3]
	v_add_co_u32 v8, vcc_lo, v28, v4
	v_add_co_ci_u32_e64 v9, null, v29, v5, vcc_lo
	v_mul_f64 v[22:23], s[14:15], v[68:69]
	v_add_co_u32 v30, vcc_lo, v30, s2
	v_add_co_ci_u32_e64 v31, null, s3, v31, vcc_lo
	global_store_dwordx4 v[6:7], v[0:3], off offset:768
	global_load_dwordx4 v[0:3], v[8:9], off
	v_mul_f64 v[6:7], s[16:17], v[68:69]
	v_fma_f64 v[22:23], s[16:17], v[66:67], v[22:23]
	v_fma_f64 v[6:7], s[14:15], v[66:67], -v[6:7]
	s_waitcnt vmcnt(0)
	v_mul_f64 v[24:25], s[40:41], v[2:3]
	v_mul_f64 v[2:3], s[38:39], v[2:3]
	v_fma_f64 v[24:25], s[38:39], v[0:1], -v[24:25]
	v_fma_f64 v[2:3], s[40:41], v[0:1], v[2:3]
	v_add_f64 v[0:1], v[6:7], v[24:25]
	v_add_f64 v[2:3], v[22:23], v[2:3]
	v_add_co_u32 v6, vcc_lo, v30, v4
	v_add_co_ci_u32_e64 v7, null, v31, v5, vcc_lo
	v_mul_f64 v[22:23], s[16:17], v[60:61]
	v_mul_f64 v[24:25], s[14:15], v[60:61]
	global_store_dwordx4 v[6:7], v[0:3], off
	global_load_dwordx4 v[0:3], v[8:9], off offset:256
	v_fma_f64 v[22:23], s[14:15], v[56:57], -v[22:23]
	v_fma_f64 v[24:25], s[16:17], v[56:57], v[24:25]
	s_waitcnt vmcnt(0)
	v_mul_f64 v[26:27], s[40:41], v[2:3]
	v_mul_f64 v[2:3], s[38:39], v[2:3]
	v_fma_f64 v[26:27], s[38:39], v[0:1], -v[26:27]
	v_fma_f64 v[2:3], s[40:41], v[0:1], v[2:3]
	v_add_f64 v[0:1], v[22:23], v[26:27]
	v_add_f64 v[2:3], v[24:25], v[2:3]
	v_mul_f64 v[22:23], s[16:17], v[50:51]
	v_mul_f64 v[24:25], s[14:15], v[50:51]
	global_store_dwordx4 v[6:7], v[0:3], off offset:256
	global_load_dwordx4 v[0:3], v[8:9], off offset:512
	v_fma_f64 v[22:23], s[14:15], v[44:45], -v[22:23]
	v_fma_f64 v[24:25], s[16:17], v[44:45], v[24:25]
	s_waitcnt vmcnt(0)
	v_mul_f64 v[26:27], s[40:41], v[2:3]
	v_mul_f64 v[2:3], s[38:39], v[2:3]
	v_fma_f64 v[26:27], s[38:39], v[0:1], -v[26:27]
	v_fma_f64 v[2:3], s[40:41], v[0:1], v[2:3]
	v_add_f64 v[0:1], v[22:23], v[26:27]
	v_add_f64 v[2:3], v[24:25], v[2:3]
	v_mul_f64 v[22:23], s[14:15], v[40:41]
	global_store_dwordx4 v[6:7], v[0:3], off offset:512
	global_load_dwordx4 v[0:3], v[8:9], off offset:768
	v_mul_f64 v[8:9], s[16:17], v[40:41]
	v_fma_f64 v[22:23], s[16:17], v[38:39], v[22:23]
	v_fma_f64 v[8:9], s[14:15], v[38:39], -v[8:9]
	s_waitcnt vmcnt(0)
	v_mul_f64 v[24:25], s[40:41], v[2:3]
	v_mul_f64 v[2:3], s[38:39], v[2:3]
	v_fma_f64 v[24:25], s[38:39], v[0:1], -v[24:25]
	v_fma_f64 v[2:3], s[40:41], v[0:1], v[2:3]
	v_add_f64 v[0:1], v[8:9], v[24:25]
	v_add_f64 v[2:3], v[22:23], v[2:3]
	v_add_co_u32 v8, vcc_lo, v28, s0
	v_add_co_ci_u32_e64 v9, null, s1, v29, vcc_lo
	v_add_co_u32 v8, vcc_lo, v8, v4
	v_add_co_ci_u32_e64 v9, null, v9, v5, vcc_lo
	global_store_dwordx4 v[6:7], v[0:3], off offset:768
	global_load_dwordx4 v[0:3], v[8:9], off
	v_mul_f64 v[6:7], s[16:17], v[20:21]
	v_mul_f64 v[20:21], s[14:15], v[20:21]
	v_fma_f64 v[6:7], s[14:15], v[18:19], -v[6:7]
	v_fma_f64 v[18:19], s[16:17], v[18:19], v[20:21]
	s_waitcnt vmcnt(0)
	v_mul_f64 v[22:23], s[40:41], v[2:3]
	v_mul_f64 v[2:3], s[38:39], v[2:3]
	v_fma_f64 v[20:21], s[38:39], v[0:1], -v[22:23]
	v_fma_f64 v[2:3], s[40:41], v[0:1], v[2:3]
	v_add_f64 v[0:1], v[6:7], v[20:21]
	v_add_f64 v[2:3], v[18:19], v[2:3]
	v_add_co_u32 v6, vcc_lo, v30, s2
	v_add_co_ci_u32_e64 v7, null, s3, v31, vcc_lo
	v_add_co_u32 v6, vcc_lo, v6, v4
	v_add_co_ci_u32_e64 v7, null, v7, v5, vcc_lo
	v_mul_f64 v[4:5], s[16:17], v[16:17]
	v_mul_f64 v[16:17], s[14:15], v[16:17]
	global_store_dwordx4 v[6:7], v[0:3], off
	global_load_dwordx4 v[0:3], v[8:9], off offset:256
	v_fma_f64 v[4:5], s[14:15], v[14:15], -v[4:5]
	v_fma_f64 v[14:15], s[16:17], v[14:15], v[16:17]
	s_waitcnt vmcnt(0)
	v_mul_f64 v[18:19], s[40:41], v[2:3]
	v_mul_f64 v[2:3], s[38:39], v[2:3]
	v_fma_f64 v[16:17], s[38:39], v[0:1], -v[18:19]
	v_fma_f64 v[2:3], s[40:41], v[0:1], v[2:3]
	v_add_f64 v[0:1], v[4:5], v[16:17]
	v_add_f64 v[2:3], v[14:15], v[2:3]
	v_mul_f64 v[4:5], s[16:17], v[12:13]
	v_mul_f64 v[12:13], s[14:15], v[12:13]
	global_store_dwordx4 v[6:7], v[0:3], off offset:256
	global_load_dwordx4 v[0:3], v[8:9], off offset:512
	v_fma_f64 v[4:5], s[14:15], v[10:11], -v[4:5]
	v_fma_f64 v[10:11], s[16:17], v[10:11], v[12:13]
	s_waitcnt vmcnt(0)
	v_mul_f64 v[14:15], s[40:41], v[2:3]
	v_mul_f64 v[2:3], s[38:39], v[2:3]
	v_fma_f64 v[12:13], s[38:39], v[0:1], -v[14:15]
	v_fma_f64 v[2:3], s[40:41], v[0:1], v[2:3]
	v_add_f64 v[0:1], v[4:5], v[12:13]
	v_add_f64 v[2:3], v[10:11], v[2:3]
	v_mul_f64 v[4:5], s[16:17], v[76:77]
	global_store_dwordx4 v[6:7], v[0:3], off offset:512
	global_load_dwordx4 v[0:3], v[8:9], off offset:768
	v_mul_f64 v[8:9], s[14:15], v[76:77]
	v_fma_f64 v[4:5], s[14:15], v[74:75], -v[4:5]
	v_fma_f64 v[8:9], s[16:17], v[74:75], v[8:9]
	s_waitcnt vmcnt(0)
	v_mul_f64 v[10:11], s[40:41], v[2:3]
	v_mul_f64 v[2:3], s[38:39], v[2:3]
	v_fma_f64 v[10:11], s[38:39], v[0:1], -v[10:11]
	v_fma_f64 v[0:1], s[40:41], v[0:1], v[2:3]
	v_add_f64 v[10:11], v[4:5], v[10:11]
	v_add_f64 v[2:3], v[8:9], v[0:1]
	v_add_co_u32 v4, vcc_lo, 0x300, v6
	v_add_co_ci_u32_e64 v5, null, 0, v7, vcc_lo
	global_store_dwordx2 v[6:7], v[10:11], off offset:768
.LBB119_8:
	global_store_dwordx2 v[4:5], v[2:3], off offset:8
	s_endpgm
	.section	.rodata,"a",@progbits
	.p2align	6, 0x0
	.amdhsa_kernel _ZN12_GLOBAL__N_127rocblas_gemm_batched_kernelI19rocblas_complex_numIdELi16ELi16ELi64ELi64ELi4ELi64ELi4ELi4ELi64ELc84ELc78EKS2_S3_S2_EEvlllT_PT11_llS6_llS4_PT12_llPT13_lli
		.amdhsa_group_segment_fixed_size 8192
		.amdhsa_private_segment_fixed_size 0
		.amdhsa_kernarg_size 156
		.amdhsa_user_sgpr_count 6
		.amdhsa_user_sgpr_private_segment_buffer 1
		.amdhsa_user_sgpr_dispatch_ptr 0
		.amdhsa_user_sgpr_queue_ptr 0
		.amdhsa_user_sgpr_kernarg_segment_ptr 1
		.amdhsa_user_sgpr_dispatch_id 0
		.amdhsa_user_sgpr_flat_scratch_init 0
		.amdhsa_user_sgpr_private_segment_size 0
		.amdhsa_wavefront_size32 1
		.amdhsa_uses_dynamic_stack 0
		.amdhsa_system_sgpr_private_segment_wavefront_offset 0
		.amdhsa_system_sgpr_workgroup_id_x 1
		.amdhsa_system_sgpr_workgroup_id_y 1
		.amdhsa_system_sgpr_workgroup_id_z 1
		.amdhsa_system_sgpr_workgroup_info 0
		.amdhsa_system_vgpr_workitem_id 1
		.amdhsa_next_free_vgpr 138
		.amdhsa_next_free_sgpr 52
		.amdhsa_reserve_vcc 1
		.amdhsa_reserve_flat_scratch 0
		.amdhsa_float_round_mode_32 0
		.amdhsa_float_round_mode_16_64 0
		.amdhsa_float_denorm_mode_32 3
		.amdhsa_float_denorm_mode_16_64 3
		.amdhsa_dx10_clamp 1
		.amdhsa_ieee_mode 1
		.amdhsa_fp16_overflow 0
		.amdhsa_workgroup_processor_mode 1
		.amdhsa_memory_ordered 1
		.amdhsa_forward_progress 1
		.amdhsa_shared_vgpr_count 0
		.amdhsa_exception_fp_ieee_invalid_op 0
		.amdhsa_exception_fp_denorm_src 0
		.amdhsa_exception_fp_ieee_div_zero 0
		.amdhsa_exception_fp_ieee_overflow 0
		.amdhsa_exception_fp_ieee_underflow 0
		.amdhsa_exception_fp_ieee_inexact 0
		.amdhsa_exception_int_div_zero 0
	.end_amdhsa_kernel
	.section	.text._ZN12_GLOBAL__N_127rocblas_gemm_batched_kernelI19rocblas_complex_numIdELi16ELi16ELi64ELi64ELi4ELi64ELi4ELi4ELi64ELc84ELc78EKS2_S3_S2_EEvlllT_PT11_llS6_llS4_PT12_llPT13_lli,"axG",@progbits,_ZN12_GLOBAL__N_127rocblas_gemm_batched_kernelI19rocblas_complex_numIdELi16ELi16ELi64ELi64ELi4ELi64ELi4ELi4ELi64ELc84ELc78EKS2_S3_S2_EEvlllT_PT11_llS6_llS4_PT12_llPT13_lli,comdat
.Lfunc_end119:
	.size	_ZN12_GLOBAL__N_127rocblas_gemm_batched_kernelI19rocblas_complex_numIdELi16ELi16ELi64ELi64ELi4ELi64ELi4ELi4ELi64ELc84ELc78EKS2_S3_S2_EEvlllT_PT11_llS6_llS4_PT12_llPT13_lli, .Lfunc_end119-_ZN12_GLOBAL__N_127rocblas_gemm_batched_kernelI19rocblas_complex_numIdELi16ELi16ELi64ELi64ELi4ELi64ELi4ELi4ELi64ELc84ELc78EKS2_S3_S2_EEvlllT_PT11_llS6_llS4_PT12_llPT13_lli
                                        ; -- End function
	.set _ZN12_GLOBAL__N_127rocblas_gemm_batched_kernelI19rocblas_complex_numIdELi16ELi16ELi64ELi64ELi4ELi64ELi4ELi4ELi64ELc84ELc78EKS2_S3_S2_EEvlllT_PT11_llS6_llS4_PT12_llPT13_lli.num_vgpr, 138
	.set _ZN12_GLOBAL__N_127rocblas_gemm_batched_kernelI19rocblas_complex_numIdELi16ELi16ELi64ELi64ELi4ELi64ELi4ELi4ELi64ELc84ELc78EKS2_S3_S2_EEvlllT_PT11_llS6_llS4_PT12_llPT13_lli.num_agpr, 0
	.set _ZN12_GLOBAL__N_127rocblas_gemm_batched_kernelI19rocblas_complex_numIdELi16ELi16ELi64ELi64ELi4ELi64ELi4ELi4ELi64ELc84ELc78EKS2_S3_S2_EEvlllT_PT11_llS6_llS4_PT12_llPT13_lli.numbered_sgpr, 52
	.set _ZN12_GLOBAL__N_127rocblas_gemm_batched_kernelI19rocblas_complex_numIdELi16ELi16ELi64ELi64ELi4ELi64ELi4ELi4ELi64ELc84ELc78EKS2_S3_S2_EEvlllT_PT11_llS6_llS4_PT12_llPT13_lli.num_named_barrier, 0
	.set _ZN12_GLOBAL__N_127rocblas_gemm_batched_kernelI19rocblas_complex_numIdELi16ELi16ELi64ELi64ELi4ELi64ELi4ELi4ELi64ELc84ELc78EKS2_S3_S2_EEvlllT_PT11_llS6_llS4_PT12_llPT13_lli.private_seg_size, 0
	.set _ZN12_GLOBAL__N_127rocblas_gemm_batched_kernelI19rocblas_complex_numIdELi16ELi16ELi64ELi64ELi4ELi64ELi4ELi4ELi64ELc84ELc78EKS2_S3_S2_EEvlllT_PT11_llS6_llS4_PT12_llPT13_lli.uses_vcc, 1
	.set _ZN12_GLOBAL__N_127rocblas_gemm_batched_kernelI19rocblas_complex_numIdELi16ELi16ELi64ELi64ELi4ELi64ELi4ELi4ELi64ELc84ELc78EKS2_S3_S2_EEvlllT_PT11_llS6_llS4_PT12_llPT13_lli.uses_flat_scratch, 0
	.set _ZN12_GLOBAL__N_127rocblas_gemm_batched_kernelI19rocblas_complex_numIdELi16ELi16ELi64ELi64ELi4ELi64ELi4ELi4ELi64ELc84ELc78EKS2_S3_S2_EEvlllT_PT11_llS6_llS4_PT12_llPT13_lli.has_dyn_sized_stack, 0
	.set _ZN12_GLOBAL__N_127rocblas_gemm_batched_kernelI19rocblas_complex_numIdELi16ELi16ELi64ELi64ELi4ELi64ELi4ELi4ELi64ELc84ELc78EKS2_S3_S2_EEvlllT_PT11_llS6_llS4_PT12_llPT13_lli.has_recursion, 0
	.set _ZN12_GLOBAL__N_127rocblas_gemm_batched_kernelI19rocblas_complex_numIdELi16ELi16ELi64ELi64ELi4ELi64ELi4ELi4ELi64ELc84ELc78EKS2_S3_S2_EEvlllT_PT11_llS6_llS4_PT12_llPT13_lli.has_indirect_call, 0
	.section	.AMDGPU.csdata,"",@progbits
; Kernel info:
; codeLenInByte = 7416
; TotalNumSgprs: 54
; NumVgprs: 138
; ScratchSize: 0
; MemoryBound: 0
; FloatMode: 240
; IeeeMode: 1
; LDSByteSize: 8192 bytes/workgroup (compile time only)
; SGPRBlocks: 0
; VGPRBlocks: 17
; NumSGPRsForWavesPerEU: 54
; NumVGPRsForWavesPerEU: 138
; Occupancy: 7
; WaveLimiterHint : 1
; COMPUTE_PGM_RSRC2:SCRATCH_EN: 0
; COMPUTE_PGM_RSRC2:USER_SGPR: 6
; COMPUTE_PGM_RSRC2:TRAP_HANDLER: 0
; COMPUTE_PGM_RSRC2:TGID_X_EN: 1
; COMPUTE_PGM_RSRC2:TGID_Y_EN: 1
; COMPUTE_PGM_RSRC2:TGID_Z_EN: 1
; COMPUTE_PGM_RSRC2:TIDIG_COMP_CNT: 1
	.section	.text._ZN12_GLOBAL__N_127rocblas_gemm_batched_kernelI19rocblas_complex_numIdELi16ELi16ELi64ELi64ELi4ELi64ELi4ELi4ELi64ELc78ELc84EKS2_S3_S2_EEvlllT_PT11_llS6_llS4_PT12_llPT13_lli,"axG",@progbits,_ZN12_GLOBAL__N_127rocblas_gemm_batched_kernelI19rocblas_complex_numIdELi16ELi16ELi64ELi64ELi4ELi64ELi4ELi4ELi64ELc78ELc84EKS2_S3_S2_EEvlllT_PT11_llS6_llS4_PT12_llPT13_lli,comdat
	.globl	_ZN12_GLOBAL__N_127rocblas_gemm_batched_kernelI19rocblas_complex_numIdELi16ELi16ELi64ELi64ELi4ELi64ELi4ELi4ELi64ELc78ELc84EKS2_S3_S2_EEvlllT_PT11_llS6_llS4_PT12_llPT13_lli ; -- Begin function _ZN12_GLOBAL__N_127rocblas_gemm_batched_kernelI19rocblas_complex_numIdELi16ELi16ELi64ELi64ELi4ELi64ELi4ELi4ELi64ELc78ELc84EKS2_S3_S2_EEvlllT_PT11_llS6_llS4_PT12_llPT13_lli
	.p2align	8
	.type	_ZN12_GLOBAL__N_127rocblas_gemm_batched_kernelI19rocblas_complex_numIdELi16ELi16ELi64ELi64ELi4ELi64ELi4ELi4ELi64ELc78ELc84EKS2_S3_S2_EEvlllT_PT11_llS6_llS4_PT12_llPT13_lli,@function
_ZN12_GLOBAL__N_127rocblas_gemm_batched_kernelI19rocblas_complex_numIdELi16ELi16ELi64ELi64ELi4ELi64ELi4ELi4ELi64ELc78ELc84EKS2_S3_S2_EEvlllT_PT11_llS6_llS4_PT12_llPT13_lli: ; @_ZN12_GLOBAL__N_127rocblas_gemm_batched_kernelI19rocblas_complex_numIdELi16ELi16ELi64ELi64ELi4ELi64ELi4ELi4ELi64ELc78ELc84EKS2_S3_S2_EEvlllT_PT11_llS6_llS4_PT12_llPT13_lli
; %bb.0:
	s_clause 0x1
	s_load_dwordx16 s[12:27], s[4:5], 0x10
	s_load_dwordx16 s[36:51], s[4:5], 0x50
	s_mov_b32 s2, s7
	s_ashr_i32 s7, s6, 31
	s_ashr_i32 s3, s2, 31
	s_lshl_b64 s[0:1], s[6:7], 6
	s_lshl_b64 s[2:3], s[2:3], 6
	s_waitcnt lgkmcnt(0)
	v_cmp_lt_i64_e64 s9, s[12:13], 1
	s_and_b32 vcc_lo, exec_lo, s9
	s_cbranch_vccnz .LBB120_3
; %bb.1:
	v_lshl_add_u32 v8, v1, 4, v0
	v_and_b32_e32 v9, 3, v0
	s_mul_i32 s7, s23, s8
	s_mul_hi_u32 s9, s22, s8
	s_mul_i32 s10, s37, s8
	v_lshrrev_b32_e32 v11, 2, v8
	v_lshrrev_b32_e32 v10, 6, v8
	s_add_i32 s7, s9, s7
	s_mul_hi_u32 s11, s36, s8
	v_mov_b32_e32 v76, 0
	v_add_co_u32 v4, s6, v11, s2
	v_add_co_ci_u32_e64 v5, null, 0, s3, s6
	v_mad_u64_u32 v[2:3], null, s20, v10, s[0:1]
	s_mul_i32 s6, s22, s8
	v_mad_u64_u32 v[4:5], null, s26, v9, v[4:5]
	s_lshl_b64 s[6:7], s[6:7], 4
	v_mov_b32_e32 v74, 0
	s_add_u32 s6, s18, s6
	s_addc_u32 s7, s19, s7
	s_add_i32 s11, s11, s10
	s_mul_i32 s10, s36, s8
	v_mad_u64_u32 v[6:7], null, s21, v10, v[3:4]
	v_and_b32_e32 v7, 63, v8
	v_mov_b32_e32 v3, v5
	v_lshlrev_b32_e32 v8, 4, v9
	s_lshl_b64 s[10:11], s[10:11], 4
	v_mov_b32_e32 v12, 0
	v_add_co_u32 v5, vcc_lo, v2, v7
	v_mad_u64_u32 v[2:3], null, s27, v9, v[3:4]
	v_add_co_ci_u32_e64 v6, null, 0, v6, vcc_lo
	v_lshlrev_b32_e32 v3, 4, v7
	v_lshl_or_b32 v8, v11, 6, v8
	v_mov_b32_e32 v16, 0
	v_lshlrev_b64 v[6:7], 4, v[5:6]
	v_mov_b32_e32 v5, v2
	v_lshl_or_b32 v92, v10, 10, v3
	v_mov_b32_e32 v10, 0
	v_mov_b32_e32 v14, 0
	v_mov_b32_e32 v20, 0
	v_lshlrev_b64 v[2:3], 4, v[4:5]
	v_add_co_u32 v26, vcc_lo, s6, v6
	v_add_co_ci_u32_e64 v27, null, s7, v7, vcc_lo
	s_lshl_b64 s[6:7], s[20:21], 6
	s_add_u32 s9, s24, s10
	s_addc_u32 s10, s25, s11
	v_add_co_u32 v28, vcc_lo, s9, v2
	v_mov_b32_e32 v18, 0
	v_mov_b32_e32 v40, 0
	;; [unrolled: 1-line block ×25, first 2 shown]
	v_lshlrev_b32_e32 v90, 4, v0
	v_lshl_add_u32 v91, v1, 6, 0x1000
	v_add_nc_u32_e32 v93, 0x1000, v8
	v_mov_b32_e32 v77, 0
	v_mov_b32_e32 v75, 0
	;; [unrolled: 1-line block ×32, first 2 shown]
	v_add_co_ci_u32_e64 v29, null, s10, v3, vcc_lo
	s_lshl_b64 s[10:11], s[26:27], 6
	s_mov_b64 s[18:19], 0
.LBB120_2:                              ; =>This Inner Loop Header: Depth=1
	global_load_dwordx4 v[2:5], v[26:27], off
	s_add_u32 s18, s18, 4
	s_addc_u32 s19, s19, 0
	v_add_co_u32 v26, vcc_lo, v26, s6
	v_cmp_lt_i64_e64 s9, s[18:19], s[12:13]
	v_add_co_ci_u32_e64 v27, null, s7, v27, vcc_lo
	s_waitcnt vmcnt(0)
	ds_write2_b64 v92, v[2:3], v[4:5] offset1:1
	global_load_dwordx4 v[2:5], v[28:29], off
	v_add_co_u32 v28, vcc_lo, v28, s10
	v_add_co_ci_u32_e64 v29, null, s11, v29, vcc_lo
	s_and_b32 vcc_lo, exec_lo, s9
	s_waitcnt vmcnt(0)
	ds_write2_b64 v93, v[2:3], v[4:5] offset1:1
	s_waitcnt lgkmcnt(0)
	s_barrier
	buffer_gl0_inv
	ds_read_b128 v[78:81], v91
	ds_read_b128 v[82:85], v91 offset:16
	ds_read_b128 v[6:9], v91 offset:32
	;; [unrolled: 1-line block ×3, first 2 shown]
	ds_read_b128 v[86:89], v90
	s_waitcnt lgkmcnt(0)
	v_mul_f64 v[94:95], v[80:81], v[88:89]
	v_mul_f64 v[96:97], v[78:79], v[88:89]
	v_fma_f64 v[94:95], v[78:79], v[86:87], -v[94:95]
	v_fma_f64 v[96:97], v[80:81], v[86:87], v[96:97]
	v_add_f64 v[98:99], v[48:49], v[94:95]
	v_add_f64 v[100:101], v[96:97], v[52:53]
	ds_read_b128 v[94:97], v90 offset:256
	s_waitcnt lgkmcnt(0)
	v_mul_f64 v[48:49], v[80:81], v[96:97]
	v_mul_f64 v[52:53], v[78:79], v[96:97]
	v_fma_f64 v[48:49], v[78:79], v[94:95], -v[48:49]
	v_fma_f64 v[52:53], v[80:81], v[94:95], v[52:53]
	v_add_f64 v[102:103], v[34:35], v[48:49]
	v_add_f64 v[104:105], v[52:53], v[36:37]
	ds_read_b128 v[34:37], v90 offset:512
	;; [unrolled: 8-line block ×4, first 2 shown]
	s_waitcnt lgkmcnt(0)
	v_mul_f64 v[48:49], v[24:25], v[88:89]
	v_mul_f64 v[52:53], v[22:23], v[88:89]
	v_fma_f64 v[48:49], v[22:23], v[86:87], -v[48:49]
	v_fma_f64 v[52:53], v[24:25], v[86:87], v[52:53]
	v_add_f64 v[70:71], v[70:71], v[48:49]
	v_mul_f64 v[48:49], v[24:25], v[96:97]
	v_add_f64 v[72:73], v[52:53], v[72:73]
	v_mul_f64 v[52:53], v[22:23], v[96:97]
	v_fma_f64 v[48:49], v[22:23], v[94:95], -v[48:49]
	v_fma_f64 v[52:53], v[24:25], v[94:95], v[52:53]
	v_add_f64 v[110:111], v[62:63], v[48:49]
	v_mul_f64 v[48:49], v[24:25], v[36:37]
	v_add_f64 v[112:113], v[52:53], v[64:65]
	;; [unrolled: 6-line block ×3, first 2 shown]
	v_fma_f64 v[48:49], v[22:23], v[30:31], -v[48:49]
	v_mul_f64 v[22:23], v[22:23], v[32:33]
	v_add_f64 v[118:119], v[42:43], v[48:49]
	v_fma_f64 v[22:23], v[24:25], v[30:31], v[22:23]
	v_add_f64 v[120:121], v[22:23], v[46:47]
	ds_read_b128 v[22:25], v91 offset:2048
	s_waitcnt lgkmcnt(0)
	v_mul_f64 v[42:43], v[24:25], v[88:89]
	v_mul_f64 v[46:47], v[22:23], v[88:89]
	v_fma_f64 v[42:43], v[22:23], v[86:87], -v[42:43]
	v_fma_f64 v[46:47], v[24:25], v[86:87], v[46:47]
	v_add_f64 v[122:123], v[66:67], v[42:43]
	v_mul_f64 v[42:43], v[24:25], v[96:97]
	v_add_f64 v[124:125], v[46:47], v[68:69]
	v_mul_f64 v[46:47], v[22:23], v[96:97]
	v_fma_f64 v[42:43], v[22:23], v[94:95], -v[42:43]
	v_fma_f64 v[46:47], v[24:25], v[94:95], v[46:47]
	v_add_f64 v[126:127], v[56:57], v[42:43]
	v_mul_f64 v[42:43], v[24:25], v[36:37]
	v_add_f64 v[128:129], v[46:47], v[60:61]
	;; [unrolled: 6-line block ×3, first 2 shown]
	v_fma_f64 v[42:43], v[22:23], v[30:31], -v[42:43]
	v_mul_f64 v[22:23], v[22:23], v[32:33]
	v_add_f64 v[134:135], v[38:39], v[42:43]
	v_fma_f64 v[22:23], v[24:25], v[30:31], v[22:23]
	v_add_f64 v[136:137], v[22:23], v[40:41]
	ds_read_b128 v[22:25], v91 offset:3072
	s_waitcnt lgkmcnt(0)
	v_mul_f64 v[38:39], v[24:25], v[88:89]
	v_mul_f64 v[40:41], v[22:23], v[88:89]
	v_fma_f64 v[38:39], v[22:23], v[86:87], -v[38:39]
	v_fma_f64 v[40:41], v[24:25], v[86:87], v[40:41]
	v_add_f64 v[58:59], v[18:19], v[38:39]
	v_add_f64 v[60:61], v[40:41], v[20:21]
	v_mul_f64 v[18:19], v[24:25], v[96:97]
	v_mul_f64 v[20:21], v[22:23], v[96:97]
	v_fma_f64 v[18:19], v[22:23], v[94:95], -v[18:19]
	v_fma_f64 v[20:21], v[24:25], v[94:95], v[20:21]
	v_add_f64 v[54:55], v[14:15], v[18:19]
	v_add_f64 v[56:57], v[20:21], v[16:17]
	v_mul_f64 v[14:15], v[24:25], v[36:37]
	v_mul_f64 v[16:17], v[22:23], v[36:37]
	ds_read_b128 v[18:21], v90 offset:1280
	v_fma_f64 v[14:15], v[22:23], v[34:35], -v[14:15]
	v_fma_f64 v[16:17], v[24:25], v[34:35], v[16:17]
	v_add_f64 v[50:51], v[10:11], v[14:15]
	v_add_f64 v[52:53], v[16:17], v[12:13]
	v_mul_f64 v[10:11], v[24:25], v[32:33]
	v_mul_f64 v[12:13], v[22:23], v[32:33]
	ds_read_b128 v[14:17], v90 offset:1536
	v_fma_f64 v[10:11], v[22:23], v[30:31], -v[10:11]
	v_fma_f64 v[12:13], v[24:25], v[30:31], v[12:13]
	ds_read_b128 v[22:25], v90 offset:1024
	v_add_f64 v[46:47], v[74:75], v[10:11]
	v_add_f64 v[48:49], v[12:13], v[76:77]
	s_waitcnt lgkmcnt(0)
	v_mul_f64 v[10:11], v[84:85], v[24:25]
	v_mul_f64 v[12:13], v[82:83], v[24:25]
	ds_read_b128 v[74:77], v91 offset:1040
	v_fma_f64 v[10:11], v[82:83], v[22:23], -v[10:11]
	v_fma_f64 v[12:13], v[84:85], v[22:23], v[12:13]
	s_waitcnt lgkmcnt(0)
	v_mul_f64 v[62:63], v[76:77], v[24:25]
	v_mul_f64 v[64:65], v[74:75], v[24:25]
	;; [unrolled: 1-line block ×4, first 2 shown]
	v_add_f64 v[42:43], v[98:99], v[10:11]
	v_add_f64 v[44:45], v[12:13], v[100:101]
	v_mul_f64 v[10:11], v[84:85], v[20:21]
	v_mul_f64 v[12:13], v[82:83], v[20:21]
	v_fma_f64 v[62:63], v[74:75], v[22:23], -v[62:63]
	v_fma_f64 v[64:65], v[76:77], v[22:23], v[64:65]
	v_fma_f64 v[66:67], v[74:75], v[18:19], -v[66:67]
	v_fma_f64 v[68:69], v[76:77], v[18:19], v[68:69]
	;; [unrolled: 2-line block ×3, first 2 shown]
	v_add_f64 v[62:63], v[70:71], v[62:63]
	v_mul_f64 v[70:71], v[76:77], v[16:17]
	v_add_f64 v[64:65], v[64:65], v[72:73]
	v_mul_f64 v[72:73], v[74:75], v[16:17]
	v_add_f64 v[66:67], v[110:111], v[66:67]
	v_add_f64 v[68:69], v[68:69], v[112:113]
	;; [unrolled: 1-line block ×4, first 2 shown]
	v_mul_f64 v[10:11], v[84:85], v[16:17]
	v_mul_f64 v[12:13], v[82:83], v[16:17]
	v_fma_f64 v[70:71], v[74:75], v[14:15], -v[70:71]
	v_fma_f64 v[72:73], v[76:77], v[14:15], v[72:73]
	v_fma_f64 v[10:11], v[82:83], v[14:15], -v[10:11]
	v_fma_f64 v[12:13], v[84:85], v[14:15], v[12:13]
	v_add_f64 v[70:71], v[114:115], v[70:71]
	v_add_f64 v[72:73], v[72:73], v[116:117]
	;; [unrolled: 1-line block ×4, first 2 shown]
	ds_read_b128 v[10:13], v90 offset:1792
	s_waitcnt lgkmcnt(0)
	v_mul_f64 v[30:31], v[84:85], v[12:13]
	v_mul_f64 v[32:33], v[82:83], v[12:13]
	v_fma_f64 v[30:31], v[82:83], v[10:11], -v[30:31]
	v_fma_f64 v[32:33], v[84:85], v[10:11], v[32:33]
	v_add_f64 v[30:31], v[78:79], v[30:31]
	v_mul_f64 v[78:79], v[76:77], v[12:13]
	v_add_f64 v[32:33], v[32:33], v[80:81]
	v_fma_f64 v[78:79], v[74:75], v[10:11], -v[78:79]
	v_mul_f64 v[74:75], v[74:75], v[12:13]
	v_fma_f64 v[76:77], v[76:77], v[10:11], v[74:75]
	v_add_f64 v[74:75], v[118:119], v[78:79]
	ds_read_b128 v[78:81], v91 offset:2064
	s_waitcnt lgkmcnt(0)
	v_mul_f64 v[82:83], v[80:81], v[24:25]
	v_mul_f64 v[86:87], v[80:81], v[20:21]
	;; [unrolled: 1-line block ×7, first 2 shown]
	v_add_f64 v[76:77], v[76:77], v[120:121]
	v_fma_f64 v[82:83], v[78:79], v[22:23], -v[82:83]
	v_fma_f64 v[86:87], v[78:79], v[18:19], -v[86:87]
	;; [unrolled: 1-line block ×4, first 2 shown]
	v_mul_f64 v[78:79], v[78:79], v[12:13]
	v_fma_f64 v[84:85], v[80:81], v[22:23], v[84:85]
	v_fma_f64 v[88:89], v[80:81], v[18:19], v[88:89]
	;; [unrolled: 1-line block ×3, first 2 shown]
	v_add_f64 v[82:83], v[122:123], v[82:83]
	v_add_f64 v[86:87], v[126:127], v[86:87]
	;; [unrolled: 1-line block ×4, first 2 shown]
	v_fma_f64 v[78:79], v[80:81], v[10:11], v[78:79]
	v_add_f64 v[84:85], v[84:85], v[124:125]
	v_add_f64 v[88:89], v[88:89], v[128:129]
	;; [unrolled: 1-line block ×4, first 2 shown]
	ds_read_b128 v[78:81], v91 offset:3088
	s_waitcnt lgkmcnt(0)
	v_mul_f64 v[102:103], v[80:81], v[24:25]
	v_mul_f64 v[24:25], v[78:79], v[24:25]
	v_fma_f64 v[102:103], v[78:79], v[22:23], -v[102:103]
	v_fma_f64 v[22:23], v[80:81], v[22:23], v[24:25]
	v_add_f64 v[58:59], v[58:59], v[102:103]
	v_add_f64 v[60:61], v[22:23], v[60:61]
	v_mul_f64 v[22:23], v[80:81], v[20:21]
	v_mul_f64 v[20:21], v[78:79], v[20:21]
	v_fma_f64 v[22:23], v[78:79], v[18:19], -v[22:23]
	v_fma_f64 v[18:19], v[80:81], v[18:19], v[20:21]
	v_add_f64 v[54:55], v[54:55], v[22:23]
	v_add_f64 v[56:57], v[18:19], v[56:57]
	;; [unrolled: 6-line block ×4, first 2 shown]
	ds_read_b128 v[10:13], v90 offset:2048
	s_waitcnt lgkmcnt(0)
	v_mul_f64 v[14:15], v[8:9], v[12:13]
	v_mul_f64 v[16:17], v[6:7], v[12:13]
	v_fma_f64 v[14:15], v[6:7], v[10:11], -v[14:15]
	v_fma_f64 v[16:17], v[8:9], v[10:11], v[16:17]
	v_add_f64 v[42:43], v[42:43], v[14:15]
	v_add_f64 v[44:45], v[16:17], v[44:45]
	ds_read_b128 v[14:17], v90 offset:2304
	s_waitcnt lgkmcnt(0)
	v_mul_f64 v[18:19], v[8:9], v[16:17]
	v_mul_f64 v[20:21], v[6:7], v[16:17]
	v_fma_f64 v[18:19], v[6:7], v[14:15], -v[18:19]
	v_fma_f64 v[20:21], v[8:9], v[14:15], v[20:21]
	v_add_f64 v[38:39], v[38:39], v[18:19]
	v_add_f64 v[40:41], v[20:21], v[40:41]
	;; [unrolled: 8-line block ×3, first 2 shown]
	ds_read_b128 v[22:25], v90 offset:2816
	s_waitcnt lgkmcnt(0)
	v_mul_f64 v[34:35], v[8:9], v[24:25]
	v_fma_f64 v[34:35], v[6:7], v[22:23], -v[34:35]
	v_mul_f64 v[6:7], v[6:7], v[24:25]
	v_add_f64 v[106:107], v[30:31], v[34:35]
	v_fma_f64 v[6:7], v[8:9], v[22:23], v[6:7]
	v_add_f64 v[108:109], v[6:7], v[32:33]
	ds_read_b128 v[6:9], v91 offset:1056
	s_waitcnt lgkmcnt(0)
	v_mul_f64 v[30:31], v[8:9], v[12:13]
	v_mul_f64 v[32:33], v[6:7], v[12:13]
	v_fma_f64 v[30:31], v[6:7], v[10:11], -v[30:31]
	v_fma_f64 v[32:33], v[8:9], v[10:11], v[32:33]
	v_add_f64 v[62:63], v[62:63], v[30:31]
	v_mul_f64 v[30:31], v[8:9], v[16:17]
	v_add_f64 v[64:65], v[32:33], v[64:65]
	v_mul_f64 v[32:33], v[6:7], v[16:17]
	v_fma_f64 v[30:31], v[6:7], v[14:15], -v[30:31]
	v_fma_f64 v[32:33], v[8:9], v[14:15], v[32:33]
	v_add_f64 v[66:67], v[66:67], v[30:31]
	v_mul_f64 v[30:31], v[8:9], v[20:21]
	v_add_f64 v[68:69], v[32:33], v[68:69]
	;; [unrolled: 6-line block ×3, first 2 shown]
	v_fma_f64 v[30:31], v[6:7], v[22:23], -v[30:31]
	v_mul_f64 v[6:7], v[6:7], v[24:25]
	v_add_f64 v[114:115], v[74:75], v[30:31]
	v_fma_f64 v[6:7], v[8:9], v[22:23], v[6:7]
	v_add_f64 v[116:117], v[6:7], v[76:77]
	ds_read_b128 v[6:9], v91 offset:2080
	s_waitcnt lgkmcnt(0)
	v_mul_f64 v[30:31], v[8:9], v[12:13]
	v_mul_f64 v[32:33], v[6:7], v[12:13]
	v_fma_f64 v[30:31], v[6:7], v[10:11], -v[30:31]
	v_fma_f64 v[32:33], v[8:9], v[10:11], v[32:33]
	v_add_f64 v[118:119], v[82:83], v[30:31]
	v_mul_f64 v[30:31], v[8:9], v[16:17]
	v_add_f64 v[120:121], v[32:33], v[84:85]
	v_mul_f64 v[32:33], v[6:7], v[16:17]
	v_fma_f64 v[30:31], v[6:7], v[14:15], -v[30:31]
	v_fma_f64 v[32:33], v[8:9], v[14:15], v[32:33]
	v_add_f64 v[122:123], v[86:87], v[30:31]
	v_mul_f64 v[30:31], v[8:9], v[20:21]
	v_add_f64 v[124:125], v[32:33], v[88:89]
	;; [unrolled: 6-line block ×3, first 2 shown]
	v_fma_f64 v[30:31], v[6:7], v[22:23], -v[30:31]
	v_mul_f64 v[6:7], v[6:7], v[24:25]
	v_add_f64 v[98:99], v[98:99], v[30:31]
	v_fma_f64 v[6:7], v[8:9], v[22:23], v[6:7]
	v_add_f64 v[100:101], v[6:7], v[100:101]
	ds_read_b128 v[6:9], v91 offset:3104
	s_waitcnt lgkmcnt(0)
	v_mul_f64 v[30:31], v[8:9], v[12:13]
	v_mul_f64 v[12:13], v[6:7], v[12:13]
	v_fma_f64 v[30:31], v[6:7], v[10:11], -v[30:31]
	v_fma_f64 v[10:11], v[8:9], v[10:11], v[12:13]
	v_mul_f64 v[12:13], v[6:7], v[16:17]
	v_add_f64 v[86:87], v[58:59], v[30:31]
	v_add_f64 v[88:89], v[10:11], v[60:61]
	v_mul_f64 v[10:11], v[8:9], v[16:17]
	v_fma_f64 v[12:13], v[8:9], v[14:15], v[12:13]
	v_fma_f64 v[10:11], v[6:7], v[14:15], -v[10:11]
	v_add_f64 v[84:85], v[12:13], v[56:57]
	v_mul_f64 v[12:13], v[6:7], v[20:21]
	ds_read_b128 v[14:17], v90 offset:3328
	v_add_f64 v[82:83], v[54:55], v[10:11]
	v_mul_f64 v[10:11], v[8:9], v[20:21]
	v_fma_f64 v[12:13], v[8:9], v[18:19], v[12:13]
	v_fma_f64 v[10:11], v[6:7], v[18:19], -v[10:11]
	ds_read_b128 v[18:21], v90 offset:3072
	v_add_f64 v[80:81], v[12:13], v[52:53]
	v_add_f64 v[78:79], v[50:51], v[10:11]
	v_mul_f64 v[10:11], v[8:9], v[24:25]
	v_fma_f64 v[10:11], v[6:7], v[22:23], -v[10:11]
	v_mul_f64 v[6:7], v[6:7], v[24:25]
	v_add_f64 v[74:75], v[46:47], v[10:11]
	v_fma_f64 v[6:7], v[8:9], v[22:23], v[6:7]
	s_waitcnt lgkmcnt(0)
	v_mul_f64 v[8:9], v[2:3], v[20:21]
	ds_read_b128 v[10:13], v90 offset:3584
	v_add_f64 v[76:77], v[6:7], v[48:49]
	v_mul_f64 v[6:7], v[4:5], v[20:21]
	v_fma_f64 v[8:9], v[4:5], v[18:19], v[8:9]
	v_fma_f64 v[6:7], v[2:3], v[18:19], -v[6:7]
	v_add_f64 v[52:53], v[8:9], v[44:45]
	v_mul_f64 v[8:9], v[2:3], v[16:17]
	v_add_f64 v[48:49], v[42:43], v[6:7]
	v_mul_f64 v[6:7], v[4:5], v[16:17]
	v_fma_f64 v[8:9], v[4:5], v[14:15], v[8:9]
	v_fma_f64 v[6:7], v[2:3], v[14:15], -v[6:7]
	v_add_f64 v[36:37], v[8:9], v[40:41]
	s_waitcnt lgkmcnt(0)
	v_mul_f64 v[8:9], v[2:3], v[12:13]
	v_add_f64 v[34:35], v[38:39], v[6:7]
	v_mul_f64 v[6:7], v[4:5], v[12:13]
	v_fma_f64 v[8:9], v[4:5], v[10:11], v[8:9]
	v_fma_f64 v[6:7], v[2:3], v[10:11], -v[6:7]
	v_add_f64 v[32:33], v[8:9], v[104:105]
	v_add_f64 v[30:31], v[102:103], v[6:7]
	ds_read_b128 v[6:9], v90 offset:3840
	s_waitcnt lgkmcnt(0)
	v_mul_f64 v[22:23], v[4:5], v[8:9]
	v_fma_f64 v[22:23], v[2:3], v[6:7], -v[22:23]
	v_mul_f64 v[2:3], v[2:3], v[8:9]
	v_add_f64 v[22:23], v[106:107], v[22:23]
	v_fma_f64 v[2:3], v[4:5], v[6:7], v[2:3]
	v_add_f64 v[24:25], v[2:3], v[108:109]
	ds_read_b128 v[2:5], v91 offset:1072
	s_waitcnt lgkmcnt(0)
	v_mul_f64 v[38:39], v[4:5], v[20:21]
	v_mul_f64 v[40:41], v[2:3], v[20:21]
	v_fma_f64 v[38:39], v[2:3], v[18:19], -v[38:39]
	v_fma_f64 v[40:41], v[4:5], v[18:19], v[40:41]
	v_add_f64 v[70:71], v[62:63], v[38:39]
	v_mul_f64 v[38:39], v[4:5], v[16:17]
	v_add_f64 v[72:73], v[40:41], v[64:65]
	v_mul_f64 v[40:41], v[2:3], v[16:17]
	v_fma_f64 v[38:39], v[2:3], v[14:15], -v[38:39]
	v_fma_f64 v[40:41], v[4:5], v[14:15], v[40:41]
	v_add_f64 v[62:63], v[66:67], v[38:39]
	v_mul_f64 v[38:39], v[4:5], v[12:13]
	v_add_f64 v[64:65], v[40:41], v[68:69]
	v_mul_f64 v[40:41], v[2:3], v[12:13]
	v_fma_f64 v[38:39], v[2:3], v[10:11], -v[38:39]
	v_fma_f64 v[40:41], v[4:5], v[10:11], v[40:41]
	v_add_f64 v[54:55], v[110:111], v[38:39]
	v_mul_f64 v[38:39], v[4:5], v[8:9]
	v_add_f64 v[58:59], v[40:41], v[112:113]
	v_fma_f64 v[38:39], v[2:3], v[6:7], -v[38:39]
	v_mul_f64 v[2:3], v[2:3], v[8:9]
	v_add_f64 v[42:43], v[114:115], v[38:39]
	v_fma_f64 v[2:3], v[4:5], v[6:7], v[2:3]
	v_add_f64 v[46:47], v[2:3], v[116:117]
	ds_read_b128 v[2:5], v91 offset:2096
	s_waitcnt lgkmcnt(0)
	v_mul_f64 v[38:39], v[4:5], v[20:21]
	v_mul_f64 v[40:41], v[2:3], v[20:21]
	v_fma_f64 v[38:39], v[2:3], v[18:19], -v[38:39]
	v_fma_f64 v[40:41], v[4:5], v[18:19], v[40:41]
	v_add_f64 v[66:67], v[118:119], v[38:39]
	v_mul_f64 v[38:39], v[4:5], v[16:17]
	v_add_f64 v[68:69], v[40:41], v[120:121]
	v_mul_f64 v[40:41], v[2:3], v[16:17]
	v_fma_f64 v[38:39], v[2:3], v[14:15], -v[38:39]
	v_fma_f64 v[40:41], v[4:5], v[14:15], v[40:41]
	v_add_f64 v[56:57], v[122:123], v[38:39]
	v_mul_f64 v[38:39], v[4:5], v[12:13]
	v_add_f64 v[60:61], v[40:41], v[124:125]
	;; [unrolled: 6-line block ×3, first 2 shown]
	v_fma_f64 v[38:39], v[2:3], v[6:7], -v[38:39]
	v_mul_f64 v[2:3], v[2:3], v[8:9]
	v_add_f64 v[38:39], v[98:99], v[38:39]
	v_fma_f64 v[2:3], v[4:5], v[6:7], v[2:3]
	v_add_f64 v[40:41], v[2:3], v[100:101]
	ds_read_b128 v[2:5], v91 offset:3120
	s_waitcnt lgkmcnt(0)
	s_barrier
	buffer_gl0_inv
	v_mul_f64 v[94:95], v[4:5], v[20:21]
	v_mul_f64 v[20:21], v[2:3], v[20:21]
	v_fma_f64 v[94:95], v[2:3], v[18:19], -v[94:95]
	v_fma_f64 v[20:21], v[4:5], v[18:19], v[20:21]
	v_add_f64 v[18:19], v[86:87], v[94:95]
	v_mul_f64 v[86:87], v[4:5], v[16:17]
	v_mul_f64 v[16:17], v[2:3], v[16:17]
	v_add_f64 v[20:21], v[20:21], v[88:89]
	v_fma_f64 v[86:87], v[2:3], v[14:15], -v[86:87]
	v_fma_f64 v[16:17], v[4:5], v[14:15], v[16:17]
	v_add_f64 v[14:15], v[82:83], v[86:87]
	v_mul_f64 v[82:83], v[4:5], v[12:13]
	v_mul_f64 v[12:13], v[2:3], v[12:13]
	v_add_f64 v[16:17], v[16:17], v[84:85]
	v_fma_f64 v[82:83], v[2:3], v[10:11], -v[82:83]
	v_fma_f64 v[12:13], v[4:5], v[10:11], v[12:13]
	v_add_f64 v[10:11], v[78:79], v[82:83]
	v_mul_f64 v[78:79], v[4:5], v[8:9]
	v_add_f64 v[12:13], v[12:13], v[80:81]
	v_fma_f64 v[78:79], v[2:3], v[6:7], -v[78:79]
	v_mul_f64 v[2:3], v[2:3], v[8:9]
	v_add_f64 v[74:75], v[74:75], v[78:79]
	v_fma_f64 v[2:3], v[4:5], v[6:7], v[2:3]
	v_add_f64 v[76:77], v[2:3], v[76:77]
	s_cbranch_vccnz .LBB120_2
	s_branch .LBB120_4
.LBB120_3:
	v_mov_b32_e32 v48, 0
	v_mov_b32_e32 v52, 0
	;; [unrolled: 1-line block ×64, first 2 shown]
.LBB120_4:
	s_load_dwordx2 s[4:5], s[4:5], 0x90
	v_cmp_neq_f64_e64 s6, s[38:39], 0
	v_cmp_neq_f64_e64 s7, s[40:41], 0
	v_add_co_u32 v6, s2, s2, v1
	v_add_co_u32 v0, s0, s0, v0
	v_add_co_ci_u32_e64 v7, null, s3, 0, s2
	v_add_co_ci_u32_e64 v1, null, s1, 0, s0
	s_waitcnt lgkmcnt(0)
	s_mul_i32 s5, s5, s8
	s_mul_hi_u32 s9, s4, s8
	s_mul_i32 s4, s4, s8
	s_add_i32 s5, s9, s5
	s_lshl_b64 s[4:5], s[4:5], 4
	s_add_u32 s2, s48, s4
	s_addc_u32 s3, s49, s5
	s_or_b32 s4, s6, s7
	s_and_b32 vcc_lo, exec_lo, s4
	s_cbranch_vccnz .LBB120_6
; %bb.5:
	v_mul_f64 v[4:5], s[16:17], v[52:53]
	v_mul_f64 v[8:9], s[14:15], v[52:53]
	v_mul_lo_u32 v78, v7, s50
	v_mul_lo_u32 v79, v6, s51
	v_mad_u64_u32 v[2:3], null, v6, s50, 0
	v_mul_f64 v[26:27], s[16:17], v[36:37]
	v_mul_f64 v[28:29], s[14:15], v[36:37]
	;; [unrolled: 1-line block ×6, first 2 shown]
	v_add3_u32 v3, v3, v79, v78
	v_mul_f64 v[78:79], s[16:17], v[32:33]
	v_mul_f64 v[88:89], s[14:15], v[72:73]
	;; [unrolled: 1-line block ×4, first 2 shown]
	v_lshlrev_b64 v[2:3], 4, v[2:3]
	v_mul_f64 v[94:95], s[16:17], v[58:59]
	v_mul_f64 v[96:97], s[14:15], v[58:59]
	;; [unrolled: 1-line block ×4, first 2 shown]
	s_lshl_b64 s[0:1], s[50:51], 8
	v_add_co_u32 v104, vcc_lo, s2, v2
	v_add_co_ci_u32_e64 v105, null, s3, v3, vcc_lo
	v_fma_f64 v[2:3], s[14:15], v[48:49], -v[4:5]
	v_fma_f64 v[4:5], s[16:17], v[48:49], v[8:9]
	v_lshlrev_b64 v[8:9], 4, v[0:1]
	v_fma_f64 v[26:27], s[14:15], v[34:35], -v[26:27]
	v_fma_f64 v[28:29], s[16:17], v[34:35], v[28:29]
	v_fma_f64 v[80:81], s[16:17], v[30:31], v[80:81]
	v_fma_f64 v[82:83], s[14:15], v[22:23], -v[82:83]
	v_fma_f64 v[84:85], s[16:17], v[22:23], v[84:85]
	v_add_co_u32 v102, vcc_lo, v104, v8
	v_fma_f64 v[78:79], s[14:15], v[30:31], -v[78:79]
	v_add_co_ci_u32_e64 v103, null, v105, v9, vcc_lo
	v_fma_f64 v[86:87], s[14:15], v[70:71], -v[86:87]
	v_fma_f64 v[88:89], s[16:17], v[70:71], v[88:89]
	v_fma_f64 v[90:91], s[14:15], v[62:63], -v[90:91]
	v_fma_f64 v[92:93], s[16:17], v[62:63], v[92:93]
	;; [unrolled: 2-line block ×3, first 2 shown]
	v_add_co_u32 v106, vcc_lo, v104, s0
	v_add_co_ci_u32_e64 v107, null, s1, v105, vcc_lo
	global_store_dwordx4 v[102:103], v[2:5], off
	v_fma_f64 v[2:3], s[14:15], v[42:43], -v[98:99]
	v_fma_f64 v[4:5], s[16:17], v[42:43], v[100:101]
	v_add_co_u32 v104, vcc_lo, v106, v8
	v_add_co_ci_u32_e64 v105, null, v107, v9, vcc_lo
	global_store_dwordx4 v[102:103], v[26:29], off offset:256
	global_store_dwordx4 v[102:103], v[78:81], off offset:512
	;; [unrolled: 1-line block ×3, first 2 shown]
	global_store_dwordx4 v[104:105], v[86:89], off
	global_store_dwordx4 v[104:105], v[90:93], off offset:256
	global_store_dwordx4 v[104:105], v[94:97], off offset:512
	v_mul_f64 v[26:27], s[16:17], v[68:69]
	v_mul_f64 v[28:29], s[14:15], v[68:69]
	;; [unrolled: 1-line block ×12, first 2 shown]
	global_store_dwordx4 v[104:105], v[2:5], off offset:768
	v_mul_f64 v[2:3], s[16:17], v[76:77]
	v_mul_f64 v[4:5], s[14:15], v[76:77]
	;; [unrolled: 1-line block ×4, first 2 shown]
	v_add_co_u32 v104, vcc_lo, v106, s0
	v_add_co_ci_u32_e64 v105, null, s1, v107, vcc_lo
	v_fma_f64 v[26:27], s[14:15], v[66:67], -v[26:27]
	v_fma_f64 v[28:29], s[16:17], v[66:67], v[28:29]
	v_fma_f64 v[78:79], s[14:15], v[56:57], -v[78:79]
	v_fma_f64 v[80:81], s[16:17], v[56:57], v[80:81]
	;; [unrolled: 2-line block ×6, first 2 shown]
	v_add_co_u32 v106, vcc_lo, v104, s0
	v_fma_f64 v[102:103], s[14:15], v[74:75], -v[2:3]
	v_fma_f64 v[2:3], s[16:17], v[74:75], v[4:5]
	v_fma_f64 v[98:99], s[14:15], v[10:11], -v[98:99]
	v_fma_f64 v[100:101], s[16:17], v[10:11], v[100:101]
	v_add_co_ci_u32_e64 v107, null, s1, v105, vcc_lo
	v_add_co_u32 v4, vcc_lo, v104, v8
	v_add_co_ci_u32_e64 v5, null, v105, v9, vcc_lo
	v_add_co_u32 v8, vcc_lo, v106, v8
	v_add_co_ci_u32_e64 v9, null, v107, v9, vcc_lo
	global_store_dwordx4 v[4:5], v[26:29], off
	global_store_dwordx4 v[4:5], v[78:81], off offset:256
	global_store_dwordx4 v[4:5], v[82:85], off offset:512
	;; [unrolled: 1-line block ×3, first 2 shown]
	global_store_dwordx4 v[8:9], v[90:93], off
	v_add_co_u32 v4, vcc_lo, 0x300, v8
	v_add_co_ci_u32_e64 v5, null, 0, v9, vcc_lo
	global_store_dwordx4 v[8:9], v[94:97], off offset:256
	global_store_dwordx4 v[8:9], v[98:101], off offset:512
	global_store_dwordx2 v[8:9], v[102:103], off offset:768
	s_cbranch_execz .LBB120_7
	s_branch .LBB120_8
.LBB120_6:
                                        ; implicit-def: $vgpr2_vgpr3
                                        ; implicit-def: $vgpr4_vgpr5
.LBB120_7:
	v_mul_lo_u32 v4, v7, s44
	v_mul_lo_u32 v5, v6, s45
	v_mad_u64_u32 v[2:3], null, v6, s44, 0
	s_mul_i32 s1, s47, s8
	s_mul_hi_u32 s4, s46, s8
	s_mul_i32 s0, s46, s8
	s_add_i32 s1, s4, s1
	v_mul_f64 v[26:27], s[16:17], v[52:53]
	s_lshl_b64 s[0:1], s[0:1], 4
	v_add3_u32 v3, v3, v5, v4
	s_add_u32 s0, s42, s0
	v_lshlrev_b64 v[4:5], 4, v[0:1]
	s_addc_u32 s1, s43, s1
	v_mul_f64 v[28:29], s[14:15], v[52:53]
	v_lshlrev_b64 v[2:3], 4, v[2:3]
	v_add_co_u32 v78, vcc_lo, s0, v2
	v_add_co_ci_u32_e64 v79, null, s1, v3, vcc_lo
	s_lshl_b64 s[0:1], s[44:45], 8
	v_add_co_u32 v8, vcc_lo, v78, v4
	v_add_co_ci_u32_e64 v9, null, v79, v5, vcc_lo
	v_fma_f64 v[26:27], s[14:15], v[48:49], -v[26:27]
	global_load_dwordx4 v[0:3], v[8:9], off
	v_fma_f64 v[28:29], s[16:17], v[48:49], v[28:29]
	s_waitcnt vmcnt(0)
	v_mul_f64 v[52:53], s[40:41], v[2:3]
	v_mul_f64 v[2:3], s[38:39], v[2:3]
	v_fma_f64 v[48:49], s[38:39], v[0:1], -v[52:53]
	v_fma_f64 v[2:3], s[40:41], v[0:1], v[2:3]
	v_mul_lo_u32 v0, v7, s50
	v_mul_lo_u32 v1, v6, s51
	v_mad_u64_u32 v[6:7], null, v6, s50, 0
	v_add3_u32 v7, v7, v1, v0
	v_lshlrev_b64 v[6:7], 4, v[6:7]
	v_add_f64 v[0:1], v[26:27], v[48:49]
	v_add_f64 v[2:3], v[28:29], v[2:3]
	v_add_co_u32 v48, vcc_lo, s2, v6
	v_add_co_ci_u32_e64 v49, null, s3, v7, vcc_lo
	v_mul_f64 v[26:27], s[16:17], v[36:37]
	v_add_co_u32 v6, vcc_lo, v48, v4
	v_add_co_ci_u32_e64 v7, null, v49, v5, vcc_lo
	v_mul_f64 v[28:29], s[14:15], v[36:37]
	s_lshl_b64 s[2:3], s[50:51], 8
	global_store_dwordx4 v[6:7], v[0:3], off
	global_load_dwordx4 v[0:3], v[8:9], off offset:256
	v_fma_f64 v[26:27], s[14:15], v[34:35], -v[26:27]
	v_fma_f64 v[28:29], s[16:17], v[34:35], v[28:29]
	s_waitcnt vmcnt(0)
	v_mul_f64 v[36:37], s[40:41], v[2:3]
	v_mul_f64 v[2:3], s[38:39], v[2:3]
	v_fma_f64 v[34:35], s[38:39], v[0:1], -v[36:37]
	v_fma_f64 v[2:3], s[40:41], v[0:1], v[2:3]
	v_add_f64 v[0:1], v[26:27], v[34:35]
	v_add_f64 v[2:3], v[28:29], v[2:3]
	v_mul_f64 v[26:27], s[16:17], v[32:33]
	v_mul_f64 v[28:29], s[14:15], v[32:33]
	global_store_dwordx4 v[6:7], v[0:3], off offset:256
	global_load_dwordx4 v[0:3], v[8:9], off offset:512
	v_fma_f64 v[26:27], s[14:15], v[30:31], -v[26:27]
	v_fma_f64 v[28:29], s[16:17], v[30:31], v[28:29]
	s_waitcnt vmcnt(0)
	v_mul_f64 v[32:33], s[40:41], v[2:3]
	v_mul_f64 v[2:3], s[38:39], v[2:3]
	v_fma_f64 v[30:31], s[38:39], v[0:1], -v[32:33]
	v_fma_f64 v[2:3], s[40:41], v[0:1], v[2:3]
	v_add_f64 v[0:1], v[26:27], v[30:31]
	v_add_f64 v[2:3], v[28:29], v[2:3]
	v_add_co_u32 v28, vcc_lo, v78, s0
	v_add_co_ci_u32_e64 v29, null, s1, v79, vcc_lo
	global_store_dwordx4 v[6:7], v[0:3], off offset:512
	global_load_dwordx4 v[0:3], v[8:9], off offset:768
	v_mul_f64 v[8:9], s[16:17], v[24:25]
	v_mul_f64 v[24:25], s[14:15], v[24:25]
	v_fma_f64 v[8:9], s[14:15], v[22:23], -v[8:9]
	v_fma_f64 v[22:23], s[16:17], v[22:23], v[24:25]
	s_waitcnt vmcnt(0)
	v_mul_f64 v[26:27], s[40:41], v[2:3]
	v_mul_f64 v[2:3], s[38:39], v[2:3]
	v_fma_f64 v[24:25], s[38:39], v[0:1], -v[26:27]
	v_fma_f64 v[2:3], s[40:41], v[0:1], v[2:3]
	v_add_f64 v[0:1], v[8:9], v[24:25]
	v_add_f64 v[2:3], v[22:23], v[2:3]
	v_add_co_u32 v8, vcc_lo, v28, v4
	v_add_co_ci_u32_e64 v9, null, v29, v5, vcc_lo
	v_mul_f64 v[22:23], s[14:15], v[72:73]
	v_add_co_u32 v30, vcc_lo, v48, s2
	v_add_co_ci_u32_e64 v31, null, s3, v49, vcc_lo
	global_store_dwordx4 v[6:7], v[0:3], off offset:768
	global_load_dwordx4 v[0:3], v[8:9], off
	v_mul_f64 v[6:7], s[16:17], v[72:73]
	v_fma_f64 v[22:23], s[16:17], v[70:71], v[22:23]
	v_fma_f64 v[6:7], s[14:15], v[70:71], -v[6:7]
	s_waitcnt vmcnt(0)
	v_mul_f64 v[24:25], s[40:41], v[2:3]
	v_mul_f64 v[2:3], s[38:39], v[2:3]
	v_fma_f64 v[24:25], s[38:39], v[0:1], -v[24:25]
	v_fma_f64 v[2:3], s[40:41], v[0:1], v[2:3]
	v_add_f64 v[0:1], v[6:7], v[24:25]
	v_add_f64 v[2:3], v[22:23], v[2:3]
	v_add_co_u32 v6, vcc_lo, v30, v4
	v_add_co_ci_u32_e64 v7, null, v31, v5, vcc_lo
	v_mul_f64 v[22:23], s[16:17], v[64:65]
	v_mul_f64 v[24:25], s[14:15], v[64:65]
	v_add_co_u32 v28, vcc_lo, v28, s0
	v_add_co_ci_u32_e64 v29, null, s1, v29, vcc_lo
	global_store_dwordx4 v[6:7], v[0:3], off
	global_load_dwordx4 v[0:3], v[8:9], off offset:256
	v_fma_f64 v[22:23], s[14:15], v[62:63], -v[22:23]
	v_fma_f64 v[24:25], s[16:17], v[62:63], v[24:25]
	s_waitcnt vmcnt(0)
	v_mul_f64 v[26:27], s[40:41], v[2:3]
	v_mul_f64 v[2:3], s[38:39], v[2:3]
	v_fma_f64 v[26:27], s[38:39], v[0:1], -v[26:27]
	v_fma_f64 v[2:3], s[40:41], v[0:1], v[2:3]
	v_add_f64 v[0:1], v[22:23], v[26:27]
	v_add_f64 v[2:3], v[24:25], v[2:3]
	v_mul_f64 v[22:23], s[16:17], v[58:59]
	v_mul_f64 v[24:25], s[14:15], v[58:59]
	global_store_dwordx4 v[6:7], v[0:3], off offset:256
	global_load_dwordx4 v[0:3], v[8:9], off offset:512
	v_fma_f64 v[22:23], s[14:15], v[54:55], -v[22:23]
	v_fma_f64 v[24:25], s[16:17], v[54:55], v[24:25]
	s_waitcnt vmcnt(0)
	v_mul_f64 v[26:27], s[40:41], v[2:3]
	v_mul_f64 v[2:3], s[38:39], v[2:3]
	v_fma_f64 v[26:27], s[38:39], v[0:1], -v[26:27]
	v_fma_f64 v[2:3], s[40:41], v[0:1], v[2:3]
	v_add_f64 v[0:1], v[22:23], v[26:27]
	v_add_f64 v[2:3], v[24:25], v[2:3]
	v_mul_f64 v[22:23], s[14:15], v[46:47]
	global_store_dwordx4 v[6:7], v[0:3], off offset:512
	global_load_dwordx4 v[0:3], v[8:9], off offset:768
	v_mul_f64 v[8:9], s[16:17], v[46:47]
	v_fma_f64 v[22:23], s[16:17], v[42:43], v[22:23]
	v_fma_f64 v[8:9], s[14:15], v[42:43], -v[8:9]
	s_waitcnt vmcnt(0)
	v_mul_f64 v[24:25], s[40:41], v[2:3]
	v_mul_f64 v[2:3], s[38:39], v[2:3]
	v_fma_f64 v[24:25], s[38:39], v[0:1], -v[24:25]
	v_fma_f64 v[2:3], s[40:41], v[0:1], v[2:3]
	v_add_f64 v[0:1], v[8:9], v[24:25]
	v_add_f64 v[2:3], v[22:23], v[2:3]
	v_add_co_u32 v8, vcc_lo, v28, v4
	v_add_co_ci_u32_e64 v9, null, v29, v5, vcc_lo
	v_mul_f64 v[22:23], s[14:15], v[68:69]
	v_add_co_u32 v30, vcc_lo, v30, s2
	v_add_co_ci_u32_e64 v31, null, s3, v31, vcc_lo
	global_store_dwordx4 v[6:7], v[0:3], off offset:768
	global_load_dwordx4 v[0:3], v[8:9], off
	v_mul_f64 v[6:7], s[16:17], v[68:69]
	v_fma_f64 v[22:23], s[16:17], v[66:67], v[22:23]
	v_fma_f64 v[6:7], s[14:15], v[66:67], -v[6:7]
	s_waitcnt vmcnt(0)
	v_mul_f64 v[24:25], s[40:41], v[2:3]
	v_mul_f64 v[2:3], s[38:39], v[2:3]
	v_fma_f64 v[24:25], s[38:39], v[0:1], -v[24:25]
	v_fma_f64 v[2:3], s[40:41], v[0:1], v[2:3]
	v_add_f64 v[0:1], v[6:7], v[24:25]
	v_add_f64 v[2:3], v[22:23], v[2:3]
	v_add_co_u32 v6, vcc_lo, v30, v4
	v_add_co_ci_u32_e64 v7, null, v31, v5, vcc_lo
	v_mul_f64 v[22:23], s[16:17], v[60:61]
	v_mul_f64 v[24:25], s[14:15], v[60:61]
	global_store_dwordx4 v[6:7], v[0:3], off
	global_load_dwordx4 v[0:3], v[8:9], off offset:256
	v_fma_f64 v[22:23], s[14:15], v[56:57], -v[22:23]
	v_fma_f64 v[24:25], s[16:17], v[56:57], v[24:25]
	s_waitcnt vmcnt(0)
	v_mul_f64 v[26:27], s[40:41], v[2:3]
	v_mul_f64 v[2:3], s[38:39], v[2:3]
	v_fma_f64 v[26:27], s[38:39], v[0:1], -v[26:27]
	v_fma_f64 v[2:3], s[40:41], v[0:1], v[2:3]
	v_add_f64 v[0:1], v[22:23], v[26:27]
	v_add_f64 v[2:3], v[24:25], v[2:3]
	v_mul_f64 v[22:23], s[16:17], v[50:51]
	v_mul_f64 v[24:25], s[14:15], v[50:51]
	global_store_dwordx4 v[6:7], v[0:3], off offset:256
	global_load_dwordx4 v[0:3], v[8:9], off offset:512
	v_fma_f64 v[22:23], s[14:15], v[44:45], -v[22:23]
	v_fma_f64 v[24:25], s[16:17], v[44:45], v[24:25]
	s_waitcnt vmcnt(0)
	v_mul_f64 v[26:27], s[40:41], v[2:3]
	v_mul_f64 v[2:3], s[38:39], v[2:3]
	v_fma_f64 v[26:27], s[38:39], v[0:1], -v[26:27]
	v_fma_f64 v[2:3], s[40:41], v[0:1], v[2:3]
	v_add_f64 v[0:1], v[22:23], v[26:27]
	v_add_f64 v[2:3], v[24:25], v[2:3]
	v_mul_f64 v[22:23], s[14:15], v[40:41]
	global_store_dwordx4 v[6:7], v[0:3], off offset:512
	global_load_dwordx4 v[0:3], v[8:9], off offset:768
	v_mul_f64 v[8:9], s[16:17], v[40:41]
	v_fma_f64 v[22:23], s[16:17], v[38:39], v[22:23]
	v_fma_f64 v[8:9], s[14:15], v[38:39], -v[8:9]
	s_waitcnt vmcnt(0)
	v_mul_f64 v[24:25], s[40:41], v[2:3]
	v_mul_f64 v[2:3], s[38:39], v[2:3]
	v_fma_f64 v[24:25], s[38:39], v[0:1], -v[24:25]
	v_fma_f64 v[2:3], s[40:41], v[0:1], v[2:3]
	v_add_f64 v[0:1], v[8:9], v[24:25]
	v_add_f64 v[2:3], v[22:23], v[2:3]
	v_add_co_u32 v8, vcc_lo, v28, s0
	v_add_co_ci_u32_e64 v9, null, s1, v29, vcc_lo
	v_add_co_u32 v8, vcc_lo, v8, v4
	v_add_co_ci_u32_e64 v9, null, v9, v5, vcc_lo
	global_store_dwordx4 v[6:7], v[0:3], off offset:768
	global_load_dwordx4 v[0:3], v[8:9], off
	v_mul_f64 v[6:7], s[16:17], v[20:21]
	v_mul_f64 v[20:21], s[14:15], v[20:21]
	v_fma_f64 v[6:7], s[14:15], v[18:19], -v[6:7]
	v_fma_f64 v[18:19], s[16:17], v[18:19], v[20:21]
	s_waitcnt vmcnt(0)
	v_mul_f64 v[22:23], s[40:41], v[2:3]
	v_mul_f64 v[2:3], s[38:39], v[2:3]
	v_fma_f64 v[20:21], s[38:39], v[0:1], -v[22:23]
	v_fma_f64 v[2:3], s[40:41], v[0:1], v[2:3]
	v_add_f64 v[0:1], v[6:7], v[20:21]
	v_add_f64 v[2:3], v[18:19], v[2:3]
	v_add_co_u32 v6, vcc_lo, v30, s2
	v_add_co_ci_u32_e64 v7, null, s3, v31, vcc_lo
	v_add_co_u32 v6, vcc_lo, v6, v4
	v_add_co_ci_u32_e64 v7, null, v7, v5, vcc_lo
	v_mul_f64 v[4:5], s[16:17], v[16:17]
	v_mul_f64 v[16:17], s[14:15], v[16:17]
	global_store_dwordx4 v[6:7], v[0:3], off
	global_load_dwordx4 v[0:3], v[8:9], off offset:256
	v_fma_f64 v[4:5], s[14:15], v[14:15], -v[4:5]
	v_fma_f64 v[14:15], s[16:17], v[14:15], v[16:17]
	s_waitcnt vmcnt(0)
	v_mul_f64 v[18:19], s[40:41], v[2:3]
	v_mul_f64 v[2:3], s[38:39], v[2:3]
	v_fma_f64 v[16:17], s[38:39], v[0:1], -v[18:19]
	v_fma_f64 v[2:3], s[40:41], v[0:1], v[2:3]
	v_add_f64 v[0:1], v[4:5], v[16:17]
	v_add_f64 v[2:3], v[14:15], v[2:3]
	v_mul_f64 v[4:5], s[16:17], v[12:13]
	v_mul_f64 v[12:13], s[14:15], v[12:13]
	global_store_dwordx4 v[6:7], v[0:3], off offset:256
	global_load_dwordx4 v[0:3], v[8:9], off offset:512
	v_fma_f64 v[4:5], s[14:15], v[10:11], -v[4:5]
	v_fma_f64 v[10:11], s[16:17], v[10:11], v[12:13]
	s_waitcnt vmcnt(0)
	v_mul_f64 v[14:15], s[40:41], v[2:3]
	v_mul_f64 v[2:3], s[38:39], v[2:3]
	v_fma_f64 v[12:13], s[38:39], v[0:1], -v[14:15]
	v_fma_f64 v[2:3], s[40:41], v[0:1], v[2:3]
	v_add_f64 v[0:1], v[4:5], v[12:13]
	v_add_f64 v[2:3], v[10:11], v[2:3]
	v_mul_f64 v[4:5], s[16:17], v[76:77]
	global_store_dwordx4 v[6:7], v[0:3], off offset:512
	global_load_dwordx4 v[0:3], v[8:9], off offset:768
	v_mul_f64 v[8:9], s[14:15], v[76:77]
	v_fma_f64 v[4:5], s[14:15], v[74:75], -v[4:5]
	v_fma_f64 v[8:9], s[16:17], v[74:75], v[8:9]
	s_waitcnt vmcnt(0)
	v_mul_f64 v[10:11], s[40:41], v[2:3]
	v_mul_f64 v[2:3], s[38:39], v[2:3]
	v_fma_f64 v[10:11], s[38:39], v[0:1], -v[10:11]
	v_fma_f64 v[0:1], s[40:41], v[0:1], v[2:3]
	v_add_f64 v[10:11], v[4:5], v[10:11]
	v_add_f64 v[2:3], v[8:9], v[0:1]
	v_add_co_u32 v4, vcc_lo, 0x300, v6
	v_add_co_ci_u32_e64 v5, null, 0, v7, vcc_lo
	global_store_dwordx2 v[6:7], v[10:11], off offset:768
.LBB120_8:
	global_store_dwordx2 v[4:5], v[2:3], off offset:8
	s_endpgm
	.section	.rodata,"a",@progbits
	.p2align	6, 0x0
	.amdhsa_kernel _ZN12_GLOBAL__N_127rocblas_gemm_batched_kernelI19rocblas_complex_numIdELi16ELi16ELi64ELi64ELi4ELi64ELi4ELi4ELi64ELc78ELc84EKS2_S3_S2_EEvlllT_PT11_llS6_llS4_PT12_llPT13_lli
		.amdhsa_group_segment_fixed_size 8192
		.amdhsa_private_segment_fixed_size 0
		.amdhsa_kernarg_size 156
		.amdhsa_user_sgpr_count 6
		.amdhsa_user_sgpr_private_segment_buffer 1
		.amdhsa_user_sgpr_dispatch_ptr 0
		.amdhsa_user_sgpr_queue_ptr 0
		.amdhsa_user_sgpr_kernarg_segment_ptr 1
		.amdhsa_user_sgpr_dispatch_id 0
		.amdhsa_user_sgpr_flat_scratch_init 0
		.amdhsa_user_sgpr_private_segment_size 0
		.amdhsa_wavefront_size32 1
		.amdhsa_uses_dynamic_stack 0
		.amdhsa_system_sgpr_private_segment_wavefront_offset 0
		.amdhsa_system_sgpr_workgroup_id_x 1
		.amdhsa_system_sgpr_workgroup_id_y 1
		.amdhsa_system_sgpr_workgroup_id_z 1
		.amdhsa_system_sgpr_workgroup_info 0
		.amdhsa_system_vgpr_workitem_id 1
		.amdhsa_next_free_vgpr 138
		.amdhsa_next_free_sgpr 52
		.amdhsa_reserve_vcc 1
		.amdhsa_reserve_flat_scratch 0
		.amdhsa_float_round_mode_32 0
		.amdhsa_float_round_mode_16_64 0
		.amdhsa_float_denorm_mode_32 3
		.amdhsa_float_denorm_mode_16_64 3
		.amdhsa_dx10_clamp 1
		.amdhsa_ieee_mode 1
		.amdhsa_fp16_overflow 0
		.amdhsa_workgroup_processor_mode 1
		.amdhsa_memory_ordered 1
		.amdhsa_forward_progress 1
		.amdhsa_shared_vgpr_count 0
		.amdhsa_exception_fp_ieee_invalid_op 0
		.amdhsa_exception_fp_denorm_src 0
		.amdhsa_exception_fp_ieee_div_zero 0
		.amdhsa_exception_fp_ieee_overflow 0
		.amdhsa_exception_fp_ieee_underflow 0
		.amdhsa_exception_fp_ieee_inexact 0
		.amdhsa_exception_int_div_zero 0
	.end_amdhsa_kernel
	.section	.text._ZN12_GLOBAL__N_127rocblas_gemm_batched_kernelI19rocblas_complex_numIdELi16ELi16ELi64ELi64ELi4ELi64ELi4ELi4ELi64ELc78ELc84EKS2_S3_S2_EEvlllT_PT11_llS6_llS4_PT12_llPT13_lli,"axG",@progbits,_ZN12_GLOBAL__N_127rocblas_gemm_batched_kernelI19rocblas_complex_numIdELi16ELi16ELi64ELi64ELi4ELi64ELi4ELi4ELi64ELc78ELc84EKS2_S3_S2_EEvlllT_PT11_llS6_llS4_PT12_llPT13_lli,comdat
.Lfunc_end120:
	.size	_ZN12_GLOBAL__N_127rocblas_gemm_batched_kernelI19rocblas_complex_numIdELi16ELi16ELi64ELi64ELi4ELi64ELi4ELi4ELi64ELc78ELc84EKS2_S3_S2_EEvlllT_PT11_llS6_llS4_PT12_llPT13_lli, .Lfunc_end120-_ZN12_GLOBAL__N_127rocblas_gemm_batched_kernelI19rocblas_complex_numIdELi16ELi16ELi64ELi64ELi4ELi64ELi4ELi4ELi64ELc78ELc84EKS2_S3_S2_EEvlllT_PT11_llS6_llS4_PT12_llPT13_lli
                                        ; -- End function
	.set _ZN12_GLOBAL__N_127rocblas_gemm_batched_kernelI19rocblas_complex_numIdELi16ELi16ELi64ELi64ELi4ELi64ELi4ELi4ELi64ELc78ELc84EKS2_S3_S2_EEvlllT_PT11_llS6_llS4_PT12_llPT13_lli.num_vgpr, 138
	.set _ZN12_GLOBAL__N_127rocblas_gemm_batched_kernelI19rocblas_complex_numIdELi16ELi16ELi64ELi64ELi4ELi64ELi4ELi4ELi64ELc78ELc84EKS2_S3_S2_EEvlllT_PT11_llS6_llS4_PT12_llPT13_lli.num_agpr, 0
	.set _ZN12_GLOBAL__N_127rocblas_gemm_batched_kernelI19rocblas_complex_numIdELi16ELi16ELi64ELi64ELi4ELi64ELi4ELi4ELi64ELc78ELc84EKS2_S3_S2_EEvlllT_PT11_llS6_llS4_PT12_llPT13_lli.numbered_sgpr, 52
	.set _ZN12_GLOBAL__N_127rocblas_gemm_batched_kernelI19rocblas_complex_numIdELi16ELi16ELi64ELi64ELi4ELi64ELi4ELi4ELi64ELc78ELc84EKS2_S3_S2_EEvlllT_PT11_llS6_llS4_PT12_llPT13_lli.num_named_barrier, 0
	.set _ZN12_GLOBAL__N_127rocblas_gemm_batched_kernelI19rocblas_complex_numIdELi16ELi16ELi64ELi64ELi4ELi64ELi4ELi4ELi64ELc78ELc84EKS2_S3_S2_EEvlllT_PT11_llS6_llS4_PT12_llPT13_lli.private_seg_size, 0
	.set _ZN12_GLOBAL__N_127rocblas_gemm_batched_kernelI19rocblas_complex_numIdELi16ELi16ELi64ELi64ELi4ELi64ELi4ELi4ELi64ELc78ELc84EKS2_S3_S2_EEvlllT_PT11_llS6_llS4_PT12_llPT13_lli.uses_vcc, 1
	.set _ZN12_GLOBAL__N_127rocblas_gemm_batched_kernelI19rocblas_complex_numIdELi16ELi16ELi64ELi64ELi4ELi64ELi4ELi4ELi64ELc78ELc84EKS2_S3_S2_EEvlllT_PT11_llS6_llS4_PT12_llPT13_lli.uses_flat_scratch, 0
	.set _ZN12_GLOBAL__N_127rocblas_gemm_batched_kernelI19rocblas_complex_numIdELi16ELi16ELi64ELi64ELi4ELi64ELi4ELi4ELi64ELc78ELc84EKS2_S3_S2_EEvlllT_PT11_llS6_llS4_PT12_llPT13_lli.has_dyn_sized_stack, 0
	.set _ZN12_GLOBAL__N_127rocblas_gemm_batched_kernelI19rocblas_complex_numIdELi16ELi16ELi64ELi64ELi4ELi64ELi4ELi4ELi64ELc78ELc84EKS2_S3_S2_EEvlllT_PT11_llS6_llS4_PT12_llPT13_lli.has_recursion, 0
	.set _ZN12_GLOBAL__N_127rocblas_gemm_batched_kernelI19rocblas_complex_numIdELi16ELi16ELi64ELi64ELi4ELi64ELi4ELi4ELi64ELc78ELc84EKS2_S3_S2_EEvlllT_PT11_llS6_llS4_PT12_llPT13_lli.has_indirect_call, 0
	.section	.AMDGPU.csdata,"",@progbits
; Kernel info:
; codeLenInByte = 7348
; TotalNumSgprs: 54
; NumVgprs: 138
; ScratchSize: 0
; MemoryBound: 0
; FloatMode: 240
; IeeeMode: 1
; LDSByteSize: 8192 bytes/workgroup (compile time only)
; SGPRBlocks: 0
; VGPRBlocks: 17
; NumSGPRsForWavesPerEU: 54
; NumVGPRsForWavesPerEU: 138
; Occupancy: 7
; WaveLimiterHint : 1
; COMPUTE_PGM_RSRC2:SCRATCH_EN: 0
; COMPUTE_PGM_RSRC2:USER_SGPR: 6
; COMPUTE_PGM_RSRC2:TRAP_HANDLER: 0
; COMPUTE_PGM_RSRC2:TGID_X_EN: 1
; COMPUTE_PGM_RSRC2:TGID_Y_EN: 1
; COMPUTE_PGM_RSRC2:TGID_Z_EN: 1
; COMPUTE_PGM_RSRC2:TIDIG_COMP_CNT: 1
	.section	.text._ZN12_GLOBAL__N_127rocblas_gemm_batched_kernelI19rocblas_complex_numIdELi16ELi16ELi64ELi64ELi4ELi64ELi4ELi4ELi64ELc84ELc84EKS2_S3_S2_EEvlllT_PT11_llS6_llS4_PT12_llPT13_lli,"axG",@progbits,_ZN12_GLOBAL__N_127rocblas_gemm_batched_kernelI19rocblas_complex_numIdELi16ELi16ELi64ELi64ELi4ELi64ELi4ELi4ELi64ELc84ELc84EKS2_S3_S2_EEvlllT_PT11_llS6_llS4_PT12_llPT13_lli,comdat
	.globl	_ZN12_GLOBAL__N_127rocblas_gemm_batched_kernelI19rocblas_complex_numIdELi16ELi16ELi64ELi64ELi4ELi64ELi4ELi4ELi64ELc84ELc84EKS2_S3_S2_EEvlllT_PT11_llS6_llS4_PT12_llPT13_lli ; -- Begin function _ZN12_GLOBAL__N_127rocblas_gemm_batched_kernelI19rocblas_complex_numIdELi16ELi16ELi64ELi64ELi4ELi64ELi4ELi4ELi64ELc84ELc84EKS2_S3_S2_EEvlllT_PT11_llS6_llS4_PT12_llPT13_lli
	.p2align	8
	.type	_ZN12_GLOBAL__N_127rocblas_gemm_batched_kernelI19rocblas_complex_numIdELi16ELi16ELi64ELi64ELi4ELi64ELi4ELi4ELi64ELc84ELc84EKS2_S3_S2_EEvlllT_PT11_llS6_llS4_PT12_llPT13_lli,@function
_ZN12_GLOBAL__N_127rocblas_gemm_batched_kernelI19rocblas_complex_numIdELi16ELi16ELi64ELi64ELi4ELi64ELi4ELi4ELi64ELc84ELc84EKS2_S3_S2_EEvlllT_PT11_llS6_llS4_PT12_llPT13_lli: ; @_ZN12_GLOBAL__N_127rocblas_gemm_batched_kernelI19rocblas_complex_numIdELi16ELi16ELi64ELi64ELi4ELi64ELi4ELi4ELi64ELc84ELc84EKS2_S3_S2_EEvlllT_PT11_llS6_llS4_PT12_llPT13_lli
; %bb.0:
	s_clause 0x1
	s_load_dwordx16 s[12:27], s[4:5], 0x10
	s_load_dwordx16 s[36:51], s[4:5], 0x50
	s_mov_b32 s2, s7
	s_ashr_i32 s7, s6, 31
	s_ashr_i32 s3, s2, 31
	s_lshl_b64 s[0:1], s[6:7], 6
	s_lshl_b64 s[2:3], s[2:3], 6
	s_waitcnt lgkmcnt(0)
	v_cmp_lt_i64_e64 s9, s[12:13], 1
	s_and_b32 vcc_lo, exec_lo, s9
	s_cbranch_vccnz .LBB121_3
; %bb.1:
	v_lshl_add_u32 v6, v1, 4, v0
	v_and_b32_e32 v7, 3, v0
	s_mul_i32 s7, s23, s8
	s_mul_hi_u32 s9, s22, s8
	v_mov_b32_e32 v76, 0
	v_lshrrev_b32_e32 v8, 2, v6
	v_and_b32_e32 v9, 63, v6
	v_lshrrev_b32_e32 v12, 6, v6
	v_lshlrev_b32_e32 v13, 4, v7
	s_add_i32 s7, s9, s7
	v_add_co_u32 v2, s6, v8, s2
	v_add_co_ci_u32_e64 v3, null, 0, s3, s6
	v_add_co_u32 v4, s6, s0, v9
	v_add_co_ci_u32_e64 v5, null, s1, 0, s6
	v_mad_u64_u32 v[2:3], null, s26, v7, v[2:3]
	v_mul_lo_u32 v10, s21, v4
	v_mul_lo_u32 v11, s20, v5
	v_mad_u64_u32 v[4:5], null, s20, v4, 0
	s_mul_i32 s6, s22, s8
	v_mov_b32_e32 v74, 0
	s_lshl_b64 s[6:7], s[6:7], 4
	v_mov_b32_e32 v16, 0
	v_mov_b32_e32 v14, 0
	;; [unrolled: 1-line block ×3, first 2 shown]
	v_add3_u32 v5, v5, v11, v10
	v_mad_u64_u32 v[6:7], null, s27, v7, v[3:4]
	v_lshlrev_b32_e32 v3, 4, v9
	v_lshl_or_b32 v7, v8, 6, v13
	v_lshlrev_b64 v[4:5], 4, v[4:5]
	v_mov_b32_e32 v10, 0
	v_mov_b32_e32 v18, 0
	v_lshl_or_b32 v92, v12, 10, v3
	v_mov_b32_e32 v3, v6
	v_lshlrev_b32_e32 v6, 4, v12
	v_add_co_u32 v4, vcc_lo, v4, s6
	v_add_co_ci_u32_e64 v5, null, s7, v5, vcc_lo
	s_mul_i32 s6, s37, s8
	s_mul_hi_u32 s7, s36, s8
	v_add_co_u32 v4, vcc_lo, v4, v6
	s_add_i32 s7, s7, s6
	s_mul_i32 s6, s36, s8
	v_lshlrev_b64 v[2:3], 4, v[2:3]
	v_add_co_ci_u32_e64 v5, null, 0, v5, vcc_lo
	s_lshl_b64 s[6:7], s[6:7], 4
	v_add_co_u32 v26, vcc_lo, s18, v4
	s_add_u32 s6, s24, s6
	v_add_co_ci_u32_e64 v27, null, s19, v5, vcc_lo
	s_addc_u32 s7, s25, s7
	v_add_co_u32 v28, vcc_lo, s6, v2
	v_mov_b32_e32 v12, 0
	v_mov_b32_e32 v40, 0
	;; [unrolled: 1-line block ×25, first 2 shown]
	v_lshlrev_b32_e32 v90, 4, v0
	v_lshl_add_u32 v91, v1, 6, 0x1000
	v_add_nc_u32_e32 v93, 0x1000, v7
	v_mov_b32_e32 v77, 0
	v_mov_b32_e32 v75, 0
	;; [unrolled: 1-line block ×32, first 2 shown]
	v_add_co_ci_u32_e64 v29, null, s7, v3, vcc_lo
	s_lshl_b64 s[6:7], s[26:27], 6
	s_mov_b64 s[10:11], 0
.LBB121_2:                              ; =>This Inner Loop Header: Depth=1
	global_load_dwordx4 v[2:5], v[26:27], off
	s_add_u32 s10, s10, 4
	s_addc_u32 s11, s11, 0
	v_add_co_u32 v26, vcc_lo, v26, 64
	v_cmp_lt_i64_e64 s9, s[10:11], s[12:13]
	v_add_co_ci_u32_e64 v27, null, 0, v27, vcc_lo
	s_waitcnt vmcnt(0)
	ds_write2_b64 v92, v[2:3], v[4:5] offset1:1
	global_load_dwordx4 v[2:5], v[28:29], off
	v_add_co_u32 v28, vcc_lo, v28, s6
	v_add_co_ci_u32_e64 v29, null, s7, v29, vcc_lo
	s_and_b32 vcc_lo, exec_lo, s9
	s_waitcnt vmcnt(0)
	ds_write2_b64 v93, v[2:3], v[4:5] offset1:1
	s_waitcnt lgkmcnt(0)
	s_barrier
	buffer_gl0_inv
	ds_read_b128 v[78:81], v91
	ds_read_b128 v[82:85], v91 offset:16
	ds_read_b128 v[6:9], v91 offset:32
	;; [unrolled: 1-line block ×3, first 2 shown]
	ds_read_b128 v[86:89], v90
	s_waitcnt lgkmcnt(0)
	v_mul_f64 v[94:95], v[80:81], v[88:89]
	v_mul_f64 v[96:97], v[78:79], v[88:89]
	v_fma_f64 v[94:95], v[78:79], v[86:87], -v[94:95]
	v_fma_f64 v[96:97], v[80:81], v[86:87], v[96:97]
	v_add_f64 v[98:99], v[48:49], v[94:95]
	v_add_f64 v[100:101], v[96:97], v[52:53]
	ds_read_b128 v[94:97], v90 offset:256
	s_waitcnt lgkmcnt(0)
	v_mul_f64 v[48:49], v[80:81], v[96:97]
	v_mul_f64 v[52:53], v[78:79], v[96:97]
	v_fma_f64 v[48:49], v[78:79], v[94:95], -v[48:49]
	v_fma_f64 v[52:53], v[80:81], v[94:95], v[52:53]
	v_add_f64 v[102:103], v[34:35], v[48:49]
	v_add_f64 v[104:105], v[52:53], v[36:37]
	ds_read_b128 v[34:37], v90 offset:512
	;; [unrolled: 8-line block ×4, first 2 shown]
	s_waitcnt lgkmcnt(0)
	v_mul_f64 v[48:49], v[24:25], v[88:89]
	v_mul_f64 v[52:53], v[22:23], v[88:89]
	v_fma_f64 v[48:49], v[22:23], v[86:87], -v[48:49]
	v_fma_f64 v[52:53], v[24:25], v[86:87], v[52:53]
	v_add_f64 v[70:71], v[70:71], v[48:49]
	v_mul_f64 v[48:49], v[24:25], v[96:97]
	v_add_f64 v[72:73], v[52:53], v[72:73]
	v_mul_f64 v[52:53], v[22:23], v[96:97]
	v_fma_f64 v[48:49], v[22:23], v[94:95], -v[48:49]
	v_fma_f64 v[52:53], v[24:25], v[94:95], v[52:53]
	v_add_f64 v[110:111], v[62:63], v[48:49]
	v_mul_f64 v[48:49], v[24:25], v[36:37]
	v_add_f64 v[112:113], v[52:53], v[64:65]
	;; [unrolled: 6-line block ×3, first 2 shown]
	v_fma_f64 v[48:49], v[22:23], v[30:31], -v[48:49]
	v_mul_f64 v[22:23], v[22:23], v[32:33]
	v_add_f64 v[118:119], v[42:43], v[48:49]
	v_fma_f64 v[22:23], v[24:25], v[30:31], v[22:23]
	v_add_f64 v[120:121], v[22:23], v[46:47]
	ds_read_b128 v[22:25], v91 offset:2048
	s_waitcnt lgkmcnt(0)
	v_mul_f64 v[42:43], v[24:25], v[88:89]
	v_mul_f64 v[46:47], v[22:23], v[88:89]
	v_fma_f64 v[42:43], v[22:23], v[86:87], -v[42:43]
	v_fma_f64 v[46:47], v[24:25], v[86:87], v[46:47]
	v_add_f64 v[122:123], v[66:67], v[42:43]
	v_mul_f64 v[42:43], v[24:25], v[96:97]
	v_add_f64 v[124:125], v[46:47], v[68:69]
	v_mul_f64 v[46:47], v[22:23], v[96:97]
	v_fma_f64 v[42:43], v[22:23], v[94:95], -v[42:43]
	v_fma_f64 v[46:47], v[24:25], v[94:95], v[46:47]
	v_add_f64 v[126:127], v[56:57], v[42:43]
	v_mul_f64 v[42:43], v[24:25], v[36:37]
	v_add_f64 v[128:129], v[46:47], v[60:61]
	;; [unrolled: 6-line block ×3, first 2 shown]
	v_fma_f64 v[42:43], v[22:23], v[30:31], -v[42:43]
	v_mul_f64 v[22:23], v[22:23], v[32:33]
	v_add_f64 v[134:135], v[38:39], v[42:43]
	v_fma_f64 v[22:23], v[24:25], v[30:31], v[22:23]
	v_add_f64 v[136:137], v[22:23], v[40:41]
	ds_read_b128 v[22:25], v91 offset:3072
	s_waitcnt lgkmcnt(0)
	v_mul_f64 v[38:39], v[24:25], v[88:89]
	v_mul_f64 v[40:41], v[22:23], v[88:89]
	v_fma_f64 v[38:39], v[22:23], v[86:87], -v[38:39]
	v_fma_f64 v[40:41], v[24:25], v[86:87], v[40:41]
	v_add_f64 v[58:59], v[18:19], v[38:39]
	v_add_f64 v[60:61], v[40:41], v[20:21]
	v_mul_f64 v[18:19], v[24:25], v[96:97]
	v_mul_f64 v[20:21], v[22:23], v[96:97]
	v_fma_f64 v[18:19], v[22:23], v[94:95], -v[18:19]
	v_fma_f64 v[20:21], v[24:25], v[94:95], v[20:21]
	v_add_f64 v[54:55], v[14:15], v[18:19]
	v_add_f64 v[56:57], v[20:21], v[16:17]
	v_mul_f64 v[14:15], v[24:25], v[36:37]
	v_mul_f64 v[16:17], v[22:23], v[36:37]
	ds_read_b128 v[18:21], v90 offset:1280
	v_fma_f64 v[14:15], v[22:23], v[34:35], -v[14:15]
	v_fma_f64 v[16:17], v[24:25], v[34:35], v[16:17]
	v_add_f64 v[50:51], v[10:11], v[14:15]
	v_add_f64 v[52:53], v[16:17], v[12:13]
	v_mul_f64 v[10:11], v[24:25], v[32:33]
	v_mul_f64 v[12:13], v[22:23], v[32:33]
	ds_read_b128 v[14:17], v90 offset:1536
	v_fma_f64 v[10:11], v[22:23], v[30:31], -v[10:11]
	v_fma_f64 v[12:13], v[24:25], v[30:31], v[12:13]
	ds_read_b128 v[22:25], v90 offset:1024
	v_add_f64 v[46:47], v[74:75], v[10:11]
	v_add_f64 v[48:49], v[12:13], v[76:77]
	s_waitcnt lgkmcnt(0)
	v_mul_f64 v[10:11], v[84:85], v[24:25]
	v_mul_f64 v[12:13], v[82:83], v[24:25]
	ds_read_b128 v[74:77], v91 offset:1040
	v_fma_f64 v[10:11], v[82:83], v[22:23], -v[10:11]
	v_fma_f64 v[12:13], v[84:85], v[22:23], v[12:13]
	s_waitcnt lgkmcnt(0)
	v_mul_f64 v[62:63], v[76:77], v[24:25]
	v_mul_f64 v[64:65], v[74:75], v[24:25]
	v_mul_f64 v[66:67], v[76:77], v[20:21]
	v_mul_f64 v[68:69], v[74:75], v[20:21]
	v_add_f64 v[42:43], v[98:99], v[10:11]
	v_add_f64 v[44:45], v[12:13], v[100:101]
	v_mul_f64 v[10:11], v[84:85], v[20:21]
	v_mul_f64 v[12:13], v[82:83], v[20:21]
	v_fma_f64 v[62:63], v[74:75], v[22:23], -v[62:63]
	v_fma_f64 v[64:65], v[76:77], v[22:23], v[64:65]
	v_fma_f64 v[66:67], v[74:75], v[18:19], -v[66:67]
	v_fma_f64 v[68:69], v[76:77], v[18:19], v[68:69]
	;; [unrolled: 2-line block ×3, first 2 shown]
	v_add_f64 v[62:63], v[70:71], v[62:63]
	v_mul_f64 v[70:71], v[76:77], v[16:17]
	v_add_f64 v[64:65], v[64:65], v[72:73]
	v_mul_f64 v[72:73], v[74:75], v[16:17]
	v_add_f64 v[66:67], v[110:111], v[66:67]
	v_add_f64 v[68:69], v[68:69], v[112:113]
	;; [unrolled: 1-line block ×4, first 2 shown]
	v_mul_f64 v[10:11], v[84:85], v[16:17]
	v_mul_f64 v[12:13], v[82:83], v[16:17]
	v_fma_f64 v[70:71], v[74:75], v[14:15], -v[70:71]
	v_fma_f64 v[72:73], v[76:77], v[14:15], v[72:73]
	v_fma_f64 v[10:11], v[82:83], v[14:15], -v[10:11]
	v_fma_f64 v[12:13], v[84:85], v[14:15], v[12:13]
	v_add_f64 v[70:71], v[114:115], v[70:71]
	v_add_f64 v[72:73], v[72:73], v[116:117]
	;; [unrolled: 1-line block ×4, first 2 shown]
	ds_read_b128 v[10:13], v90 offset:1792
	s_waitcnt lgkmcnt(0)
	v_mul_f64 v[30:31], v[84:85], v[12:13]
	v_mul_f64 v[32:33], v[82:83], v[12:13]
	v_fma_f64 v[30:31], v[82:83], v[10:11], -v[30:31]
	v_fma_f64 v[32:33], v[84:85], v[10:11], v[32:33]
	v_add_f64 v[30:31], v[78:79], v[30:31]
	v_mul_f64 v[78:79], v[76:77], v[12:13]
	v_add_f64 v[32:33], v[32:33], v[80:81]
	v_fma_f64 v[78:79], v[74:75], v[10:11], -v[78:79]
	v_mul_f64 v[74:75], v[74:75], v[12:13]
	v_fma_f64 v[76:77], v[76:77], v[10:11], v[74:75]
	v_add_f64 v[74:75], v[118:119], v[78:79]
	ds_read_b128 v[78:81], v91 offset:2064
	s_waitcnt lgkmcnt(0)
	v_mul_f64 v[82:83], v[80:81], v[24:25]
	v_mul_f64 v[86:87], v[80:81], v[20:21]
	;; [unrolled: 1-line block ×7, first 2 shown]
	v_add_f64 v[76:77], v[76:77], v[120:121]
	v_fma_f64 v[82:83], v[78:79], v[22:23], -v[82:83]
	v_fma_f64 v[86:87], v[78:79], v[18:19], -v[86:87]
	;; [unrolled: 1-line block ×4, first 2 shown]
	v_mul_f64 v[78:79], v[78:79], v[12:13]
	v_fma_f64 v[84:85], v[80:81], v[22:23], v[84:85]
	v_fma_f64 v[88:89], v[80:81], v[18:19], v[88:89]
	;; [unrolled: 1-line block ×3, first 2 shown]
	v_add_f64 v[82:83], v[122:123], v[82:83]
	v_add_f64 v[86:87], v[126:127], v[86:87]
	;; [unrolled: 1-line block ×4, first 2 shown]
	v_fma_f64 v[78:79], v[80:81], v[10:11], v[78:79]
	v_add_f64 v[84:85], v[84:85], v[124:125]
	v_add_f64 v[88:89], v[88:89], v[128:129]
	;; [unrolled: 1-line block ×4, first 2 shown]
	ds_read_b128 v[78:81], v91 offset:3088
	s_waitcnt lgkmcnt(0)
	v_mul_f64 v[102:103], v[80:81], v[24:25]
	v_mul_f64 v[24:25], v[78:79], v[24:25]
	v_fma_f64 v[102:103], v[78:79], v[22:23], -v[102:103]
	v_fma_f64 v[22:23], v[80:81], v[22:23], v[24:25]
	v_add_f64 v[58:59], v[58:59], v[102:103]
	v_add_f64 v[60:61], v[22:23], v[60:61]
	v_mul_f64 v[22:23], v[80:81], v[20:21]
	v_mul_f64 v[20:21], v[78:79], v[20:21]
	v_fma_f64 v[22:23], v[78:79], v[18:19], -v[22:23]
	v_fma_f64 v[18:19], v[80:81], v[18:19], v[20:21]
	v_add_f64 v[54:55], v[54:55], v[22:23]
	v_add_f64 v[56:57], v[18:19], v[56:57]
	;; [unrolled: 6-line block ×4, first 2 shown]
	ds_read_b128 v[10:13], v90 offset:2048
	s_waitcnt lgkmcnt(0)
	v_mul_f64 v[14:15], v[8:9], v[12:13]
	v_mul_f64 v[16:17], v[6:7], v[12:13]
	v_fma_f64 v[14:15], v[6:7], v[10:11], -v[14:15]
	v_fma_f64 v[16:17], v[8:9], v[10:11], v[16:17]
	v_add_f64 v[42:43], v[42:43], v[14:15]
	v_add_f64 v[44:45], v[16:17], v[44:45]
	ds_read_b128 v[14:17], v90 offset:2304
	s_waitcnt lgkmcnt(0)
	v_mul_f64 v[18:19], v[8:9], v[16:17]
	v_mul_f64 v[20:21], v[6:7], v[16:17]
	v_fma_f64 v[18:19], v[6:7], v[14:15], -v[18:19]
	v_fma_f64 v[20:21], v[8:9], v[14:15], v[20:21]
	v_add_f64 v[38:39], v[38:39], v[18:19]
	v_add_f64 v[40:41], v[20:21], v[40:41]
	;; [unrolled: 8-line block ×3, first 2 shown]
	ds_read_b128 v[22:25], v90 offset:2816
	s_waitcnt lgkmcnt(0)
	v_mul_f64 v[34:35], v[8:9], v[24:25]
	v_fma_f64 v[34:35], v[6:7], v[22:23], -v[34:35]
	v_mul_f64 v[6:7], v[6:7], v[24:25]
	v_add_f64 v[106:107], v[30:31], v[34:35]
	v_fma_f64 v[6:7], v[8:9], v[22:23], v[6:7]
	v_add_f64 v[108:109], v[6:7], v[32:33]
	ds_read_b128 v[6:9], v91 offset:1056
	s_waitcnt lgkmcnt(0)
	v_mul_f64 v[30:31], v[8:9], v[12:13]
	v_mul_f64 v[32:33], v[6:7], v[12:13]
	v_fma_f64 v[30:31], v[6:7], v[10:11], -v[30:31]
	v_fma_f64 v[32:33], v[8:9], v[10:11], v[32:33]
	v_add_f64 v[62:63], v[62:63], v[30:31]
	v_mul_f64 v[30:31], v[8:9], v[16:17]
	v_add_f64 v[64:65], v[32:33], v[64:65]
	v_mul_f64 v[32:33], v[6:7], v[16:17]
	v_fma_f64 v[30:31], v[6:7], v[14:15], -v[30:31]
	v_fma_f64 v[32:33], v[8:9], v[14:15], v[32:33]
	v_add_f64 v[66:67], v[66:67], v[30:31]
	v_mul_f64 v[30:31], v[8:9], v[20:21]
	v_add_f64 v[68:69], v[32:33], v[68:69]
	;; [unrolled: 6-line block ×3, first 2 shown]
	v_fma_f64 v[30:31], v[6:7], v[22:23], -v[30:31]
	v_mul_f64 v[6:7], v[6:7], v[24:25]
	v_add_f64 v[114:115], v[74:75], v[30:31]
	v_fma_f64 v[6:7], v[8:9], v[22:23], v[6:7]
	v_add_f64 v[116:117], v[6:7], v[76:77]
	ds_read_b128 v[6:9], v91 offset:2080
	s_waitcnt lgkmcnt(0)
	v_mul_f64 v[30:31], v[8:9], v[12:13]
	v_mul_f64 v[32:33], v[6:7], v[12:13]
	v_fma_f64 v[30:31], v[6:7], v[10:11], -v[30:31]
	v_fma_f64 v[32:33], v[8:9], v[10:11], v[32:33]
	v_add_f64 v[118:119], v[82:83], v[30:31]
	v_mul_f64 v[30:31], v[8:9], v[16:17]
	v_add_f64 v[120:121], v[32:33], v[84:85]
	v_mul_f64 v[32:33], v[6:7], v[16:17]
	v_fma_f64 v[30:31], v[6:7], v[14:15], -v[30:31]
	v_fma_f64 v[32:33], v[8:9], v[14:15], v[32:33]
	v_add_f64 v[122:123], v[86:87], v[30:31]
	v_mul_f64 v[30:31], v[8:9], v[20:21]
	v_add_f64 v[124:125], v[32:33], v[88:89]
	v_mul_f64 v[32:33], v[6:7], v[20:21]
	v_fma_f64 v[30:31], v[6:7], v[18:19], -v[30:31]
	v_fma_f64 v[32:33], v[8:9], v[18:19], v[32:33]
	v_add_f64 v[94:95], v[94:95], v[30:31]
	v_mul_f64 v[30:31], v[8:9], v[24:25]
	v_add_f64 v[96:97], v[32:33], v[96:97]
	v_fma_f64 v[30:31], v[6:7], v[22:23], -v[30:31]
	v_mul_f64 v[6:7], v[6:7], v[24:25]
	v_add_f64 v[98:99], v[98:99], v[30:31]
	v_fma_f64 v[6:7], v[8:9], v[22:23], v[6:7]
	v_add_f64 v[100:101], v[6:7], v[100:101]
	ds_read_b128 v[6:9], v91 offset:3104
	s_waitcnt lgkmcnt(0)
	v_mul_f64 v[30:31], v[8:9], v[12:13]
	v_mul_f64 v[12:13], v[6:7], v[12:13]
	v_fma_f64 v[30:31], v[6:7], v[10:11], -v[30:31]
	v_fma_f64 v[10:11], v[8:9], v[10:11], v[12:13]
	v_mul_f64 v[12:13], v[6:7], v[16:17]
	v_add_f64 v[86:87], v[58:59], v[30:31]
	v_add_f64 v[88:89], v[10:11], v[60:61]
	v_mul_f64 v[10:11], v[8:9], v[16:17]
	v_fma_f64 v[12:13], v[8:9], v[14:15], v[12:13]
	v_fma_f64 v[10:11], v[6:7], v[14:15], -v[10:11]
	v_add_f64 v[84:85], v[12:13], v[56:57]
	v_mul_f64 v[12:13], v[6:7], v[20:21]
	ds_read_b128 v[14:17], v90 offset:3328
	v_add_f64 v[82:83], v[54:55], v[10:11]
	v_mul_f64 v[10:11], v[8:9], v[20:21]
	v_fma_f64 v[12:13], v[8:9], v[18:19], v[12:13]
	v_fma_f64 v[10:11], v[6:7], v[18:19], -v[10:11]
	ds_read_b128 v[18:21], v90 offset:3072
	v_add_f64 v[80:81], v[12:13], v[52:53]
	v_add_f64 v[78:79], v[50:51], v[10:11]
	v_mul_f64 v[10:11], v[8:9], v[24:25]
	v_fma_f64 v[10:11], v[6:7], v[22:23], -v[10:11]
	v_mul_f64 v[6:7], v[6:7], v[24:25]
	v_add_f64 v[74:75], v[46:47], v[10:11]
	v_fma_f64 v[6:7], v[8:9], v[22:23], v[6:7]
	s_waitcnt lgkmcnt(0)
	v_mul_f64 v[8:9], v[2:3], v[20:21]
	ds_read_b128 v[10:13], v90 offset:3584
	v_add_f64 v[76:77], v[6:7], v[48:49]
	v_mul_f64 v[6:7], v[4:5], v[20:21]
	v_fma_f64 v[8:9], v[4:5], v[18:19], v[8:9]
	v_fma_f64 v[6:7], v[2:3], v[18:19], -v[6:7]
	v_add_f64 v[52:53], v[8:9], v[44:45]
	v_mul_f64 v[8:9], v[2:3], v[16:17]
	v_add_f64 v[48:49], v[42:43], v[6:7]
	v_mul_f64 v[6:7], v[4:5], v[16:17]
	v_fma_f64 v[8:9], v[4:5], v[14:15], v[8:9]
	v_fma_f64 v[6:7], v[2:3], v[14:15], -v[6:7]
	v_add_f64 v[36:37], v[8:9], v[40:41]
	s_waitcnt lgkmcnt(0)
	v_mul_f64 v[8:9], v[2:3], v[12:13]
	v_add_f64 v[34:35], v[38:39], v[6:7]
	v_mul_f64 v[6:7], v[4:5], v[12:13]
	v_fma_f64 v[8:9], v[4:5], v[10:11], v[8:9]
	v_fma_f64 v[6:7], v[2:3], v[10:11], -v[6:7]
	v_add_f64 v[32:33], v[8:9], v[104:105]
	v_add_f64 v[30:31], v[102:103], v[6:7]
	ds_read_b128 v[6:9], v90 offset:3840
	s_waitcnt lgkmcnt(0)
	v_mul_f64 v[22:23], v[4:5], v[8:9]
	v_fma_f64 v[22:23], v[2:3], v[6:7], -v[22:23]
	v_mul_f64 v[2:3], v[2:3], v[8:9]
	v_add_f64 v[22:23], v[106:107], v[22:23]
	v_fma_f64 v[2:3], v[4:5], v[6:7], v[2:3]
	v_add_f64 v[24:25], v[2:3], v[108:109]
	ds_read_b128 v[2:5], v91 offset:1072
	s_waitcnt lgkmcnt(0)
	v_mul_f64 v[38:39], v[4:5], v[20:21]
	v_mul_f64 v[40:41], v[2:3], v[20:21]
	v_fma_f64 v[38:39], v[2:3], v[18:19], -v[38:39]
	v_fma_f64 v[40:41], v[4:5], v[18:19], v[40:41]
	v_add_f64 v[70:71], v[62:63], v[38:39]
	v_mul_f64 v[38:39], v[4:5], v[16:17]
	v_add_f64 v[72:73], v[40:41], v[64:65]
	v_mul_f64 v[40:41], v[2:3], v[16:17]
	v_fma_f64 v[38:39], v[2:3], v[14:15], -v[38:39]
	v_fma_f64 v[40:41], v[4:5], v[14:15], v[40:41]
	v_add_f64 v[62:63], v[66:67], v[38:39]
	v_mul_f64 v[38:39], v[4:5], v[12:13]
	v_add_f64 v[64:65], v[40:41], v[68:69]
	;; [unrolled: 6-line block ×3, first 2 shown]
	v_fma_f64 v[38:39], v[2:3], v[6:7], -v[38:39]
	v_mul_f64 v[2:3], v[2:3], v[8:9]
	v_add_f64 v[42:43], v[114:115], v[38:39]
	v_fma_f64 v[2:3], v[4:5], v[6:7], v[2:3]
	v_add_f64 v[46:47], v[2:3], v[116:117]
	ds_read_b128 v[2:5], v91 offset:2096
	s_waitcnt lgkmcnt(0)
	v_mul_f64 v[38:39], v[4:5], v[20:21]
	v_mul_f64 v[40:41], v[2:3], v[20:21]
	v_fma_f64 v[38:39], v[2:3], v[18:19], -v[38:39]
	v_fma_f64 v[40:41], v[4:5], v[18:19], v[40:41]
	v_add_f64 v[66:67], v[118:119], v[38:39]
	v_mul_f64 v[38:39], v[4:5], v[16:17]
	v_add_f64 v[68:69], v[40:41], v[120:121]
	v_mul_f64 v[40:41], v[2:3], v[16:17]
	v_fma_f64 v[38:39], v[2:3], v[14:15], -v[38:39]
	v_fma_f64 v[40:41], v[4:5], v[14:15], v[40:41]
	v_add_f64 v[56:57], v[122:123], v[38:39]
	v_mul_f64 v[38:39], v[4:5], v[12:13]
	v_add_f64 v[60:61], v[40:41], v[124:125]
	;; [unrolled: 6-line block ×3, first 2 shown]
	v_fma_f64 v[38:39], v[2:3], v[6:7], -v[38:39]
	v_mul_f64 v[2:3], v[2:3], v[8:9]
	v_add_f64 v[38:39], v[98:99], v[38:39]
	v_fma_f64 v[2:3], v[4:5], v[6:7], v[2:3]
	v_add_f64 v[40:41], v[2:3], v[100:101]
	ds_read_b128 v[2:5], v91 offset:3120
	s_waitcnt lgkmcnt(0)
	s_barrier
	buffer_gl0_inv
	v_mul_f64 v[94:95], v[4:5], v[20:21]
	v_mul_f64 v[20:21], v[2:3], v[20:21]
	v_fma_f64 v[94:95], v[2:3], v[18:19], -v[94:95]
	v_fma_f64 v[20:21], v[4:5], v[18:19], v[20:21]
	v_add_f64 v[18:19], v[86:87], v[94:95]
	v_mul_f64 v[86:87], v[4:5], v[16:17]
	v_mul_f64 v[16:17], v[2:3], v[16:17]
	v_add_f64 v[20:21], v[20:21], v[88:89]
	v_fma_f64 v[86:87], v[2:3], v[14:15], -v[86:87]
	v_fma_f64 v[16:17], v[4:5], v[14:15], v[16:17]
	v_add_f64 v[14:15], v[82:83], v[86:87]
	v_mul_f64 v[82:83], v[4:5], v[12:13]
	v_mul_f64 v[12:13], v[2:3], v[12:13]
	v_add_f64 v[16:17], v[16:17], v[84:85]
	v_fma_f64 v[82:83], v[2:3], v[10:11], -v[82:83]
	v_fma_f64 v[12:13], v[4:5], v[10:11], v[12:13]
	v_add_f64 v[10:11], v[78:79], v[82:83]
	v_mul_f64 v[78:79], v[4:5], v[8:9]
	v_add_f64 v[12:13], v[12:13], v[80:81]
	v_fma_f64 v[78:79], v[2:3], v[6:7], -v[78:79]
	v_mul_f64 v[2:3], v[2:3], v[8:9]
	v_add_f64 v[74:75], v[74:75], v[78:79]
	v_fma_f64 v[2:3], v[4:5], v[6:7], v[2:3]
	v_add_f64 v[76:77], v[2:3], v[76:77]
	s_cbranch_vccnz .LBB121_2
	s_branch .LBB121_4
.LBB121_3:
	v_mov_b32_e32 v48, 0
	v_mov_b32_e32 v52, 0
	;; [unrolled: 1-line block ×64, first 2 shown]
.LBB121_4:
	s_load_dwordx2 s[4:5], s[4:5], 0x90
	v_cmp_neq_f64_e64 s6, s[38:39], 0
	v_cmp_neq_f64_e64 s7, s[40:41], 0
	v_add_co_u32 v6, s2, s2, v1
	v_add_co_u32 v0, s0, s0, v0
	v_add_co_ci_u32_e64 v7, null, s3, 0, s2
	v_add_co_ci_u32_e64 v1, null, s1, 0, s0
	s_waitcnt lgkmcnt(0)
	s_mul_i32 s5, s5, s8
	s_mul_hi_u32 s9, s4, s8
	s_mul_i32 s4, s4, s8
	s_add_i32 s5, s9, s5
	s_lshl_b64 s[4:5], s[4:5], 4
	s_add_u32 s2, s48, s4
	s_addc_u32 s3, s49, s5
	s_or_b32 s4, s6, s7
	s_and_b32 vcc_lo, exec_lo, s4
	s_cbranch_vccnz .LBB121_6
; %bb.5:
	v_mul_f64 v[4:5], s[16:17], v[52:53]
	v_mul_f64 v[8:9], s[14:15], v[52:53]
	v_mul_lo_u32 v78, v7, s50
	v_mul_lo_u32 v79, v6, s51
	v_mad_u64_u32 v[2:3], null, v6, s50, 0
	v_mul_f64 v[26:27], s[16:17], v[36:37]
	v_mul_f64 v[28:29], s[14:15], v[36:37]
	;; [unrolled: 1-line block ×6, first 2 shown]
	v_add3_u32 v3, v3, v79, v78
	v_mul_f64 v[78:79], s[16:17], v[32:33]
	v_mul_f64 v[88:89], s[14:15], v[72:73]
	;; [unrolled: 1-line block ×4, first 2 shown]
	v_lshlrev_b64 v[2:3], 4, v[2:3]
	v_mul_f64 v[94:95], s[16:17], v[58:59]
	v_mul_f64 v[96:97], s[14:15], v[58:59]
	;; [unrolled: 1-line block ×4, first 2 shown]
	s_lshl_b64 s[0:1], s[50:51], 8
	v_add_co_u32 v104, vcc_lo, s2, v2
	v_add_co_ci_u32_e64 v105, null, s3, v3, vcc_lo
	v_fma_f64 v[2:3], s[14:15], v[48:49], -v[4:5]
	v_fma_f64 v[4:5], s[16:17], v[48:49], v[8:9]
	v_lshlrev_b64 v[8:9], 4, v[0:1]
	v_fma_f64 v[26:27], s[14:15], v[34:35], -v[26:27]
	v_fma_f64 v[28:29], s[16:17], v[34:35], v[28:29]
	v_fma_f64 v[80:81], s[16:17], v[30:31], v[80:81]
	v_fma_f64 v[82:83], s[14:15], v[22:23], -v[82:83]
	v_fma_f64 v[84:85], s[16:17], v[22:23], v[84:85]
	v_add_co_u32 v102, vcc_lo, v104, v8
	v_fma_f64 v[78:79], s[14:15], v[30:31], -v[78:79]
	v_add_co_ci_u32_e64 v103, null, v105, v9, vcc_lo
	v_fma_f64 v[86:87], s[14:15], v[70:71], -v[86:87]
	v_fma_f64 v[88:89], s[16:17], v[70:71], v[88:89]
	v_fma_f64 v[90:91], s[14:15], v[62:63], -v[90:91]
	v_fma_f64 v[92:93], s[16:17], v[62:63], v[92:93]
	;; [unrolled: 2-line block ×3, first 2 shown]
	v_add_co_u32 v106, vcc_lo, v104, s0
	v_add_co_ci_u32_e64 v107, null, s1, v105, vcc_lo
	global_store_dwordx4 v[102:103], v[2:5], off
	v_fma_f64 v[2:3], s[14:15], v[42:43], -v[98:99]
	v_fma_f64 v[4:5], s[16:17], v[42:43], v[100:101]
	v_add_co_u32 v104, vcc_lo, v106, v8
	v_add_co_ci_u32_e64 v105, null, v107, v9, vcc_lo
	global_store_dwordx4 v[102:103], v[26:29], off offset:256
	global_store_dwordx4 v[102:103], v[78:81], off offset:512
	;; [unrolled: 1-line block ×3, first 2 shown]
	global_store_dwordx4 v[104:105], v[86:89], off
	global_store_dwordx4 v[104:105], v[90:93], off offset:256
	global_store_dwordx4 v[104:105], v[94:97], off offset:512
	v_mul_f64 v[26:27], s[16:17], v[68:69]
	v_mul_f64 v[28:29], s[14:15], v[68:69]
	;; [unrolled: 1-line block ×12, first 2 shown]
	global_store_dwordx4 v[104:105], v[2:5], off offset:768
	v_mul_f64 v[2:3], s[16:17], v[76:77]
	v_mul_f64 v[4:5], s[14:15], v[76:77]
	;; [unrolled: 1-line block ×4, first 2 shown]
	v_add_co_u32 v104, vcc_lo, v106, s0
	v_add_co_ci_u32_e64 v105, null, s1, v107, vcc_lo
	v_fma_f64 v[26:27], s[14:15], v[66:67], -v[26:27]
	v_fma_f64 v[28:29], s[16:17], v[66:67], v[28:29]
	v_fma_f64 v[78:79], s[14:15], v[56:57], -v[78:79]
	v_fma_f64 v[80:81], s[16:17], v[56:57], v[80:81]
	;; [unrolled: 2-line block ×6, first 2 shown]
	v_add_co_u32 v106, vcc_lo, v104, s0
	v_fma_f64 v[102:103], s[14:15], v[74:75], -v[2:3]
	v_fma_f64 v[2:3], s[16:17], v[74:75], v[4:5]
	v_fma_f64 v[98:99], s[14:15], v[10:11], -v[98:99]
	v_fma_f64 v[100:101], s[16:17], v[10:11], v[100:101]
	v_add_co_ci_u32_e64 v107, null, s1, v105, vcc_lo
	v_add_co_u32 v4, vcc_lo, v104, v8
	v_add_co_ci_u32_e64 v5, null, v105, v9, vcc_lo
	v_add_co_u32 v8, vcc_lo, v106, v8
	v_add_co_ci_u32_e64 v9, null, v107, v9, vcc_lo
	global_store_dwordx4 v[4:5], v[26:29], off
	global_store_dwordx4 v[4:5], v[78:81], off offset:256
	global_store_dwordx4 v[4:5], v[82:85], off offset:512
	;; [unrolled: 1-line block ×3, first 2 shown]
	global_store_dwordx4 v[8:9], v[90:93], off
	v_add_co_u32 v4, vcc_lo, 0x300, v8
	v_add_co_ci_u32_e64 v5, null, 0, v9, vcc_lo
	global_store_dwordx4 v[8:9], v[94:97], off offset:256
	global_store_dwordx4 v[8:9], v[98:101], off offset:512
	global_store_dwordx2 v[8:9], v[102:103], off offset:768
	s_cbranch_execz .LBB121_7
	s_branch .LBB121_8
.LBB121_6:
                                        ; implicit-def: $vgpr2_vgpr3
                                        ; implicit-def: $vgpr4_vgpr5
.LBB121_7:
	v_mul_lo_u32 v4, v7, s44
	v_mul_lo_u32 v5, v6, s45
	v_mad_u64_u32 v[2:3], null, v6, s44, 0
	s_mul_i32 s1, s47, s8
	s_mul_hi_u32 s4, s46, s8
	s_mul_i32 s0, s46, s8
	s_add_i32 s1, s4, s1
	v_mul_f64 v[26:27], s[16:17], v[52:53]
	s_lshl_b64 s[0:1], s[0:1], 4
	v_add3_u32 v3, v3, v5, v4
	s_add_u32 s0, s42, s0
	v_lshlrev_b64 v[4:5], 4, v[0:1]
	s_addc_u32 s1, s43, s1
	v_mul_f64 v[28:29], s[14:15], v[52:53]
	v_lshlrev_b64 v[2:3], 4, v[2:3]
	v_add_co_u32 v78, vcc_lo, s0, v2
	v_add_co_ci_u32_e64 v79, null, s1, v3, vcc_lo
	s_lshl_b64 s[0:1], s[44:45], 8
	v_add_co_u32 v8, vcc_lo, v78, v4
	v_add_co_ci_u32_e64 v9, null, v79, v5, vcc_lo
	v_fma_f64 v[26:27], s[14:15], v[48:49], -v[26:27]
	global_load_dwordx4 v[0:3], v[8:9], off
	v_fma_f64 v[28:29], s[16:17], v[48:49], v[28:29]
	s_waitcnt vmcnt(0)
	v_mul_f64 v[52:53], s[40:41], v[2:3]
	v_mul_f64 v[2:3], s[38:39], v[2:3]
	v_fma_f64 v[48:49], s[38:39], v[0:1], -v[52:53]
	v_fma_f64 v[2:3], s[40:41], v[0:1], v[2:3]
	v_mul_lo_u32 v0, v7, s50
	v_mul_lo_u32 v1, v6, s51
	v_mad_u64_u32 v[6:7], null, v6, s50, 0
	v_add3_u32 v7, v7, v1, v0
	v_lshlrev_b64 v[6:7], 4, v[6:7]
	v_add_f64 v[0:1], v[26:27], v[48:49]
	v_add_f64 v[2:3], v[28:29], v[2:3]
	v_add_co_u32 v48, vcc_lo, s2, v6
	v_add_co_ci_u32_e64 v49, null, s3, v7, vcc_lo
	v_mul_f64 v[26:27], s[16:17], v[36:37]
	v_add_co_u32 v6, vcc_lo, v48, v4
	v_add_co_ci_u32_e64 v7, null, v49, v5, vcc_lo
	v_mul_f64 v[28:29], s[14:15], v[36:37]
	s_lshl_b64 s[2:3], s[50:51], 8
	global_store_dwordx4 v[6:7], v[0:3], off
	global_load_dwordx4 v[0:3], v[8:9], off offset:256
	v_fma_f64 v[26:27], s[14:15], v[34:35], -v[26:27]
	v_fma_f64 v[28:29], s[16:17], v[34:35], v[28:29]
	s_waitcnt vmcnt(0)
	v_mul_f64 v[36:37], s[40:41], v[2:3]
	v_mul_f64 v[2:3], s[38:39], v[2:3]
	v_fma_f64 v[34:35], s[38:39], v[0:1], -v[36:37]
	v_fma_f64 v[2:3], s[40:41], v[0:1], v[2:3]
	v_add_f64 v[0:1], v[26:27], v[34:35]
	v_add_f64 v[2:3], v[28:29], v[2:3]
	v_mul_f64 v[26:27], s[16:17], v[32:33]
	v_mul_f64 v[28:29], s[14:15], v[32:33]
	global_store_dwordx4 v[6:7], v[0:3], off offset:256
	global_load_dwordx4 v[0:3], v[8:9], off offset:512
	v_fma_f64 v[26:27], s[14:15], v[30:31], -v[26:27]
	v_fma_f64 v[28:29], s[16:17], v[30:31], v[28:29]
	s_waitcnt vmcnt(0)
	v_mul_f64 v[32:33], s[40:41], v[2:3]
	v_mul_f64 v[2:3], s[38:39], v[2:3]
	v_fma_f64 v[30:31], s[38:39], v[0:1], -v[32:33]
	v_fma_f64 v[2:3], s[40:41], v[0:1], v[2:3]
	v_add_f64 v[0:1], v[26:27], v[30:31]
	v_add_f64 v[2:3], v[28:29], v[2:3]
	v_add_co_u32 v28, vcc_lo, v78, s0
	v_add_co_ci_u32_e64 v29, null, s1, v79, vcc_lo
	global_store_dwordx4 v[6:7], v[0:3], off offset:512
	global_load_dwordx4 v[0:3], v[8:9], off offset:768
	v_mul_f64 v[8:9], s[16:17], v[24:25]
	v_mul_f64 v[24:25], s[14:15], v[24:25]
	v_fma_f64 v[8:9], s[14:15], v[22:23], -v[8:9]
	v_fma_f64 v[22:23], s[16:17], v[22:23], v[24:25]
	s_waitcnt vmcnt(0)
	v_mul_f64 v[26:27], s[40:41], v[2:3]
	v_mul_f64 v[2:3], s[38:39], v[2:3]
	v_fma_f64 v[24:25], s[38:39], v[0:1], -v[26:27]
	v_fma_f64 v[2:3], s[40:41], v[0:1], v[2:3]
	v_add_f64 v[0:1], v[8:9], v[24:25]
	v_add_f64 v[2:3], v[22:23], v[2:3]
	v_add_co_u32 v8, vcc_lo, v28, v4
	v_add_co_ci_u32_e64 v9, null, v29, v5, vcc_lo
	v_mul_f64 v[22:23], s[14:15], v[72:73]
	v_add_co_u32 v30, vcc_lo, v48, s2
	v_add_co_ci_u32_e64 v31, null, s3, v49, vcc_lo
	global_store_dwordx4 v[6:7], v[0:3], off offset:768
	global_load_dwordx4 v[0:3], v[8:9], off
	v_mul_f64 v[6:7], s[16:17], v[72:73]
	v_fma_f64 v[22:23], s[16:17], v[70:71], v[22:23]
	v_fma_f64 v[6:7], s[14:15], v[70:71], -v[6:7]
	s_waitcnt vmcnt(0)
	v_mul_f64 v[24:25], s[40:41], v[2:3]
	v_mul_f64 v[2:3], s[38:39], v[2:3]
	v_fma_f64 v[24:25], s[38:39], v[0:1], -v[24:25]
	v_fma_f64 v[2:3], s[40:41], v[0:1], v[2:3]
	v_add_f64 v[0:1], v[6:7], v[24:25]
	v_add_f64 v[2:3], v[22:23], v[2:3]
	v_add_co_u32 v6, vcc_lo, v30, v4
	v_add_co_ci_u32_e64 v7, null, v31, v5, vcc_lo
	v_mul_f64 v[22:23], s[16:17], v[64:65]
	v_mul_f64 v[24:25], s[14:15], v[64:65]
	v_add_co_u32 v28, vcc_lo, v28, s0
	v_add_co_ci_u32_e64 v29, null, s1, v29, vcc_lo
	global_store_dwordx4 v[6:7], v[0:3], off
	global_load_dwordx4 v[0:3], v[8:9], off offset:256
	v_fma_f64 v[22:23], s[14:15], v[62:63], -v[22:23]
	v_fma_f64 v[24:25], s[16:17], v[62:63], v[24:25]
	s_waitcnt vmcnt(0)
	v_mul_f64 v[26:27], s[40:41], v[2:3]
	v_mul_f64 v[2:3], s[38:39], v[2:3]
	v_fma_f64 v[26:27], s[38:39], v[0:1], -v[26:27]
	v_fma_f64 v[2:3], s[40:41], v[0:1], v[2:3]
	v_add_f64 v[0:1], v[22:23], v[26:27]
	v_add_f64 v[2:3], v[24:25], v[2:3]
	v_mul_f64 v[22:23], s[16:17], v[58:59]
	v_mul_f64 v[24:25], s[14:15], v[58:59]
	global_store_dwordx4 v[6:7], v[0:3], off offset:256
	global_load_dwordx4 v[0:3], v[8:9], off offset:512
	v_fma_f64 v[22:23], s[14:15], v[54:55], -v[22:23]
	v_fma_f64 v[24:25], s[16:17], v[54:55], v[24:25]
	s_waitcnt vmcnt(0)
	v_mul_f64 v[26:27], s[40:41], v[2:3]
	v_mul_f64 v[2:3], s[38:39], v[2:3]
	v_fma_f64 v[26:27], s[38:39], v[0:1], -v[26:27]
	v_fma_f64 v[2:3], s[40:41], v[0:1], v[2:3]
	v_add_f64 v[0:1], v[22:23], v[26:27]
	v_add_f64 v[2:3], v[24:25], v[2:3]
	v_mul_f64 v[22:23], s[14:15], v[46:47]
	global_store_dwordx4 v[6:7], v[0:3], off offset:512
	global_load_dwordx4 v[0:3], v[8:9], off offset:768
	v_mul_f64 v[8:9], s[16:17], v[46:47]
	v_fma_f64 v[22:23], s[16:17], v[42:43], v[22:23]
	v_fma_f64 v[8:9], s[14:15], v[42:43], -v[8:9]
	s_waitcnt vmcnt(0)
	v_mul_f64 v[24:25], s[40:41], v[2:3]
	v_mul_f64 v[2:3], s[38:39], v[2:3]
	v_fma_f64 v[24:25], s[38:39], v[0:1], -v[24:25]
	v_fma_f64 v[2:3], s[40:41], v[0:1], v[2:3]
	v_add_f64 v[0:1], v[8:9], v[24:25]
	v_add_f64 v[2:3], v[22:23], v[2:3]
	v_add_co_u32 v8, vcc_lo, v28, v4
	v_add_co_ci_u32_e64 v9, null, v29, v5, vcc_lo
	v_mul_f64 v[22:23], s[14:15], v[68:69]
	v_add_co_u32 v30, vcc_lo, v30, s2
	v_add_co_ci_u32_e64 v31, null, s3, v31, vcc_lo
	global_store_dwordx4 v[6:7], v[0:3], off offset:768
	global_load_dwordx4 v[0:3], v[8:9], off
	v_mul_f64 v[6:7], s[16:17], v[68:69]
	v_fma_f64 v[22:23], s[16:17], v[66:67], v[22:23]
	v_fma_f64 v[6:7], s[14:15], v[66:67], -v[6:7]
	s_waitcnt vmcnt(0)
	v_mul_f64 v[24:25], s[40:41], v[2:3]
	v_mul_f64 v[2:3], s[38:39], v[2:3]
	v_fma_f64 v[24:25], s[38:39], v[0:1], -v[24:25]
	v_fma_f64 v[2:3], s[40:41], v[0:1], v[2:3]
	v_add_f64 v[0:1], v[6:7], v[24:25]
	v_add_f64 v[2:3], v[22:23], v[2:3]
	v_add_co_u32 v6, vcc_lo, v30, v4
	v_add_co_ci_u32_e64 v7, null, v31, v5, vcc_lo
	v_mul_f64 v[22:23], s[16:17], v[60:61]
	v_mul_f64 v[24:25], s[14:15], v[60:61]
	global_store_dwordx4 v[6:7], v[0:3], off
	global_load_dwordx4 v[0:3], v[8:9], off offset:256
	v_fma_f64 v[22:23], s[14:15], v[56:57], -v[22:23]
	v_fma_f64 v[24:25], s[16:17], v[56:57], v[24:25]
	s_waitcnt vmcnt(0)
	v_mul_f64 v[26:27], s[40:41], v[2:3]
	v_mul_f64 v[2:3], s[38:39], v[2:3]
	v_fma_f64 v[26:27], s[38:39], v[0:1], -v[26:27]
	v_fma_f64 v[2:3], s[40:41], v[0:1], v[2:3]
	v_add_f64 v[0:1], v[22:23], v[26:27]
	v_add_f64 v[2:3], v[24:25], v[2:3]
	v_mul_f64 v[22:23], s[16:17], v[50:51]
	v_mul_f64 v[24:25], s[14:15], v[50:51]
	global_store_dwordx4 v[6:7], v[0:3], off offset:256
	global_load_dwordx4 v[0:3], v[8:9], off offset:512
	v_fma_f64 v[22:23], s[14:15], v[44:45], -v[22:23]
	v_fma_f64 v[24:25], s[16:17], v[44:45], v[24:25]
	s_waitcnt vmcnt(0)
	v_mul_f64 v[26:27], s[40:41], v[2:3]
	v_mul_f64 v[2:3], s[38:39], v[2:3]
	v_fma_f64 v[26:27], s[38:39], v[0:1], -v[26:27]
	v_fma_f64 v[2:3], s[40:41], v[0:1], v[2:3]
	v_add_f64 v[0:1], v[22:23], v[26:27]
	v_add_f64 v[2:3], v[24:25], v[2:3]
	v_mul_f64 v[22:23], s[14:15], v[40:41]
	global_store_dwordx4 v[6:7], v[0:3], off offset:512
	global_load_dwordx4 v[0:3], v[8:9], off offset:768
	v_mul_f64 v[8:9], s[16:17], v[40:41]
	v_fma_f64 v[22:23], s[16:17], v[38:39], v[22:23]
	v_fma_f64 v[8:9], s[14:15], v[38:39], -v[8:9]
	s_waitcnt vmcnt(0)
	v_mul_f64 v[24:25], s[40:41], v[2:3]
	v_mul_f64 v[2:3], s[38:39], v[2:3]
	v_fma_f64 v[24:25], s[38:39], v[0:1], -v[24:25]
	v_fma_f64 v[2:3], s[40:41], v[0:1], v[2:3]
	v_add_f64 v[0:1], v[8:9], v[24:25]
	v_add_f64 v[2:3], v[22:23], v[2:3]
	v_add_co_u32 v8, vcc_lo, v28, s0
	v_add_co_ci_u32_e64 v9, null, s1, v29, vcc_lo
	v_add_co_u32 v8, vcc_lo, v8, v4
	v_add_co_ci_u32_e64 v9, null, v9, v5, vcc_lo
	global_store_dwordx4 v[6:7], v[0:3], off offset:768
	global_load_dwordx4 v[0:3], v[8:9], off
	v_mul_f64 v[6:7], s[16:17], v[20:21]
	v_mul_f64 v[20:21], s[14:15], v[20:21]
	v_fma_f64 v[6:7], s[14:15], v[18:19], -v[6:7]
	v_fma_f64 v[18:19], s[16:17], v[18:19], v[20:21]
	s_waitcnt vmcnt(0)
	v_mul_f64 v[22:23], s[40:41], v[2:3]
	v_mul_f64 v[2:3], s[38:39], v[2:3]
	v_fma_f64 v[20:21], s[38:39], v[0:1], -v[22:23]
	v_fma_f64 v[2:3], s[40:41], v[0:1], v[2:3]
	v_add_f64 v[0:1], v[6:7], v[20:21]
	v_add_f64 v[2:3], v[18:19], v[2:3]
	v_add_co_u32 v6, vcc_lo, v30, s2
	v_add_co_ci_u32_e64 v7, null, s3, v31, vcc_lo
	v_add_co_u32 v6, vcc_lo, v6, v4
	v_add_co_ci_u32_e64 v7, null, v7, v5, vcc_lo
	v_mul_f64 v[4:5], s[16:17], v[16:17]
	v_mul_f64 v[16:17], s[14:15], v[16:17]
	global_store_dwordx4 v[6:7], v[0:3], off
	global_load_dwordx4 v[0:3], v[8:9], off offset:256
	v_fma_f64 v[4:5], s[14:15], v[14:15], -v[4:5]
	v_fma_f64 v[14:15], s[16:17], v[14:15], v[16:17]
	s_waitcnt vmcnt(0)
	v_mul_f64 v[18:19], s[40:41], v[2:3]
	v_mul_f64 v[2:3], s[38:39], v[2:3]
	v_fma_f64 v[16:17], s[38:39], v[0:1], -v[18:19]
	v_fma_f64 v[2:3], s[40:41], v[0:1], v[2:3]
	v_add_f64 v[0:1], v[4:5], v[16:17]
	v_add_f64 v[2:3], v[14:15], v[2:3]
	v_mul_f64 v[4:5], s[16:17], v[12:13]
	v_mul_f64 v[12:13], s[14:15], v[12:13]
	global_store_dwordx4 v[6:7], v[0:3], off offset:256
	global_load_dwordx4 v[0:3], v[8:9], off offset:512
	v_fma_f64 v[4:5], s[14:15], v[10:11], -v[4:5]
	v_fma_f64 v[10:11], s[16:17], v[10:11], v[12:13]
	s_waitcnt vmcnt(0)
	v_mul_f64 v[14:15], s[40:41], v[2:3]
	v_mul_f64 v[2:3], s[38:39], v[2:3]
	v_fma_f64 v[12:13], s[38:39], v[0:1], -v[14:15]
	v_fma_f64 v[2:3], s[40:41], v[0:1], v[2:3]
	v_add_f64 v[0:1], v[4:5], v[12:13]
	v_add_f64 v[2:3], v[10:11], v[2:3]
	v_mul_f64 v[4:5], s[16:17], v[76:77]
	global_store_dwordx4 v[6:7], v[0:3], off offset:512
	global_load_dwordx4 v[0:3], v[8:9], off offset:768
	v_mul_f64 v[8:9], s[14:15], v[76:77]
	v_fma_f64 v[4:5], s[14:15], v[74:75], -v[4:5]
	v_fma_f64 v[8:9], s[16:17], v[74:75], v[8:9]
	s_waitcnt vmcnt(0)
	v_mul_f64 v[10:11], s[40:41], v[2:3]
	v_mul_f64 v[2:3], s[38:39], v[2:3]
	v_fma_f64 v[10:11], s[38:39], v[0:1], -v[10:11]
	v_fma_f64 v[0:1], s[40:41], v[0:1], v[2:3]
	v_add_f64 v[10:11], v[4:5], v[10:11]
	v_add_f64 v[2:3], v[8:9], v[0:1]
	v_add_co_u32 v4, vcc_lo, 0x300, v6
	v_add_co_ci_u32_e64 v5, null, 0, v7, vcc_lo
	global_store_dwordx2 v[6:7], v[10:11], off offset:768
.LBB121_8:
	global_store_dwordx2 v[4:5], v[2:3], off offset:8
	s_endpgm
	.section	.rodata,"a",@progbits
	.p2align	6, 0x0
	.amdhsa_kernel _ZN12_GLOBAL__N_127rocblas_gemm_batched_kernelI19rocblas_complex_numIdELi16ELi16ELi64ELi64ELi4ELi64ELi4ELi4ELi64ELc84ELc84EKS2_S3_S2_EEvlllT_PT11_llS6_llS4_PT12_llPT13_lli
		.amdhsa_group_segment_fixed_size 8192
		.amdhsa_private_segment_fixed_size 0
		.amdhsa_kernarg_size 156
		.amdhsa_user_sgpr_count 6
		.amdhsa_user_sgpr_private_segment_buffer 1
		.amdhsa_user_sgpr_dispatch_ptr 0
		.amdhsa_user_sgpr_queue_ptr 0
		.amdhsa_user_sgpr_kernarg_segment_ptr 1
		.amdhsa_user_sgpr_dispatch_id 0
		.amdhsa_user_sgpr_flat_scratch_init 0
		.amdhsa_user_sgpr_private_segment_size 0
		.amdhsa_wavefront_size32 1
		.amdhsa_uses_dynamic_stack 0
		.amdhsa_system_sgpr_private_segment_wavefront_offset 0
		.amdhsa_system_sgpr_workgroup_id_x 1
		.amdhsa_system_sgpr_workgroup_id_y 1
		.amdhsa_system_sgpr_workgroup_id_z 1
		.amdhsa_system_sgpr_workgroup_info 0
		.amdhsa_system_vgpr_workitem_id 1
		.amdhsa_next_free_vgpr 138
		.amdhsa_next_free_sgpr 52
		.amdhsa_reserve_vcc 1
		.amdhsa_reserve_flat_scratch 0
		.amdhsa_float_round_mode_32 0
		.amdhsa_float_round_mode_16_64 0
		.amdhsa_float_denorm_mode_32 3
		.amdhsa_float_denorm_mode_16_64 3
		.amdhsa_dx10_clamp 1
		.amdhsa_ieee_mode 1
		.amdhsa_fp16_overflow 0
		.amdhsa_workgroup_processor_mode 1
		.amdhsa_memory_ordered 1
		.amdhsa_forward_progress 1
		.amdhsa_shared_vgpr_count 0
		.amdhsa_exception_fp_ieee_invalid_op 0
		.amdhsa_exception_fp_denorm_src 0
		.amdhsa_exception_fp_ieee_div_zero 0
		.amdhsa_exception_fp_ieee_overflow 0
		.amdhsa_exception_fp_ieee_underflow 0
		.amdhsa_exception_fp_ieee_inexact 0
		.amdhsa_exception_int_div_zero 0
	.end_amdhsa_kernel
	.section	.text._ZN12_GLOBAL__N_127rocblas_gemm_batched_kernelI19rocblas_complex_numIdELi16ELi16ELi64ELi64ELi4ELi64ELi4ELi4ELi64ELc84ELc84EKS2_S3_S2_EEvlllT_PT11_llS6_llS4_PT12_llPT13_lli,"axG",@progbits,_ZN12_GLOBAL__N_127rocblas_gemm_batched_kernelI19rocblas_complex_numIdELi16ELi16ELi64ELi64ELi4ELi64ELi4ELi4ELi64ELc84ELc84EKS2_S3_S2_EEvlllT_PT11_llS6_llS4_PT12_llPT13_lli,comdat
.Lfunc_end121:
	.size	_ZN12_GLOBAL__N_127rocblas_gemm_batched_kernelI19rocblas_complex_numIdELi16ELi16ELi64ELi64ELi4ELi64ELi4ELi4ELi64ELc84ELc84EKS2_S3_S2_EEvlllT_PT11_llS6_llS4_PT12_llPT13_lli, .Lfunc_end121-_ZN12_GLOBAL__N_127rocblas_gemm_batched_kernelI19rocblas_complex_numIdELi16ELi16ELi64ELi64ELi4ELi64ELi4ELi4ELi64ELc84ELc84EKS2_S3_S2_EEvlllT_PT11_llS6_llS4_PT12_llPT13_lli
                                        ; -- End function
	.set _ZN12_GLOBAL__N_127rocblas_gemm_batched_kernelI19rocblas_complex_numIdELi16ELi16ELi64ELi64ELi4ELi64ELi4ELi4ELi64ELc84ELc84EKS2_S3_S2_EEvlllT_PT11_llS6_llS4_PT12_llPT13_lli.num_vgpr, 138
	.set _ZN12_GLOBAL__N_127rocblas_gemm_batched_kernelI19rocblas_complex_numIdELi16ELi16ELi64ELi64ELi4ELi64ELi4ELi4ELi64ELc84ELc84EKS2_S3_S2_EEvlllT_PT11_llS6_llS4_PT12_llPT13_lli.num_agpr, 0
	.set _ZN12_GLOBAL__N_127rocblas_gemm_batched_kernelI19rocblas_complex_numIdELi16ELi16ELi64ELi64ELi4ELi64ELi4ELi4ELi64ELc84ELc84EKS2_S3_S2_EEvlllT_PT11_llS6_llS4_PT12_llPT13_lli.numbered_sgpr, 52
	.set _ZN12_GLOBAL__N_127rocblas_gemm_batched_kernelI19rocblas_complex_numIdELi16ELi16ELi64ELi64ELi4ELi64ELi4ELi4ELi64ELc84ELc84EKS2_S3_S2_EEvlllT_PT11_llS6_llS4_PT12_llPT13_lli.num_named_barrier, 0
	.set _ZN12_GLOBAL__N_127rocblas_gemm_batched_kernelI19rocblas_complex_numIdELi16ELi16ELi64ELi64ELi4ELi64ELi4ELi4ELi64ELc84ELc84EKS2_S3_S2_EEvlllT_PT11_llS6_llS4_PT12_llPT13_lli.private_seg_size, 0
	.set _ZN12_GLOBAL__N_127rocblas_gemm_batched_kernelI19rocblas_complex_numIdELi16ELi16ELi64ELi64ELi4ELi64ELi4ELi4ELi64ELc84ELc84EKS2_S3_S2_EEvlllT_PT11_llS6_llS4_PT12_llPT13_lli.uses_vcc, 1
	.set _ZN12_GLOBAL__N_127rocblas_gemm_batched_kernelI19rocblas_complex_numIdELi16ELi16ELi64ELi64ELi4ELi64ELi4ELi4ELi64ELc84ELc84EKS2_S3_S2_EEvlllT_PT11_llS6_llS4_PT12_llPT13_lli.uses_flat_scratch, 0
	.set _ZN12_GLOBAL__N_127rocblas_gemm_batched_kernelI19rocblas_complex_numIdELi16ELi16ELi64ELi64ELi4ELi64ELi4ELi4ELi64ELc84ELc84EKS2_S3_S2_EEvlllT_PT11_llS6_llS4_PT12_llPT13_lli.has_dyn_sized_stack, 0
	.set _ZN12_GLOBAL__N_127rocblas_gemm_batched_kernelI19rocblas_complex_numIdELi16ELi16ELi64ELi64ELi4ELi64ELi4ELi4ELi64ELc84ELc84EKS2_S3_S2_EEvlllT_PT11_llS6_llS4_PT12_llPT13_lli.has_recursion, 0
	.set _ZN12_GLOBAL__N_127rocblas_gemm_batched_kernelI19rocblas_complex_numIdELi16ELi16ELi64ELi64ELi4ELi64ELi4ELi4ELi64ELc84ELc84EKS2_S3_S2_EEvlllT_PT11_llS6_llS4_PT12_llPT13_lli.has_indirect_call, 0
	.section	.AMDGPU.csdata,"",@progbits
; Kernel info:
; codeLenInByte = 7384
; TotalNumSgprs: 54
; NumVgprs: 138
; ScratchSize: 0
; MemoryBound: 0
; FloatMode: 240
; IeeeMode: 1
; LDSByteSize: 8192 bytes/workgroup (compile time only)
; SGPRBlocks: 0
; VGPRBlocks: 17
; NumSGPRsForWavesPerEU: 54
; NumVGPRsForWavesPerEU: 138
; Occupancy: 7
; WaveLimiterHint : 1
; COMPUTE_PGM_RSRC2:SCRATCH_EN: 0
; COMPUTE_PGM_RSRC2:USER_SGPR: 6
; COMPUTE_PGM_RSRC2:TRAP_HANDLER: 0
; COMPUTE_PGM_RSRC2:TGID_X_EN: 1
; COMPUTE_PGM_RSRC2:TGID_Y_EN: 1
; COMPUTE_PGM_RSRC2:TGID_Z_EN: 1
; COMPUTE_PGM_RSRC2:TIDIG_COMP_CNT: 1
	.section	.text._ZN12_GLOBAL__N_127rocblas_gemm_batched_kernelI19rocblas_complex_numIdELi16ELi16ELi64ELi64ELi4ELi64ELi4ELi4ELi64ELc67ELc67EKS2_S3_S2_EEvlllT_PT11_llS6_llS4_PT12_llPT13_lli,"axG",@progbits,_ZN12_GLOBAL__N_127rocblas_gemm_batched_kernelI19rocblas_complex_numIdELi16ELi16ELi64ELi64ELi4ELi64ELi4ELi4ELi64ELc67ELc67EKS2_S3_S2_EEvlllT_PT11_llS6_llS4_PT12_llPT13_lli,comdat
	.globl	_ZN12_GLOBAL__N_127rocblas_gemm_batched_kernelI19rocblas_complex_numIdELi16ELi16ELi64ELi64ELi4ELi64ELi4ELi4ELi64ELc67ELc67EKS2_S3_S2_EEvlllT_PT11_llS6_llS4_PT12_llPT13_lli ; -- Begin function _ZN12_GLOBAL__N_127rocblas_gemm_batched_kernelI19rocblas_complex_numIdELi16ELi16ELi64ELi64ELi4ELi64ELi4ELi4ELi64ELc67ELc67EKS2_S3_S2_EEvlllT_PT11_llS6_llS4_PT12_llPT13_lli
	.p2align	8
	.type	_ZN12_GLOBAL__N_127rocblas_gemm_batched_kernelI19rocblas_complex_numIdELi16ELi16ELi64ELi64ELi4ELi64ELi4ELi4ELi64ELc67ELc67EKS2_S3_S2_EEvlllT_PT11_llS6_llS4_PT12_llPT13_lli,@function
_ZN12_GLOBAL__N_127rocblas_gemm_batched_kernelI19rocblas_complex_numIdELi16ELi16ELi64ELi64ELi4ELi64ELi4ELi4ELi64ELc67ELc67EKS2_S3_S2_EEvlllT_PT11_llS6_llS4_PT12_llPT13_lli: ; @_ZN12_GLOBAL__N_127rocblas_gemm_batched_kernelI19rocblas_complex_numIdELi16ELi16ELi64ELi64ELi4ELi64ELi4ELi4ELi64ELc67ELc67EKS2_S3_S2_EEvlllT_PT11_llS6_llS4_PT12_llPT13_lli
; %bb.0:
	s_clause 0x1
	s_load_dwordx16 s[12:27], s[4:5], 0x10
	s_load_dwordx16 s[36:51], s[4:5], 0x50
	s_mov_b32 s2, s7
	s_ashr_i32 s7, s6, 31
	s_ashr_i32 s3, s2, 31
	s_lshl_b64 s[0:1], s[6:7], 6
	s_lshl_b64 s[2:3], s[2:3], 6
	s_waitcnt lgkmcnt(0)
	v_cmp_lt_i64_e64 s9, s[12:13], 1
	s_and_b32 vcc_lo, exec_lo, s9
	s_cbranch_vccnz .LBB122_3
; %bb.1:
	v_lshl_add_u32 v6, v1, 4, v0
	v_and_b32_e32 v7, 3, v0
	s_mul_i32 s7, s23, s8
	s_mul_hi_u32 s9, s22, s8
	v_mov_b32_e32 v76, 0
	v_lshrrev_b32_e32 v8, 2, v6
	v_and_b32_e32 v9, 63, v6
	v_lshrrev_b32_e32 v12, 6, v6
	v_lshlrev_b32_e32 v13, 4, v7
	s_add_i32 s7, s9, s7
	v_add_co_u32 v2, s6, v8, s2
	v_add_co_ci_u32_e64 v3, null, 0, s3, s6
	v_add_co_u32 v4, s6, s0, v9
	v_add_co_ci_u32_e64 v5, null, s1, 0, s6
	v_mad_u64_u32 v[2:3], null, s26, v7, v[2:3]
	v_mul_lo_u32 v10, s21, v4
	v_mul_lo_u32 v11, s20, v5
	v_mad_u64_u32 v[4:5], null, s20, v4, 0
	s_mul_i32 s6, s22, s8
	v_mov_b32_e32 v74, 0
	s_lshl_b64 s[6:7], s[6:7], 4
	v_mov_b32_e32 v16, 0
	v_mov_b32_e32 v14, 0
	;; [unrolled: 1-line block ×3, first 2 shown]
	v_add3_u32 v5, v5, v11, v10
	v_mad_u64_u32 v[6:7], null, s27, v7, v[3:4]
	v_lshlrev_b32_e32 v3, 4, v9
	v_lshl_or_b32 v7, v8, 6, v13
	v_lshlrev_b64 v[4:5], 4, v[4:5]
	v_mov_b32_e32 v10, 0
	v_mov_b32_e32 v18, 0
	v_lshl_or_b32 v92, v12, 10, v3
	v_mov_b32_e32 v3, v6
	v_lshlrev_b32_e32 v6, 4, v12
	v_add_co_u32 v4, vcc_lo, v4, s6
	v_add_co_ci_u32_e64 v5, null, s7, v5, vcc_lo
	s_mul_i32 s6, s37, s8
	v_add_co_u32 v4, vcc_lo, v4, v6
	v_add_co_ci_u32_e64 v5, null, 0, v5, vcc_lo
	s_mul_hi_u32 s7, s36, s8
	v_add_co_u32 v4, vcc_lo, s18, v4
	s_add_i32 s7, s7, s6
	s_mul_i32 s6, s36, s8
	v_lshlrev_b64 v[2:3], 4, v[2:3]
	v_add_co_ci_u32_e64 v5, null, s19, v5, vcc_lo
	s_lshl_b64 s[6:7], s[6:7], 4
	v_add_co_u32 v26, vcc_lo, v4, 8
	s_add_u32 s6, s24, s6
	v_add_co_ci_u32_e64 v27, null, 0, v5, vcc_lo
	s_addc_u32 s7, s25, s7
	v_add_co_u32 v2, vcc_lo, s6, v2
	v_add_co_ci_u32_e64 v3, null, s7, v3, vcc_lo
	v_mov_b32_e32 v12, 0
	v_add_co_u32 v28, vcc_lo, v2, 8
	v_mov_b32_e32 v40, 0
	v_mov_b32_e32 v38, 0
	;; [unrolled: 1-line block ×24, first 2 shown]
	v_lshlrev_b32_e32 v90, 4, v0
	v_lshl_add_u32 v91, v1, 6, 0x1000
	v_add_nc_u32_e32 v93, 0x1000, v7
	v_mov_b32_e32 v77, 0
	v_mov_b32_e32 v75, 0
	;; [unrolled: 1-line block ×32, first 2 shown]
	v_add_co_ci_u32_e64 v29, null, 0, v3, vcc_lo
	s_lshl_b64 s[6:7], s[26:27], 6
	s_mov_b64 s[10:11], 0
.LBB122_2:                              ; =>This Inner Loop Header: Depth=1
	global_load_dwordx4 v[2:5], v[26:27], off offset:-8
	s_add_u32 s10, s10, 4
	s_addc_u32 s11, s11, 0
	v_add_co_u32 v26, vcc_lo, v26, 64
	v_cmp_lt_i64_e64 s9, s[10:11], s[12:13]
	v_add_co_ci_u32_e64 v27, null, 0, v27, vcc_lo
	s_waitcnt vmcnt(0)
	v_xor_b32_e32 v5, 0x80000000, v5
	ds_write_b128 v92, v[2:5]
	global_load_dwordx4 v[2:5], v[28:29], off offset:-8
	v_add_co_u32 v28, vcc_lo, v28, s6
	v_add_co_ci_u32_e64 v29, null, s7, v29, vcc_lo
	s_and_b32 vcc_lo, exec_lo, s9
	s_waitcnt vmcnt(0)
	v_xor_b32_e32 v5, 0x80000000, v5
	ds_write_b128 v93, v[2:5]
	s_waitcnt lgkmcnt(0)
	s_barrier
	buffer_gl0_inv
	ds_read_b128 v[78:81], v91
	ds_read_b128 v[82:85], v91 offset:16
	ds_read_b128 v[6:9], v91 offset:32
	;; [unrolled: 1-line block ×3, first 2 shown]
	ds_read_b128 v[86:89], v90
	s_waitcnt lgkmcnt(0)
	v_mul_f64 v[94:95], v[80:81], v[88:89]
	v_mul_f64 v[96:97], v[78:79], v[88:89]
	v_fma_f64 v[94:95], v[78:79], v[86:87], -v[94:95]
	v_fma_f64 v[96:97], v[80:81], v[86:87], v[96:97]
	v_add_f64 v[98:99], v[48:49], v[94:95]
	v_add_f64 v[100:101], v[96:97], v[52:53]
	ds_read_b128 v[94:97], v90 offset:256
	s_waitcnt lgkmcnt(0)
	v_mul_f64 v[48:49], v[80:81], v[96:97]
	v_mul_f64 v[52:53], v[78:79], v[96:97]
	v_fma_f64 v[48:49], v[78:79], v[94:95], -v[48:49]
	v_fma_f64 v[52:53], v[80:81], v[94:95], v[52:53]
	v_add_f64 v[102:103], v[34:35], v[48:49]
	v_add_f64 v[104:105], v[52:53], v[36:37]
	ds_read_b128 v[34:37], v90 offset:512
	;; [unrolled: 8-line block ×4, first 2 shown]
	s_waitcnt lgkmcnt(0)
	v_mul_f64 v[48:49], v[24:25], v[88:89]
	v_mul_f64 v[52:53], v[22:23], v[88:89]
	v_fma_f64 v[48:49], v[22:23], v[86:87], -v[48:49]
	v_fma_f64 v[52:53], v[24:25], v[86:87], v[52:53]
	v_add_f64 v[70:71], v[70:71], v[48:49]
	v_mul_f64 v[48:49], v[24:25], v[96:97]
	v_add_f64 v[72:73], v[52:53], v[72:73]
	v_mul_f64 v[52:53], v[22:23], v[96:97]
	v_fma_f64 v[48:49], v[22:23], v[94:95], -v[48:49]
	v_fma_f64 v[52:53], v[24:25], v[94:95], v[52:53]
	v_add_f64 v[110:111], v[62:63], v[48:49]
	v_mul_f64 v[48:49], v[24:25], v[36:37]
	v_add_f64 v[112:113], v[52:53], v[64:65]
	;; [unrolled: 6-line block ×3, first 2 shown]
	v_fma_f64 v[48:49], v[22:23], v[30:31], -v[48:49]
	v_mul_f64 v[22:23], v[22:23], v[32:33]
	v_add_f64 v[118:119], v[42:43], v[48:49]
	v_fma_f64 v[22:23], v[24:25], v[30:31], v[22:23]
	v_add_f64 v[120:121], v[22:23], v[46:47]
	ds_read_b128 v[22:25], v91 offset:2048
	s_waitcnt lgkmcnt(0)
	v_mul_f64 v[42:43], v[24:25], v[88:89]
	v_mul_f64 v[46:47], v[22:23], v[88:89]
	v_fma_f64 v[42:43], v[22:23], v[86:87], -v[42:43]
	v_fma_f64 v[46:47], v[24:25], v[86:87], v[46:47]
	v_add_f64 v[122:123], v[66:67], v[42:43]
	v_mul_f64 v[42:43], v[24:25], v[96:97]
	v_add_f64 v[124:125], v[46:47], v[68:69]
	v_mul_f64 v[46:47], v[22:23], v[96:97]
	v_fma_f64 v[42:43], v[22:23], v[94:95], -v[42:43]
	v_fma_f64 v[46:47], v[24:25], v[94:95], v[46:47]
	v_add_f64 v[126:127], v[56:57], v[42:43]
	v_mul_f64 v[42:43], v[24:25], v[36:37]
	v_add_f64 v[128:129], v[46:47], v[60:61]
	;; [unrolled: 6-line block ×3, first 2 shown]
	v_fma_f64 v[42:43], v[22:23], v[30:31], -v[42:43]
	v_mul_f64 v[22:23], v[22:23], v[32:33]
	v_add_f64 v[134:135], v[38:39], v[42:43]
	v_fma_f64 v[22:23], v[24:25], v[30:31], v[22:23]
	v_add_f64 v[136:137], v[22:23], v[40:41]
	ds_read_b128 v[22:25], v91 offset:3072
	s_waitcnt lgkmcnt(0)
	v_mul_f64 v[38:39], v[24:25], v[88:89]
	v_mul_f64 v[40:41], v[22:23], v[88:89]
	v_fma_f64 v[38:39], v[22:23], v[86:87], -v[38:39]
	v_fma_f64 v[40:41], v[24:25], v[86:87], v[40:41]
	v_add_f64 v[58:59], v[18:19], v[38:39]
	v_add_f64 v[60:61], v[40:41], v[20:21]
	v_mul_f64 v[18:19], v[24:25], v[96:97]
	v_mul_f64 v[20:21], v[22:23], v[96:97]
	v_fma_f64 v[18:19], v[22:23], v[94:95], -v[18:19]
	v_fma_f64 v[20:21], v[24:25], v[94:95], v[20:21]
	v_add_f64 v[54:55], v[14:15], v[18:19]
	v_add_f64 v[56:57], v[20:21], v[16:17]
	v_mul_f64 v[14:15], v[24:25], v[36:37]
	v_mul_f64 v[16:17], v[22:23], v[36:37]
	ds_read_b128 v[18:21], v90 offset:1280
	v_fma_f64 v[14:15], v[22:23], v[34:35], -v[14:15]
	v_fma_f64 v[16:17], v[24:25], v[34:35], v[16:17]
	v_add_f64 v[50:51], v[10:11], v[14:15]
	v_add_f64 v[52:53], v[16:17], v[12:13]
	v_mul_f64 v[10:11], v[24:25], v[32:33]
	v_mul_f64 v[12:13], v[22:23], v[32:33]
	ds_read_b128 v[14:17], v90 offset:1536
	v_fma_f64 v[10:11], v[22:23], v[30:31], -v[10:11]
	v_fma_f64 v[12:13], v[24:25], v[30:31], v[12:13]
	ds_read_b128 v[22:25], v90 offset:1024
	v_add_f64 v[46:47], v[74:75], v[10:11]
	v_add_f64 v[48:49], v[12:13], v[76:77]
	s_waitcnt lgkmcnt(0)
	v_mul_f64 v[10:11], v[84:85], v[24:25]
	v_mul_f64 v[12:13], v[82:83], v[24:25]
	ds_read_b128 v[74:77], v91 offset:1040
	v_fma_f64 v[10:11], v[82:83], v[22:23], -v[10:11]
	v_fma_f64 v[12:13], v[84:85], v[22:23], v[12:13]
	s_waitcnt lgkmcnt(0)
	v_mul_f64 v[62:63], v[76:77], v[24:25]
	v_mul_f64 v[64:65], v[74:75], v[24:25]
	;; [unrolled: 1-line block ×4, first 2 shown]
	v_add_f64 v[42:43], v[98:99], v[10:11]
	v_add_f64 v[44:45], v[12:13], v[100:101]
	v_mul_f64 v[10:11], v[84:85], v[20:21]
	v_mul_f64 v[12:13], v[82:83], v[20:21]
	v_fma_f64 v[62:63], v[74:75], v[22:23], -v[62:63]
	v_fma_f64 v[64:65], v[76:77], v[22:23], v[64:65]
	v_fma_f64 v[66:67], v[74:75], v[18:19], -v[66:67]
	v_fma_f64 v[68:69], v[76:77], v[18:19], v[68:69]
	;; [unrolled: 2-line block ×3, first 2 shown]
	v_add_f64 v[62:63], v[70:71], v[62:63]
	v_mul_f64 v[70:71], v[76:77], v[16:17]
	v_add_f64 v[64:65], v[64:65], v[72:73]
	v_mul_f64 v[72:73], v[74:75], v[16:17]
	v_add_f64 v[66:67], v[110:111], v[66:67]
	v_add_f64 v[68:69], v[68:69], v[112:113]
	v_add_f64 v[38:39], v[102:103], v[10:11]
	v_add_f64 v[40:41], v[12:13], v[104:105]
	v_mul_f64 v[10:11], v[84:85], v[16:17]
	v_mul_f64 v[12:13], v[82:83], v[16:17]
	v_fma_f64 v[70:71], v[74:75], v[14:15], -v[70:71]
	v_fma_f64 v[72:73], v[76:77], v[14:15], v[72:73]
	v_fma_f64 v[10:11], v[82:83], v[14:15], -v[10:11]
	v_fma_f64 v[12:13], v[84:85], v[14:15], v[12:13]
	v_add_f64 v[70:71], v[114:115], v[70:71]
	v_add_f64 v[72:73], v[72:73], v[116:117]
	;; [unrolled: 1-line block ×4, first 2 shown]
	ds_read_b128 v[10:13], v90 offset:1792
	s_waitcnt lgkmcnt(0)
	v_mul_f64 v[30:31], v[84:85], v[12:13]
	v_mul_f64 v[32:33], v[82:83], v[12:13]
	v_fma_f64 v[30:31], v[82:83], v[10:11], -v[30:31]
	v_fma_f64 v[32:33], v[84:85], v[10:11], v[32:33]
	v_add_f64 v[30:31], v[78:79], v[30:31]
	v_mul_f64 v[78:79], v[76:77], v[12:13]
	v_add_f64 v[32:33], v[32:33], v[80:81]
	v_fma_f64 v[78:79], v[74:75], v[10:11], -v[78:79]
	v_mul_f64 v[74:75], v[74:75], v[12:13]
	v_fma_f64 v[76:77], v[76:77], v[10:11], v[74:75]
	v_add_f64 v[74:75], v[118:119], v[78:79]
	ds_read_b128 v[78:81], v91 offset:2064
	s_waitcnt lgkmcnt(0)
	v_mul_f64 v[82:83], v[80:81], v[24:25]
	v_mul_f64 v[86:87], v[80:81], v[20:21]
	;; [unrolled: 1-line block ×7, first 2 shown]
	v_add_f64 v[76:77], v[76:77], v[120:121]
	v_fma_f64 v[82:83], v[78:79], v[22:23], -v[82:83]
	v_fma_f64 v[86:87], v[78:79], v[18:19], -v[86:87]
	;; [unrolled: 1-line block ×4, first 2 shown]
	v_mul_f64 v[78:79], v[78:79], v[12:13]
	v_fma_f64 v[84:85], v[80:81], v[22:23], v[84:85]
	v_fma_f64 v[88:89], v[80:81], v[18:19], v[88:89]
	;; [unrolled: 1-line block ×3, first 2 shown]
	v_add_f64 v[82:83], v[122:123], v[82:83]
	v_add_f64 v[86:87], v[126:127], v[86:87]
	;; [unrolled: 1-line block ×4, first 2 shown]
	v_fma_f64 v[78:79], v[80:81], v[10:11], v[78:79]
	v_add_f64 v[84:85], v[84:85], v[124:125]
	v_add_f64 v[88:89], v[88:89], v[128:129]
	;; [unrolled: 1-line block ×4, first 2 shown]
	ds_read_b128 v[78:81], v91 offset:3088
	s_waitcnt lgkmcnt(0)
	v_mul_f64 v[102:103], v[80:81], v[24:25]
	v_mul_f64 v[24:25], v[78:79], v[24:25]
	v_fma_f64 v[102:103], v[78:79], v[22:23], -v[102:103]
	v_fma_f64 v[22:23], v[80:81], v[22:23], v[24:25]
	v_add_f64 v[58:59], v[58:59], v[102:103]
	v_add_f64 v[60:61], v[22:23], v[60:61]
	v_mul_f64 v[22:23], v[80:81], v[20:21]
	v_mul_f64 v[20:21], v[78:79], v[20:21]
	v_fma_f64 v[22:23], v[78:79], v[18:19], -v[22:23]
	v_fma_f64 v[18:19], v[80:81], v[18:19], v[20:21]
	v_add_f64 v[54:55], v[54:55], v[22:23]
	v_add_f64 v[56:57], v[18:19], v[56:57]
	;; [unrolled: 6-line block ×4, first 2 shown]
	ds_read_b128 v[10:13], v90 offset:2048
	s_waitcnt lgkmcnt(0)
	v_mul_f64 v[14:15], v[8:9], v[12:13]
	v_mul_f64 v[16:17], v[6:7], v[12:13]
	v_fma_f64 v[14:15], v[6:7], v[10:11], -v[14:15]
	v_fma_f64 v[16:17], v[8:9], v[10:11], v[16:17]
	v_add_f64 v[42:43], v[42:43], v[14:15]
	v_add_f64 v[44:45], v[16:17], v[44:45]
	ds_read_b128 v[14:17], v90 offset:2304
	s_waitcnt lgkmcnt(0)
	v_mul_f64 v[18:19], v[8:9], v[16:17]
	v_mul_f64 v[20:21], v[6:7], v[16:17]
	v_fma_f64 v[18:19], v[6:7], v[14:15], -v[18:19]
	v_fma_f64 v[20:21], v[8:9], v[14:15], v[20:21]
	v_add_f64 v[38:39], v[38:39], v[18:19]
	v_add_f64 v[40:41], v[20:21], v[40:41]
	;; [unrolled: 8-line block ×3, first 2 shown]
	ds_read_b128 v[22:25], v90 offset:2816
	s_waitcnt lgkmcnt(0)
	v_mul_f64 v[34:35], v[8:9], v[24:25]
	v_fma_f64 v[34:35], v[6:7], v[22:23], -v[34:35]
	v_mul_f64 v[6:7], v[6:7], v[24:25]
	v_add_f64 v[106:107], v[30:31], v[34:35]
	v_fma_f64 v[6:7], v[8:9], v[22:23], v[6:7]
	v_add_f64 v[108:109], v[6:7], v[32:33]
	ds_read_b128 v[6:9], v91 offset:1056
	s_waitcnt lgkmcnt(0)
	v_mul_f64 v[30:31], v[8:9], v[12:13]
	v_mul_f64 v[32:33], v[6:7], v[12:13]
	v_fma_f64 v[30:31], v[6:7], v[10:11], -v[30:31]
	v_fma_f64 v[32:33], v[8:9], v[10:11], v[32:33]
	v_add_f64 v[62:63], v[62:63], v[30:31]
	v_mul_f64 v[30:31], v[8:9], v[16:17]
	v_add_f64 v[64:65], v[32:33], v[64:65]
	v_mul_f64 v[32:33], v[6:7], v[16:17]
	v_fma_f64 v[30:31], v[6:7], v[14:15], -v[30:31]
	v_fma_f64 v[32:33], v[8:9], v[14:15], v[32:33]
	v_add_f64 v[66:67], v[66:67], v[30:31]
	v_mul_f64 v[30:31], v[8:9], v[20:21]
	v_add_f64 v[68:69], v[32:33], v[68:69]
	;; [unrolled: 6-line block ×3, first 2 shown]
	v_fma_f64 v[30:31], v[6:7], v[22:23], -v[30:31]
	v_mul_f64 v[6:7], v[6:7], v[24:25]
	v_add_f64 v[114:115], v[74:75], v[30:31]
	v_fma_f64 v[6:7], v[8:9], v[22:23], v[6:7]
	v_add_f64 v[116:117], v[6:7], v[76:77]
	ds_read_b128 v[6:9], v91 offset:2080
	s_waitcnt lgkmcnt(0)
	v_mul_f64 v[30:31], v[8:9], v[12:13]
	v_mul_f64 v[32:33], v[6:7], v[12:13]
	v_fma_f64 v[30:31], v[6:7], v[10:11], -v[30:31]
	v_fma_f64 v[32:33], v[8:9], v[10:11], v[32:33]
	v_add_f64 v[118:119], v[82:83], v[30:31]
	v_mul_f64 v[30:31], v[8:9], v[16:17]
	v_add_f64 v[120:121], v[32:33], v[84:85]
	v_mul_f64 v[32:33], v[6:7], v[16:17]
	v_fma_f64 v[30:31], v[6:7], v[14:15], -v[30:31]
	v_fma_f64 v[32:33], v[8:9], v[14:15], v[32:33]
	v_add_f64 v[122:123], v[86:87], v[30:31]
	v_mul_f64 v[30:31], v[8:9], v[20:21]
	v_add_f64 v[124:125], v[32:33], v[88:89]
	;; [unrolled: 6-line block ×3, first 2 shown]
	v_fma_f64 v[30:31], v[6:7], v[22:23], -v[30:31]
	v_mul_f64 v[6:7], v[6:7], v[24:25]
	v_add_f64 v[98:99], v[98:99], v[30:31]
	v_fma_f64 v[6:7], v[8:9], v[22:23], v[6:7]
	v_add_f64 v[100:101], v[6:7], v[100:101]
	ds_read_b128 v[6:9], v91 offset:3104
	s_waitcnt lgkmcnt(0)
	v_mul_f64 v[30:31], v[8:9], v[12:13]
	v_mul_f64 v[12:13], v[6:7], v[12:13]
	v_fma_f64 v[30:31], v[6:7], v[10:11], -v[30:31]
	v_fma_f64 v[10:11], v[8:9], v[10:11], v[12:13]
	v_mul_f64 v[12:13], v[6:7], v[16:17]
	v_add_f64 v[86:87], v[58:59], v[30:31]
	v_add_f64 v[88:89], v[10:11], v[60:61]
	v_mul_f64 v[10:11], v[8:9], v[16:17]
	v_fma_f64 v[12:13], v[8:9], v[14:15], v[12:13]
	v_fma_f64 v[10:11], v[6:7], v[14:15], -v[10:11]
	v_add_f64 v[84:85], v[12:13], v[56:57]
	v_mul_f64 v[12:13], v[6:7], v[20:21]
	ds_read_b128 v[14:17], v90 offset:3328
	v_add_f64 v[82:83], v[54:55], v[10:11]
	v_mul_f64 v[10:11], v[8:9], v[20:21]
	v_fma_f64 v[12:13], v[8:9], v[18:19], v[12:13]
	v_fma_f64 v[10:11], v[6:7], v[18:19], -v[10:11]
	ds_read_b128 v[18:21], v90 offset:3072
	v_add_f64 v[80:81], v[12:13], v[52:53]
	v_add_f64 v[78:79], v[50:51], v[10:11]
	v_mul_f64 v[10:11], v[8:9], v[24:25]
	v_fma_f64 v[10:11], v[6:7], v[22:23], -v[10:11]
	v_mul_f64 v[6:7], v[6:7], v[24:25]
	v_add_f64 v[74:75], v[46:47], v[10:11]
	v_fma_f64 v[6:7], v[8:9], v[22:23], v[6:7]
	s_waitcnt lgkmcnt(0)
	v_mul_f64 v[8:9], v[2:3], v[20:21]
	ds_read_b128 v[10:13], v90 offset:3584
	v_add_f64 v[76:77], v[6:7], v[48:49]
	v_mul_f64 v[6:7], v[4:5], v[20:21]
	v_fma_f64 v[8:9], v[4:5], v[18:19], v[8:9]
	v_fma_f64 v[6:7], v[2:3], v[18:19], -v[6:7]
	v_add_f64 v[52:53], v[8:9], v[44:45]
	v_mul_f64 v[8:9], v[2:3], v[16:17]
	v_add_f64 v[48:49], v[42:43], v[6:7]
	v_mul_f64 v[6:7], v[4:5], v[16:17]
	v_fma_f64 v[8:9], v[4:5], v[14:15], v[8:9]
	v_fma_f64 v[6:7], v[2:3], v[14:15], -v[6:7]
	v_add_f64 v[36:37], v[8:9], v[40:41]
	s_waitcnt lgkmcnt(0)
	v_mul_f64 v[8:9], v[2:3], v[12:13]
	v_add_f64 v[34:35], v[38:39], v[6:7]
	v_mul_f64 v[6:7], v[4:5], v[12:13]
	v_fma_f64 v[8:9], v[4:5], v[10:11], v[8:9]
	v_fma_f64 v[6:7], v[2:3], v[10:11], -v[6:7]
	v_add_f64 v[32:33], v[8:9], v[104:105]
	v_add_f64 v[30:31], v[102:103], v[6:7]
	ds_read_b128 v[6:9], v90 offset:3840
	s_waitcnt lgkmcnt(0)
	v_mul_f64 v[22:23], v[4:5], v[8:9]
	v_fma_f64 v[22:23], v[2:3], v[6:7], -v[22:23]
	v_mul_f64 v[2:3], v[2:3], v[8:9]
	v_add_f64 v[22:23], v[106:107], v[22:23]
	v_fma_f64 v[2:3], v[4:5], v[6:7], v[2:3]
	v_add_f64 v[24:25], v[2:3], v[108:109]
	ds_read_b128 v[2:5], v91 offset:1072
	s_waitcnt lgkmcnt(0)
	v_mul_f64 v[38:39], v[4:5], v[20:21]
	v_mul_f64 v[40:41], v[2:3], v[20:21]
	v_fma_f64 v[38:39], v[2:3], v[18:19], -v[38:39]
	v_fma_f64 v[40:41], v[4:5], v[18:19], v[40:41]
	v_add_f64 v[70:71], v[62:63], v[38:39]
	v_mul_f64 v[38:39], v[4:5], v[16:17]
	v_add_f64 v[72:73], v[40:41], v[64:65]
	v_mul_f64 v[40:41], v[2:3], v[16:17]
	v_fma_f64 v[38:39], v[2:3], v[14:15], -v[38:39]
	v_fma_f64 v[40:41], v[4:5], v[14:15], v[40:41]
	v_add_f64 v[62:63], v[66:67], v[38:39]
	v_mul_f64 v[38:39], v[4:5], v[12:13]
	v_add_f64 v[64:65], v[40:41], v[68:69]
	;; [unrolled: 6-line block ×3, first 2 shown]
	v_fma_f64 v[38:39], v[2:3], v[6:7], -v[38:39]
	v_mul_f64 v[2:3], v[2:3], v[8:9]
	v_add_f64 v[42:43], v[114:115], v[38:39]
	v_fma_f64 v[2:3], v[4:5], v[6:7], v[2:3]
	v_add_f64 v[46:47], v[2:3], v[116:117]
	ds_read_b128 v[2:5], v91 offset:2096
	s_waitcnt lgkmcnt(0)
	v_mul_f64 v[38:39], v[4:5], v[20:21]
	v_mul_f64 v[40:41], v[2:3], v[20:21]
	v_fma_f64 v[38:39], v[2:3], v[18:19], -v[38:39]
	v_fma_f64 v[40:41], v[4:5], v[18:19], v[40:41]
	v_add_f64 v[66:67], v[118:119], v[38:39]
	v_mul_f64 v[38:39], v[4:5], v[16:17]
	v_add_f64 v[68:69], v[40:41], v[120:121]
	v_mul_f64 v[40:41], v[2:3], v[16:17]
	v_fma_f64 v[38:39], v[2:3], v[14:15], -v[38:39]
	v_fma_f64 v[40:41], v[4:5], v[14:15], v[40:41]
	v_add_f64 v[56:57], v[122:123], v[38:39]
	v_mul_f64 v[38:39], v[4:5], v[12:13]
	v_add_f64 v[60:61], v[40:41], v[124:125]
	;; [unrolled: 6-line block ×3, first 2 shown]
	v_fma_f64 v[38:39], v[2:3], v[6:7], -v[38:39]
	v_mul_f64 v[2:3], v[2:3], v[8:9]
	v_add_f64 v[38:39], v[98:99], v[38:39]
	v_fma_f64 v[2:3], v[4:5], v[6:7], v[2:3]
	v_add_f64 v[40:41], v[2:3], v[100:101]
	ds_read_b128 v[2:5], v91 offset:3120
	s_waitcnt lgkmcnt(0)
	s_barrier
	buffer_gl0_inv
	v_mul_f64 v[94:95], v[4:5], v[20:21]
	v_mul_f64 v[20:21], v[2:3], v[20:21]
	v_fma_f64 v[94:95], v[2:3], v[18:19], -v[94:95]
	v_fma_f64 v[20:21], v[4:5], v[18:19], v[20:21]
	v_add_f64 v[18:19], v[86:87], v[94:95]
	v_mul_f64 v[86:87], v[4:5], v[16:17]
	v_mul_f64 v[16:17], v[2:3], v[16:17]
	v_add_f64 v[20:21], v[20:21], v[88:89]
	v_fma_f64 v[86:87], v[2:3], v[14:15], -v[86:87]
	v_fma_f64 v[16:17], v[4:5], v[14:15], v[16:17]
	v_add_f64 v[14:15], v[82:83], v[86:87]
	v_mul_f64 v[82:83], v[4:5], v[12:13]
	v_mul_f64 v[12:13], v[2:3], v[12:13]
	v_add_f64 v[16:17], v[16:17], v[84:85]
	v_fma_f64 v[82:83], v[2:3], v[10:11], -v[82:83]
	v_fma_f64 v[12:13], v[4:5], v[10:11], v[12:13]
	v_add_f64 v[10:11], v[78:79], v[82:83]
	v_mul_f64 v[78:79], v[4:5], v[8:9]
	v_add_f64 v[12:13], v[12:13], v[80:81]
	v_fma_f64 v[78:79], v[2:3], v[6:7], -v[78:79]
	v_mul_f64 v[2:3], v[2:3], v[8:9]
	v_add_f64 v[74:75], v[74:75], v[78:79]
	v_fma_f64 v[2:3], v[4:5], v[6:7], v[2:3]
	v_add_f64 v[76:77], v[2:3], v[76:77]
	s_cbranch_vccnz .LBB122_2
	s_branch .LBB122_4
.LBB122_3:
	v_mov_b32_e32 v48, 0
	v_mov_b32_e32 v52, 0
	;; [unrolled: 1-line block ×64, first 2 shown]
.LBB122_4:
	s_load_dwordx2 s[4:5], s[4:5], 0x90
	v_cmp_neq_f64_e64 s6, s[38:39], 0
	v_cmp_neq_f64_e64 s7, s[40:41], 0
	v_add_co_u32 v6, s2, s2, v1
	v_add_co_u32 v0, s0, s0, v0
	v_add_co_ci_u32_e64 v7, null, s3, 0, s2
	v_add_co_ci_u32_e64 v1, null, s1, 0, s0
	s_waitcnt lgkmcnt(0)
	s_mul_i32 s5, s5, s8
	s_mul_hi_u32 s9, s4, s8
	s_mul_i32 s4, s4, s8
	s_add_i32 s5, s9, s5
	s_lshl_b64 s[4:5], s[4:5], 4
	s_add_u32 s2, s48, s4
	s_addc_u32 s3, s49, s5
	s_or_b32 s4, s6, s7
	s_and_b32 vcc_lo, exec_lo, s4
	s_cbranch_vccnz .LBB122_6
; %bb.5:
	v_mul_f64 v[4:5], s[16:17], v[52:53]
	v_mul_f64 v[8:9], s[14:15], v[52:53]
	v_mul_lo_u32 v78, v7, s50
	v_mul_lo_u32 v79, v6, s51
	v_mad_u64_u32 v[2:3], null, v6, s50, 0
	v_mul_f64 v[26:27], s[16:17], v[36:37]
	v_mul_f64 v[28:29], s[14:15], v[36:37]
	;; [unrolled: 1-line block ×6, first 2 shown]
	v_add3_u32 v3, v3, v79, v78
	v_mul_f64 v[78:79], s[16:17], v[32:33]
	v_mul_f64 v[88:89], s[14:15], v[72:73]
	;; [unrolled: 1-line block ×4, first 2 shown]
	v_lshlrev_b64 v[2:3], 4, v[2:3]
	v_mul_f64 v[94:95], s[16:17], v[58:59]
	v_mul_f64 v[96:97], s[14:15], v[58:59]
	;; [unrolled: 1-line block ×4, first 2 shown]
	s_lshl_b64 s[0:1], s[50:51], 8
	v_add_co_u32 v104, vcc_lo, s2, v2
	v_add_co_ci_u32_e64 v105, null, s3, v3, vcc_lo
	v_fma_f64 v[2:3], s[14:15], v[48:49], -v[4:5]
	v_fma_f64 v[4:5], s[16:17], v[48:49], v[8:9]
	v_lshlrev_b64 v[8:9], 4, v[0:1]
	v_fma_f64 v[26:27], s[14:15], v[34:35], -v[26:27]
	v_fma_f64 v[28:29], s[16:17], v[34:35], v[28:29]
	v_fma_f64 v[80:81], s[16:17], v[30:31], v[80:81]
	v_fma_f64 v[82:83], s[14:15], v[22:23], -v[82:83]
	v_fma_f64 v[84:85], s[16:17], v[22:23], v[84:85]
	v_add_co_u32 v102, vcc_lo, v104, v8
	v_fma_f64 v[78:79], s[14:15], v[30:31], -v[78:79]
	v_add_co_ci_u32_e64 v103, null, v105, v9, vcc_lo
	v_fma_f64 v[86:87], s[14:15], v[70:71], -v[86:87]
	v_fma_f64 v[88:89], s[16:17], v[70:71], v[88:89]
	v_fma_f64 v[90:91], s[14:15], v[62:63], -v[90:91]
	v_fma_f64 v[92:93], s[16:17], v[62:63], v[92:93]
	;; [unrolled: 2-line block ×3, first 2 shown]
	v_add_co_u32 v106, vcc_lo, v104, s0
	v_add_co_ci_u32_e64 v107, null, s1, v105, vcc_lo
	global_store_dwordx4 v[102:103], v[2:5], off
	v_fma_f64 v[2:3], s[14:15], v[42:43], -v[98:99]
	v_fma_f64 v[4:5], s[16:17], v[42:43], v[100:101]
	v_add_co_u32 v104, vcc_lo, v106, v8
	v_add_co_ci_u32_e64 v105, null, v107, v9, vcc_lo
	global_store_dwordx4 v[102:103], v[26:29], off offset:256
	global_store_dwordx4 v[102:103], v[78:81], off offset:512
	global_store_dwordx4 v[102:103], v[82:85], off offset:768
	global_store_dwordx4 v[104:105], v[86:89], off
	global_store_dwordx4 v[104:105], v[90:93], off offset:256
	global_store_dwordx4 v[104:105], v[94:97], off offset:512
	v_mul_f64 v[26:27], s[16:17], v[68:69]
	v_mul_f64 v[28:29], s[14:15], v[68:69]
	;; [unrolled: 1-line block ×12, first 2 shown]
	global_store_dwordx4 v[104:105], v[2:5], off offset:768
	v_mul_f64 v[2:3], s[16:17], v[76:77]
	v_mul_f64 v[4:5], s[14:15], v[76:77]
	;; [unrolled: 1-line block ×4, first 2 shown]
	v_add_co_u32 v104, vcc_lo, v106, s0
	v_add_co_ci_u32_e64 v105, null, s1, v107, vcc_lo
	v_fma_f64 v[26:27], s[14:15], v[66:67], -v[26:27]
	v_fma_f64 v[28:29], s[16:17], v[66:67], v[28:29]
	v_fma_f64 v[78:79], s[14:15], v[56:57], -v[78:79]
	v_fma_f64 v[80:81], s[16:17], v[56:57], v[80:81]
	;; [unrolled: 2-line block ×6, first 2 shown]
	v_add_co_u32 v106, vcc_lo, v104, s0
	v_fma_f64 v[102:103], s[14:15], v[74:75], -v[2:3]
	v_fma_f64 v[2:3], s[16:17], v[74:75], v[4:5]
	v_fma_f64 v[98:99], s[14:15], v[10:11], -v[98:99]
	v_fma_f64 v[100:101], s[16:17], v[10:11], v[100:101]
	v_add_co_ci_u32_e64 v107, null, s1, v105, vcc_lo
	v_add_co_u32 v4, vcc_lo, v104, v8
	v_add_co_ci_u32_e64 v5, null, v105, v9, vcc_lo
	v_add_co_u32 v8, vcc_lo, v106, v8
	v_add_co_ci_u32_e64 v9, null, v107, v9, vcc_lo
	global_store_dwordx4 v[4:5], v[26:29], off
	global_store_dwordx4 v[4:5], v[78:81], off offset:256
	global_store_dwordx4 v[4:5], v[82:85], off offset:512
	global_store_dwordx4 v[4:5], v[86:89], off offset:768
	global_store_dwordx4 v[8:9], v[90:93], off
	v_add_co_u32 v4, vcc_lo, 0x300, v8
	v_add_co_ci_u32_e64 v5, null, 0, v9, vcc_lo
	global_store_dwordx4 v[8:9], v[94:97], off offset:256
	global_store_dwordx4 v[8:9], v[98:101], off offset:512
	global_store_dwordx2 v[8:9], v[102:103], off offset:768
	s_cbranch_execz .LBB122_7
	s_branch .LBB122_8
.LBB122_6:
                                        ; implicit-def: $vgpr2_vgpr3
                                        ; implicit-def: $vgpr4_vgpr5
.LBB122_7:
	v_mul_lo_u32 v4, v7, s44
	v_mul_lo_u32 v5, v6, s45
	v_mad_u64_u32 v[2:3], null, v6, s44, 0
	s_mul_i32 s1, s47, s8
	s_mul_hi_u32 s4, s46, s8
	s_mul_i32 s0, s46, s8
	s_add_i32 s1, s4, s1
	v_mul_f64 v[26:27], s[16:17], v[52:53]
	s_lshl_b64 s[0:1], s[0:1], 4
	v_add3_u32 v3, v3, v5, v4
	s_add_u32 s0, s42, s0
	v_lshlrev_b64 v[4:5], 4, v[0:1]
	s_addc_u32 s1, s43, s1
	v_mul_f64 v[28:29], s[14:15], v[52:53]
	v_lshlrev_b64 v[2:3], 4, v[2:3]
	v_add_co_u32 v78, vcc_lo, s0, v2
	v_add_co_ci_u32_e64 v79, null, s1, v3, vcc_lo
	s_lshl_b64 s[0:1], s[44:45], 8
	v_add_co_u32 v8, vcc_lo, v78, v4
	v_add_co_ci_u32_e64 v9, null, v79, v5, vcc_lo
	v_fma_f64 v[26:27], s[14:15], v[48:49], -v[26:27]
	global_load_dwordx4 v[0:3], v[8:9], off
	v_fma_f64 v[28:29], s[16:17], v[48:49], v[28:29]
	s_waitcnt vmcnt(0)
	v_mul_f64 v[52:53], s[40:41], v[2:3]
	v_mul_f64 v[2:3], s[38:39], v[2:3]
	v_fma_f64 v[48:49], s[38:39], v[0:1], -v[52:53]
	v_fma_f64 v[2:3], s[40:41], v[0:1], v[2:3]
	v_mul_lo_u32 v0, v7, s50
	v_mul_lo_u32 v1, v6, s51
	v_mad_u64_u32 v[6:7], null, v6, s50, 0
	v_add3_u32 v7, v7, v1, v0
	v_lshlrev_b64 v[6:7], 4, v[6:7]
	v_add_f64 v[0:1], v[26:27], v[48:49]
	v_add_f64 v[2:3], v[28:29], v[2:3]
	v_add_co_u32 v48, vcc_lo, s2, v6
	v_add_co_ci_u32_e64 v49, null, s3, v7, vcc_lo
	v_mul_f64 v[26:27], s[16:17], v[36:37]
	v_add_co_u32 v6, vcc_lo, v48, v4
	v_add_co_ci_u32_e64 v7, null, v49, v5, vcc_lo
	v_mul_f64 v[28:29], s[14:15], v[36:37]
	s_lshl_b64 s[2:3], s[50:51], 8
	global_store_dwordx4 v[6:7], v[0:3], off
	global_load_dwordx4 v[0:3], v[8:9], off offset:256
	v_fma_f64 v[26:27], s[14:15], v[34:35], -v[26:27]
	v_fma_f64 v[28:29], s[16:17], v[34:35], v[28:29]
	s_waitcnt vmcnt(0)
	v_mul_f64 v[36:37], s[40:41], v[2:3]
	v_mul_f64 v[2:3], s[38:39], v[2:3]
	v_fma_f64 v[34:35], s[38:39], v[0:1], -v[36:37]
	v_fma_f64 v[2:3], s[40:41], v[0:1], v[2:3]
	v_add_f64 v[0:1], v[26:27], v[34:35]
	v_add_f64 v[2:3], v[28:29], v[2:3]
	v_mul_f64 v[26:27], s[16:17], v[32:33]
	v_mul_f64 v[28:29], s[14:15], v[32:33]
	global_store_dwordx4 v[6:7], v[0:3], off offset:256
	global_load_dwordx4 v[0:3], v[8:9], off offset:512
	v_fma_f64 v[26:27], s[14:15], v[30:31], -v[26:27]
	v_fma_f64 v[28:29], s[16:17], v[30:31], v[28:29]
	s_waitcnt vmcnt(0)
	v_mul_f64 v[32:33], s[40:41], v[2:3]
	v_mul_f64 v[2:3], s[38:39], v[2:3]
	v_fma_f64 v[30:31], s[38:39], v[0:1], -v[32:33]
	v_fma_f64 v[2:3], s[40:41], v[0:1], v[2:3]
	v_add_f64 v[0:1], v[26:27], v[30:31]
	v_add_f64 v[2:3], v[28:29], v[2:3]
	v_add_co_u32 v28, vcc_lo, v78, s0
	v_add_co_ci_u32_e64 v29, null, s1, v79, vcc_lo
	global_store_dwordx4 v[6:7], v[0:3], off offset:512
	global_load_dwordx4 v[0:3], v[8:9], off offset:768
	v_mul_f64 v[8:9], s[16:17], v[24:25]
	v_mul_f64 v[24:25], s[14:15], v[24:25]
	v_fma_f64 v[8:9], s[14:15], v[22:23], -v[8:9]
	v_fma_f64 v[22:23], s[16:17], v[22:23], v[24:25]
	s_waitcnt vmcnt(0)
	v_mul_f64 v[26:27], s[40:41], v[2:3]
	v_mul_f64 v[2:3], s[38:39], v[2:3]
	v_fma_f64 v[24:25], s[38:39], v[0:1], -v[26:27]
	v_fma_f64 v[2:3], s[40:41], v[0:1], v[2:3]
	v_add_f64 v[0:1], v[8:9], v[24:25]
	v_add_f64 v[2:3], v[22:23], v[2:3]
	v_add_co_u32 v8, vcc_lo, v28, v4
	v_add_co_ci_u32_e64 v9, null, v29, v5, vcc_lo
	v_mul_f64 v[22:23], s[14:15], v[72:73]
	v_add_co_u32 v30, vcc_lo, v48, s2
	v_add_co_ci_u32_e64 v31, null, s3, v49, vcc_lo
	global_store_dwordx4 v[6:7], v[0:3], off offset:768
	global_load_dwordx4 v[0:3], v[8:9], off
	v_mul_f64 v[6:7], s[16:17], v[72:73]
	v_fma_f64 v[22:23], s[16:17], v[70:71], v[22:23]
	v_fma_f64 v[6:7], s[14:15], v[70:71], -v[6:7]
	s_waitcnt vmcnt(0)
	v_mul_f64 v[24:25], s[40:41], v[2:3]
	v_mul_f64 v[2:3], s[38:39], v[2:3]
	v_fma_f64 v[24:25], s[38:39], v[0:1], -v[24:25]
	v_fma_f64 v[2:3], s[40:41], v[0:1], v[2:3]
	v_add_f64 v[0:1], v[6:7], v[24:25]
	v_add_f64 v[2:3], v[22:23], v[2:3]
	v_add_co_u32 v6, vcc_lo, v30, v4
	v_add_co_ci_u32_e64 v7, null, v31, v5, vcc_lo
	v_mul_f64 v[22:23], s[16:17], v[64:65]
	v_mul_f64 v[24:25], s[14:15], v[64:65]
	v_add_co_u32 v28, vcc_lo, v28, s0
	v_add_co_ci_u32_e64 v29, null, s1, v29, vcc_lo
	global_store_dwordx4 v[6:7], v[0:3], off
	global_load_dwordx4 v[0:3], v[8:9], off offset:256
	v_fma_f64 v[22:23], s[14:15], v[62:63], -v[22:23]
	v_fma_f64 v[24:25], s[16:17], v[62:63], v[24:25]
	s_waitcnt vmcnt(0)
	v_mul_f64 v[26:27], s[40:41], v[2:3]
	v_mul_f64 v[2:3], s[38:39], v[2:3]
	v_fma_f64 v[26:27], s[38:39], v[0:1], -v[26:27]
	v_fma_f64 v[2:3], s[40:41], v[0:1], v[2:3]
	v_add_f64 v[0:1], v[22:23], v[26:27]
	v_add_f64 v[2:3], v[24:25], v[2:3]
	v_mul_f64 v[22:23], s[16:17], v[58:59]
	v_mul_f64 v[24:25], s[14:15], v[58:59]
	global_store_dwordx4 v[6:7], v[0:3], off offset:256
	global_load_dwordx4 v[0:3], v[8:9], off offset:512
	v_fma_f64 v[22:23], s[14:15], v[54:55], -v[22:23]
	v_fma_f64 v[24:25], s[16:17], v[54:55], v[24:25]
	s_waitcnt vmcnt(0)
	v_mul_f64 v[26:27], s[40:41], v[2:3]
	v_mul_f64 v[2:3], s[38:39], v[2:3]
	v_fma_f64 v[26:27], s[38:39], v[0:1], -v[26:27]
	v_fma_f64 v[2:3], s[40:41], v[0:1], v[2:3]
	v_add_f64 v[0:1], v[22:23], v[26:27]
	v_add_f64 v[2:3], v[24:25], v[2:3]
	v_mul_f64 v[22:23], s[14:15], v[46:47]
	global_store_dwordx4 v[6:7], v[0:3], off offset:512
	global_load_dwordx4 v[0:3], v[8:9], off offset:768
	v_mul_f64 v[8:9], s[16:17], v[46:47]
	v_fma_f64 v[22:23], s[16:17], v[42:43], v[22:23]
	v_fma_f64 v[8:9], s[14:15], v[42:43], -v[8:9]
	s_waitcnt vmcnt(0)
	v_mul_f64 v[24:25], s[40:41], v[2:3]
	v_mul_f64 v[2:3], s[38:39], v[2:3]
	v_fma_f64 v[24:25], s[38:39], v[0:1], -v[24:25]
	v_fma_f64 v[2:3], s[40:41], v[0:1], v[2:3]
	v_add_f64 v[0:1], v[8:9], v[24:25]
	v_add_f64 v[2:3], v[22:23], v[2:3]
	v_add_co_u32 v8, vcc_lo, v28, v4
	v_add_co_ci_u32_e64 v9, null, v29, v5, vcc_lo
	v_mul_f64 v[22:23], s[14:15], v[68:69]
	v_add_co_u32 v30, vcc_lo, v30, s2
	v_add_co_ci_u32_e64 v31, null, s3, v31, vcc_lo
	global_store_dwordx4 v[6:7], v[0:3], off offset:768
	global_load_dwordx4 v[0:3], v[8:9], off
	v_mul_f64 v[6:7], s[16:17], v[68:69]
	v_fma_f64 v[22:23], s[16:17], v[66:67], v[22:23]
	v_fma_f64 v[6:7], s[14:15], v[66:67], -v[6:7]
	s_waitcnt vmcnt(0)
	v_mul_f64 v[24:25], s[40:41], v[2:3]
	v_mul_f64 v[2:3], s[38:39], v[2:3]
	v_fma_f64 v[24:25], s[38:39], v[0:1], -v[24:25]
	v_fma_f64 v[2:3], s[40:41], v[0:1], v[2:3]
	v_add_f64 v[0:1], v[6:7], v[24:25]
	v_add_f64 v[2:3], v[22:23], v[2:3]
	v_add_co_u32 v6, vcc_lo, v30, v4
	v_add_co_ci_u32_e64 v7, null, v31, v5, vcc_lo
	v_mul_f64 v[22:23], s[16:17], v[60:61]
	v_mul_f64 v[24:25], s[14:15], v[60:61]
	global_store_dwordx4 v[6:7], v[0:3], off
	global_load_dwordx4 v[0:3], v[8:9], off offset:256
	v_fma_f64 v[22:23], s[14:15], v[56:57], -v[22:23]
	v_fma_f64 v[24:25], s[16:17], v[56:57], v[24:25]
	s_waitcnt vmcnt(0)
	v_mul_f64 v[26:27], s[40:41], v[2:3]
	v_mul_f64 v[2:3], s[38:39], v[2:3]
	v_fma_f64 v[26:27], s[38:39], v[0:1], -v[26:27]
	v_fma_f64 v[2:3], s[40:41], v[0:1], v[2:3]
	v_add_f64 v[0:1], v[22:23], v[26:27]
	v_add_f64 v[2:3], v[24:25], v[2:3]
	v_mul_f64 v[22:23], s[16:17], v[50:51]
	v_mul_f64 v[24:25], s[14:15], v[50:51]
	global_store_dwordx4 v[6:7], v[0:3], off offset:256
	global_load_dwordx4 v[0:3], v[8:9], off offset:512
	v_fma_f64 v[22:23], s[14:15], v[44:45], -v[22:23]
	v_fma_f64 v[24:25], s[16:17], v[44:45], v[24:25]
	s_waitcnt vmcnt(0)
	v_mul_f64 v[26:27], s[40:41], v[2:3]
	v_mul_f64 v[2:3], s[38:39], v[2:3]
	v_fma_f64 v[26:27], s[38:39], v[0:1], -v[26:27]
	v_fma_f64 v[2:3], s[40:41], v[0:1], v[2:3]
	v_add_f64 v[0:1], v[22:23], v[26:27]
	v_add_f64 v[2:3], v[24:25], v[2:3]
	v_mul_f64 v[22:23], s[14:15], v[40:41]
	global_store_dwordx4 v[6:7], v[0:3], off offset:512
	global_load_dwordx4 v[0:3], v[8:9], off offset:768
	v_mul_f64 v[8:9], s[16:17], v[40:41]
	v_fma_f64 v[22:23], s[16:17], v[38:39], v[22:23]
	v_fma_f64 v[8:9], s[14:15], v[38:39], -v[8:9]
	s_waitcnt vmcnt(0)
	v_mul_f64 v[24:25], s[40:41], v[2:3]
	v_mul_f64 v[2:3], s[38:39], v[2:3]
	v_fma_f64 v[24:25], s[38:39], v[0:1], -v[24:25]
	v_fma_f64 v[2:3], s[40:41], v[0:1], v[2:3]
	v_add_f64 v[0:1], v[8:9], v[24:25]
	v_add_f64 v[2:3], v[22:23], v[2:3]
	v_add_co_u32 v8, vcc_lo, v28, s0
	v_add_co_ci_u32_e64 v9, null, s1, v29, vcc_lo
	v_add_co_u32 v8, vcc_lo, v8, v4
	v_add_co_ci_u32_e64 v9, null, v9, v5, vcc_lo
	global_store_dwordx4 v[6:7], v[0:3], off offset:768
	global_load_dwordx4 v[0:3], v[8:9], off
	v_mul_f64 v[6:7], s[16:17], v[20:21]
	v_mul_f64 v[20:21], s[14:15], v[20:21]
	v_fma_f64 v[6:7], s[14:15], v[18:19], -v[6:7]
	v_fma_f64 v[18:19], s[16:17], v[18:19], v[20:21]
	s_waitcnt vmcnt(0)
	v_mul_f64 v[22:23], s[40:41], v[2:3]
	v_mul_f64 v[2:3], s[38:39], v[2:3]
	v_fma_f64 v[20:21], s[38:39], v[0:1], -v[22:23]
	v_fma_f64 v[2:3], s[40:41], v[0:1], v[2:3]
	v_add_f64 v[0:1], v[6:7], v[20:21]
	v_add_f64 v[2:3], v[18:19], v[2:3]
	v_add_co_u32 v6, vcc_lo, v30, s2
	v_add_co_ci_u32_e64 v7, null, s3, v31, vcc_lo
	v_add_co_u32 v6, vcc_lo, v6, v4
	v_add_co_ci_u32_e64 v7, null, v7, v5, vcc_lo
	v_mul_f64 v[4:5], s[16:17], v[16:17]
	v_mul_f64 v[16:17], s[14:15], v[16:17]
	global_store_dwordx4 v[6:7], v[0:3], off
	global_load_dwordx4 v[0:3], v[8:9], off offset:256
	v_fma_f64 v[4:5], s[14:15], v[14:15], -v[4:5]
	v_fma_f64 v[14:15], s[16:17], v[14:15], v[16:17]
	s_waitcnt vmcnt(0)
	v_mul_f64 v[18:19], s[40:41], v[2:3]
	v_mul_f64 v[2:3], s[38:39], v[2:3]
	v_fma_f64 v[16:17], s[38:39], v[0:1], -v[18:19]
	v_fma_f64 v[2:3], s[40:41], v[0:1], v[2:3]
	v_add_f64 v[0:1], v[4:5], v[16:17]
	v_add_f64 v[2:3], v[14:15], v[2:3]
	v_mul_f64 v[4:5], s[16:17], v[12:13]
	v_mul_f64 v[12:13], s[14:15], v[12:13]
	global_store_dwordx4 v[6:7], v[0:3], off offset:256
	global_load_dwordx4 v[0:3], v[8:9], off offset:512
	v_fma_f64 v[4:5], s[14:15], v[10:11], -v[4:5]
	v_fma_f64 v[10:11], s[16:17], v[10:11], v[12:13]
	s_waitcnt vmcnt(0)
	v_mul_f64 v[14:15], s[40:41], v[2:3]
	v_mul_f64 v[2:3], s[38:39], v[2:3]
	v_fma_f64 v[12:13], s[38:39], v[0:1], -v[14:15]
	v_fma_f64 v[2:3], s[40:41], v[0:1], v[2:3]
	v_add_f64 v[0:1], v[4:5], v[12:13]
	v_add_f64 v[2:3], v[10:11], v[2:3]
	v_mul_f64 v[4:5], s[16:17], v[76:77]
	global_store_dwordx4 v[6:7], v[0:3], off offset:512
	global_load_dwordx4 v[0:3], v[8:9], off offset:768
	v_mul_f64 v[8:9], s[14:15], v[76:77]
	v_fma_f64 v[4:5], s[14:15], v[74:75], -v[4:5]
	v_fma_f64 v[8:9], s[16:17], v[74:75], v[8:9]
	s_waitcnt vmcnt(0)
	v_mul_f64 v[10:11], s[40:41], v[2:3]
	v_mul_f64 v[2:3], s[38:39], v[2:3]
	v_fma_f64 v[10:11], s[38:39], v[0:1], -v[10:11]
	v_fma_f64 v[0:1], s[40:41], v[0:1], v[2:3]
	v_add_f64 v[10:11], v[4:5], v[10:11]
	v_add_f64 v[2:3], v[8:9], v[0:1]
	v_add_co_u32 v4, vcc_lo, 0x300, v6
	v_add_co_ci_u32_e64 v5, null, 0, v7, vcc_lo
	global_store_dwordx2 v[6:7], v[10:11], off offset:768
.LBB122_8:
	global_store_dwordx2 v[4:5], v[2:3], off offset:8
	s_endpgm
	.section	.rodata,"a",@progbits
	.p2align	6, 0x0
	.amdhsa_kernel _ZN12_GLOBAL__N_127rocblas_gemm_batched_kernelI19rocblas_complex_numIdELi16ELi16ELi64ELi64ELi4ELi64ELi4ELi4ELi64ELc67ELc67EKS2_S3_S2_EEvlllT_PT11_llS6_llS4_PT12_llPT13_lli
		.amdhsa_group_segment_fixed_size 8192
		.amdhsa_private_segment_fixed_size 0
		.amdhsa_kernarg_size 156
		.amdhsa_user_sgpr_count 6
		.amdhsa_user_sgpr_private_segment_buffer 1
		.amdhsa_user_sgpr_dispatch_ptr 0
		.amdhsa_user_sgpr_queue_ptr 0
		.amdhsa_user_sgpr_kernarg_segment_ptr 1
		.amdhsa_user_sgpr_dispatch_id 0
		.amdhsa_user_sgpr_flat_scratch_init 0
		.amdhsa_user_sgpr_private_segment_size 0
		.amdhsa_wavefront_size32 1
		.amdhsa_uses_dynamic_stack 0
		.amdhsa_system_sgpr_private_segment_wavefront_offset 0
		.amdhsa_system_sgpr_workgroup_id_x 1
		.amdhsa_system_sgpr_workgroup_id_y 1
		.amdhsa_system_sgpr_workgroup_id_z 1
		.amdhsa_system_sgpr_workgroup_info 0
		.amdhsa_system_vgpr_workitem_id 1
		.amdhsa_next_free_vgpr 138
		.amdhsa_next_free_sgpr 52
		.amdhsa_reserve_vcc 1
		.amdhsa_reserve_flat_scratch 0
		.amdhsa_float_round_mode_32 0
		.amdhsa_float_round_mode_16_64 0
		.amdhsa_float_denorm_mode_32 3
		.amdhsa_float_denorm_mode_16_64 3
		.amdhsa_dx10_clamp 1
		.amdhsa_ieee_mode 1
		.amdhsa_fp16_overflow 0
		.amdhsa_workgroup_processor_mode 1
		.amdhsa_memory_ordered 1
		.amdhsa_forward_progress 1
		.amdhsa_shared_vgpr_count 0
		.amdhsa_exception_fp_ieee_invalid_op 0
		.amdhsa_exception_fp_denorm_src 0
		.amdhsa_exception_fp_ieee_div_zero 0
		.amdhsa_exception_fp_ieee_overflow 0
		.amdhsa_exception_fp_ieee_underflow 0
		.amdhsa_exception_fp_ieee_inexact 0
		.amdhsa_exception_int_div_zero 0
	.end_amdhsa_kernel
	.section	.text._ZN12_GLOBAL__N_127rocblas_gemm_batched_kernelI19rocblas_complex_numIdELi16ELi16ELi64ELi64ELi4ELi64ELi4ELi4ELi64ELc67ELc67EKS2_S3_S2_EEvlllT_PT11_llS6_llS4_PT12_llPT13_lli,"axG",@progbits,_ZN12_GLOBAL__N_127rocblas_gemm_batched_kernelI19rocblas_complex_numIdELi16ELi16ELi64ELi64ELi4ELi64ELi4ELi4ELi64ELc67ELc67EKS2_S3_S2_EEvlllT_PT11_llS6_llS4_PT12_llPT13_lli,comdat
.Lfunc_end122:
	.size	_ZN12_GLOBAL__N_127rocblas_gemm_batched_kernelI19rocblas_complex_numIdELi16ELi16ELi64ELi64ELi4ELi64ELi4ELi4ELi64ELc67ELc67EKS2_S3_S2_EEvlllT_PT11_llS6_llS4_PT12_llPT13_lli, .Lfunc_end122-_ZN12_GLOBAL__N_127rocblas_gemm_batched_kernelI19rocblas_complex_numIdELi16ELi16ELi64ELi64ELi4ELi64ELi4ELi4ELi64ELc67ELc67EKS2_S3_S2_EEvlllT_PT11_llS6_llS4_PT12_llPT13_lli
                                        ; -- End function
	.set _ZN12_GLOBAL__N_127rocblas_gemm_batched_kernelI19rocblas_complex_numIdELi16ELi16ELi64ELi64ELi4ELi64ELi4ELi4ELi64ELc67ELc67EKS2_S3_S2_EEvlllT_PT11_llS6_llS4_PT12_llPT13_lli.num_vgpr, 138
	.set _ZN12_GLOBAL__N_127rocblas_gemm_batched_kernelI19rocblas_complex_numIdELi16ELi16ELi64ELi64ELi4ELi64ELi4ELi4ELi64ELc67ELc67EKS2_S3_S2_EEvlllT_PT11_llS6_llS4_PT12_llPT13_lli.num_agpr, 0
	.set _ZN12_GLOBAL__N_127rocblas_gemm_batched_kernelI19rocblas_complex_numIdELi16ELi16ELi64ELi64ELi4ELi64ELi4ELi4ELi64ELc67ELc67EKS2_S3_S2_EEvlllT_PT11_llS6_llS4_PT12_llPT13_lli.numbered_sgpr, 52
	.set _ZN12_GLOBAL__N_127rocblas_gemm_batched_kernelI19rocblas_complex_numIdELi16ELi16ELi64ELi64ELi4ELi64ELi4ELi4ELi64ELc67ELc67EKS2_S3_S2_EEvlllT_PT11_llS6_llS4_PT12_llPT13_lli.num_named_barrier, 0
	.set _ZN12_GLOBAL__N_127rocblas_gemm_batched_kernelI19rocblas_complex_numIdELi16ELi16ELi64ELi64ELi4ELi64ELi4ELi4ELi64ELc67ELc67EKS2_S3_S2_EEvlllT_PT11_llS6_llS4_PT12_llPT13_lli.private_seg_size, 0
	.set _ZN12_GLOBAL__N_127rocblas_gemm_batched_kernelI19rocblas_complex_numIdELi16ELi16ELi64ELi64ELi4ELi64ELi4ELi4ELi64ELc67ELc67EKS2_S3_S2_EEvlllT_PT11_llS6_llS4_PT12_llPT13_lli.uses_vcc, 1
	.set _ZN12_GLOBAL__N_127rocblas_gemm_batched_kernelI19rocblas_complex_numIdELi16ELi16ELi64ELi64ELi4ELi64ELi4ELi4ELi64ELc67ELc67EKS2_S3_S2_EEvlllT_PT11_llS6_llS4_PT12_llPT13_lli.uses_flat_scratch, 0
	.set _ZN12_GLOBAL__N_127rocblas_gemm_batched_kernelI19rocblas_complex_numIdELi16ELi16ELi64ELi64ELi4ELi64ELi4ELi4ELi64ELc67ELc67EKS2_S3_S2_EEvlllT_PT11_llS6_llS4_PT12_llPT13_lli.has_dyn_sized_stack, 0
	.set _ZN12_GLOBAL__N_127rocblas_gemm_batched_kernelI19rocblas_complex_numIdELi16ELi16ELi64ELi64ELi4ELi64ELi4ELi4ELi64ELc67ELc67EKS2_S3_S2_EEvlllT_PT11_llS6_llS4_PT12_llPT13_lli.has_recursion, 0
	.set _ZN12_GLOBAL__N_127rocblas_gemm_batched_kernelI19rocblas_complex_numIdELi16ELi16ELi64ELi64ELi4ELi64ELi4ELi4ELi64ELc67ELc67EKS2_S3_S2_EEvlllT_PT11_llS6_llS4_PT12_llPT13_lli.has_indirect_call, 0
	.section	.AMDGPU.csdata,"",@progbits
; Kernel info:
; codeLenInByte = 7432
; TotalNumSgprs: 54
; NumVgprs: 138
; ScratchSize: 0
; MemoryBound: 0
; FloatMode: 240
; IeeeMode: 1
; LDSByteSize: 8192 bytes/workgroup (compile time only)
; SGPRBlocks: 0
; VGPRBlocks: 17
; NumSGPRsForWavesPerEU: 54
; NumVGPRsForWavesPerEU: 138
; Occupancy: 7
; WaveLimiterHint : 1
; COMPUTE_PGM_RSRC2:SCRATCH_EN: 0
; COMPUTE_PGM_RSRC2:USER_SGPR: 6
; COMPUTE_PGM_RSRC2:TRAP_HANDLER: 0
; COMPUTE_PGM_RSRC2:TGID_X_EN: 1
; COMPUTE_PGM_RSRC2:TGID_Y_EN: 1
; COMPUTE_PGM_RSRC2:TGID_Z_EN: 1
; COMPUTE_PGM_RSRC2:TIDIG_COMP_CNT: 1
	.section	.text._ZN12_GLOBAL__N_127rocblas_gemm_batched_kernelI19rocblas_complex_numIdELi16ELi16ELi64ELi64ELi4ELi64ELi4ELi4ELi64ELc67ELc78EKS2_S3_S2_EEvlllT_PT11_llS6_llS4_PT12_llPT13_lli,"axG",@progbits,_ZN12_GLOBAL__N_127rocblas_gemm_batched_kernelI19rocblas_complex_numIdELi16ELi16ELi64ELi64ELi4ELi64ELi4ELi4ELi64ELc67ELc78EKS2_S3_S2_EEvlllT_PT11_llS6_llS4_PT12_llPT13_lli,comdat
	.globl	_ZN12_GLOBAL__N_127rocblas_gemm_batched_kernelI19rocblas_complex_numIdELi16ELi16ELi64ELi64ELi4ELi64ELi4ELi4ELi64ELc67ELc78EKS2_S3_S2_EEvlllT_PT11_llS6_llS4_PT12_llPT13_lli ; -- Begin function _ZN12_GLOBAL__N_127rocblas_gemm_batched_kernelI19rocblas_complex_numIdELi16ELi16ELi64ELi64ELi4ELi64ELi4ELi4ELi64ELc67ELc78EKS2_S3_S2_EEvlllT_PT11_llS6_llS4_PT12_llPT13_lli
	.p2align	8
	.type	_ZN12_GLOBAL__N_127rocblas_gemm_batched_kernelI19rocblas_complex_numIdELi16ELi16ELi64ELi64ELi4ELi64ELi4ELi4ELi64ELc67ELc78EKS2_S3_S2_EEvlllT_PT11_llS6_llS4_PT12_llPT13_lli,@function
_ZN12_GLOBAL__N_127rocblas_gemm_batched_kernelI19rocblas_complex_numIdELi16ELi16ELi64ELi64ELi4ELi64ELi4ELi4ELi64ELc67ELc78EKS2_S3_S2_EEvlllT_PT11_llS6_llS4_PT12_llPT13_lli: ; @_ZN12_GLOBAL__N_127rocblas_gemm_batched_kernelI19rocblas_complex_numIdELi16ELi16ELi64ELi64ELi4ELi64ELi4ELi4ELi64ELc67ELc78EKS2_S3_S2_EEvlllT_PT11_llS6_llS4_PT12_llPT13_lli
; %bb.0:
	s_clause 0x1
	s_load_dwordx16 s[12:27], s[4:5], 0x10
	s_load_dwordx16 s[36:51], s[4:5], 0x50
	s_mov_b32 s2, s7
	s_ashr_i32 s7, s6, 31
	s_ashr_i32 s3, s2, 31
	s_lshl_b64 s[0:1], s[6:7], 6
	s_lshl_b64 s[2:3], s[2:3], 6
	s_waitcnt lgkmcnt(0)
	v_cmp_lt_i64_e64 s9, s[12:13], 1
	s_and_b32 vcc_lo, exec_lo, s9
	s_cbranch_vccnz .LBB123_3
; %bb.1:
	v_lshl_add_u32 v4, v1, 4, v0
	v_and_b32_e32 v6, 3, v0
	s_mul_i32 s7, s23, s8
	s_mul_hi_u32 s9, s22, s8
	v_mov_b32_e32 v76, 0
	v_and_b32_e32 v5, 63, v4
	v_lshrrev_b32_e32 v9, 2, v4
	v_lshlrev_b32_e32 v6, 4, v6
	s_add_i32 s7, s9, s7
	v_lshrrev_b32_e32 v10, 6, v4
	v_add_co_u32 v2, s6, s0, v5
	v_add_co_ci_u32_e64 v3, null, s1, 0, s6
	v_lshlrev_b32_e32 v4, 4, v5
	v_mul_lo_u32 v7, s21, v2
	v_lshl_or_b32 v5, v9, 6, v6
	v_mul_lo_u32 v8, s20, v3
	v_mad_u64_u32 v[2:3], null, s20, v2, 0
	v_lshl_or_b32 v91, v10, 10, v4
	v_add_nc_u32_e32 v92, 0x1000, v5
	s_mul_i32 s6, s22, s8
	v_mov_b32_e32 v74, 0
	s_lshl_b64 s[6:7], s[6:7], 4
	v_mov_b32_e32 v12, 0
	v_add3_u32 v3, v3, v8, v7
	v_add_co_u32 v7, s9, v9, s2
	v_add_co_ci_u32_e64 v8, null, 0, s3, s9
	v_lshlrev_b64 v[2:3], 4, v[2:3]
	v_mul_lo_u32 v9, s27, v7
	v_mad_u64_u32 v[4:5], null, s26, v7, 0
	v_mul_lo_u32 v8, s26, v8
	v_lshlrev_b32_e32 v7, 4, v10
	v_add_co_u32 v2, vcc_lo, v2, s6
	v_add_co_ci_u32_e64 v3, null, s7, v3, vcc_lo
	s_mul_i32 s6, s37, s8
	v_add_co_u32 v7, vcc_lo, v2, v7
	v_add3_u32 v5, v5, v8, v9
	v_add_co_ci_u32_e64 v8, null, 0, v3, vcc_lo
	s_mul_hi_u32 s7, s36, s8
	v_mov_b32_e32 v10, 0
	v_lshlrev_b64 v[2:3], 4, v[4:5]
	s_add_i32 s7, s7, s6
	s_mul_i32 s6, s36, s8
	v_add_co_u32 v4, vcc_lo, s18, v7
	s_lshl_b64 s[6:7], s[6:7], 4
	v_add_co_ci_u32_e64 v5, null, s19, v8, vcc_lo
	v_add_co_u32 v2, vcc_lo, v2, s6
	v_add_co_ci_u32_e64 v3, null, s7, v3, vcc_lo
	v_add_co_u32 v26, vcc_lo, v4, 8
	v_add_co_ci_u32_e64 v27, null, 0, v5, vcc_lo
	v_add_co_u32 v2, vcc_lo, v2, v6
	v_add_co_ci_u32_e64 v3, null, 0, v3, vcc_lo
	v_mov_b32_e32 v16, 0
	v_add_co_u32 v28, vcc_lo, s24, v2
	v_mov_b32_e32 v14, 0
	v_mov_b32_e32 v20, 0
	;; [unrolled: 1-line block ×27, first 2 shown]
	v_lshlrev_b32_e32 v90, 4, v0
	v_lshl_add_u32 v93, v1, 6, 0x1000
	v_mov_b32_e32 v77, 0
	v_mov_b32_e32 v75, 0
	;; [unrolled: 1-line block ×32, first 2 shown]
	v_add_co_ci_u32_e64 v29, null, s25, v3, vcc_lo
	s_mov_b64 s[6:7], 0
.LBB123_2:                              ; =>This Inner Loop Header: Depth=1
	global_load_dwordx4 v[2:5], v[26:27], off offset:-8
	s_add_u32 s6, s6, 4
	s_addc_u32 s7, s7, 0
	v_add_co_u32 v26, vcc_lo, v26, 64
	v_cmp_lt_i64_e64 s9, s[6:7], s[12:13]
	v_add_co_ci_u32_e64 v27, null, 0, v27, vcc_lo
	s_waitcnt vmcnt(0)
	v_xor_b32_e32 v5, 0x80000000, v5
	ds_write_b128 v91, v[2:5]
	global_load_dwordx4 v[2:5], v[28:29], off
	v_add_co_u32 v28, vcc_lo, v28, 64
	v_add_co_ci_u32_e64 v29, null, 0, v29, vcc_lo
	s_and_b32 vcc_lo, exec_lo, s9
	s_waitcnt vmcnt(0)
	ds_write2_b64 v92, v[2:3], v[4:5] offset1:1
	s_waitcnt lgkmcnt(0)
	s_barrier
	buffer_gl0_inv
	ds_read_b128 v[78:81], v93
	ds_read_b128 v[82:85], v93 offset:16
	ds_read_b128 v[6:9], v93 offset:32
	ds_read_b128 v[2:5], v93 offset:48
	ds_read_b128 v[86:89], v90
	s_waitcnt lgkmcnt(0)
	v_mul_f64 v[94:95], v[80:81], v[88:89]
	v_mul_f64 v[96:97], v[78:79], v[88:89]
	v_fma_f64 v[94:95], v[78:79], v[86:87], -v[94:95]
	v_fma_f64 v[96:97], v[80:81], v[86:87], v[96:97]
	v_add_f64 v[98:99], v[48:49], v[94:95]
	v_add_f64 v[100:101], v[96:97], v[52:53]
	ds_read_b128 v[94:97], v90 offset:256
	s_waitcnt lgkmcnt(0)
	v_mul_f64 v[48:49], v[80:81], v[96:97]
	v_mul_f64 v[52:53], v[78:79], v[96:97]
	v_fma_f64 v[48:49], v[78:79], v[94:95], -v[48:49]
	v_fma_f64 v[52:53], v[80:81], v[94:95], v[52:53]
	v_add_f64 v[102:103], v[34:35], v[48:49]
	v_add_f64 v[104:105], v[52:53], v[36:37]
	ds_read_b128 v[34:37], v90 offset:512
	;; [unrolled: 8-line block ×4, first 2 shown]
	s_waitcnt lgkmcnt(0)
	v_mul_f64 v[48:49], v[24:25], v[88:89]
	v_mul_f64 v[52:53], v[22:23], v[88:89]
	v_fma_f64 v[48:49], v[22:23], v[86:87], -v[48:49]
	v_fma_f64 v[52:53], v[24:25], v[86:87], v[52:53]
	v_add_f64 v[70:71], v[70:71], v[48:49]
	v_mul_f64 v[48:49], v[24:25], v[96:97]
	v_add_f64 v[72:73], v[52:53], v[72:73]
	v_mul_f64 v[52:53], v[22:23], v[96:97]
	v_fma_f64 v[48:49], v[22:23], v[94:95], -v[48:49]
	v_fma_f64 v[52:53], v[24:25], v[94:95], v[52:53]
	v_add_f64 v[110:111], v[62:63], v[48:49]
	v_mul_f64 v[48:49], v[24:25], v[36:37]
	v_add_f64 v[112:113], v[52:53], v[64:65]
	;; [unrolled: 6-line block ×3, first 2 shown]
	v_fma_f64 v[48:49], v[22:23], v[30:31], -v[48:49]
	v_mul_f64 v[22:23], v[22:23], v[32:33]
	v_add_f64 v[118:119], v[42:43], v[48:49]
	v_fma_f64 v[22:23], v[24:25], v[30:31], v[22:23]
	v_add_f64 v[120:121], v[22:23], v[46:47]
	ds_read_b128 v[22:25], v93 offset:2048
	s_waitcnt lgkmcnt(0)
	v_mul_f64 v[42:43], v[24:25], v[88:89]
	v_mul_f64 v[46:47], v[22:23], v[88:89]
	v_fma_f64 v[42:43], v[22:23], v[86:87], -v[42:43]
	v_fma_f64 v[46:47], v[24:25], v[86:87], v[46:47]
	v_add_f64 v[122:123], v[66:67], v[42:43]
	v_mul_f64 v[42:43], v[24:25], v[96:97]
	v_add_f64 v[124:125], v[46:47], v[68:69]
	v_mul_f64 v[46:47], v[22:23], v[96:97]
	v_fma_f64 v[42:43], v[22:23], v[94:95], -v[42:43]
	v_fma_f64 v[46:47], v[24:25], v[94:95], v[46:47]
	v_add_f64 v[126:127], v[56:57], v[42:43]
	v_mul_f64 v[42:43], v[24:25], v[36:37]
	v_add_f64 v[128:129], v[46:47], v[60:61]
	;; [unrolled: 6-line block ×3, first 2 shown]
	v_fma_f64 v[42:43], v[22:23], v[30:31], -v[42:43]
	v_mul_f64 v[22:23], v[22:23], v[32:33]
	v_add_f64 v[134:135], v[38:39], v[42:43]
	v_fma_f64 v[22:23], v[24:25], v[30:31], v[22:23]
	v_add_f64 v[136:137], v[22:23], v[40:41]
	ds_read_b128 v[22:25], v93 offset:3072
	s_waitcnt lgkmcnt(0)
	v_mul_f64 v[38:39], v[24:25], v[88:89]
	v_mul_f64 v[40:41], v[22:23], v[88:89]
	v_fma_f64 v[38:39], v[22:23], v[86:87], -v[38:39]
	v_fma_f64 v[40:41], v[24:25], v[86:87], v[40:41]
	v_add_f64 v[58:59], v[18:19], v[38:39]
	v_add_f64 v[60:61], v[40:41], v[20:21]
	v_mul_f64 v[18:19], v[24:25], v[96:97]
	v_mul_f64 v[20:21], v[22:23], v[96:97]
	v_fma_f64 v[18:19], v[22:23], v[94:95], -v[18:19]
	v_fma_f64 v[20:21], v[24:25], v[94:95], v[20:21]
	v_add_f64 v[54:55], v[14:15], v[18:19]
	v_add_f64 v[56:57], v[20:21], v[16:17]
	v_mul_f64 v[14:15], v[24:25], v[36:37]
	v_mul_f64 v[16:17], v[22:23], v[36:37]
	ds_read_b128 v[18:21], v90 offset:1280
	v_fma_f64 v[14:15], v[22:23], v[34:35], -v[14:15]
	v_fma_f64 v[16:17], v[24:25], v[34:35], v[16:17]
	v_add_f64 v[50:51], v[10:11], v[14:15]
	v_add_f64 v[52:53], v[16:17], v[12:13]
	v_mul_f64 v[10:11], v[24:25], v[32:33]
	v_mul_f64 v[12:13], v[22:23], v[32:33]
	ds_read_b128 v[14:17], v90 offset:1536
	v_fma_f64 v[10:11], v[22:23], v[30:31], -v[10:11]
	v_fma_f64 v[12:13], v[24:25], v[30:31], v[12:13]
	ds_read_b128 v[22:25], v90 offset:1024
	v_add_f64 v[46:47], v[74:75], v[10:11]
	v_add_f64 v[48:49], v[12:13], v[76:77]
	s_waitcnt lgkmcnt(0)
	v_mul_f64 v[10:11], v[84:85], v[24:25]
	v_mul_f64 v[12:13], v[82:83], v[24:25]
	ds_read_b128 v[74:77], v93 offset:1040
	v_fma_f64 v[10:11], v[82:83], v[22:23], -v[10:11]
	v_fma_f64 v[12:13], v[84:85], v[22:23], v[12:13]
	s_waitcnt lgkmcnt(0)
	v_mul_f64 v[62:63], v[76:77], v[24:25]
	v_mul_f64 v[64:65], v[74:75], v[24:25]
	;; [unrolled: 1-line block ×4, first 2 shown]
	v_add_f64 v[42:43], v[98:99], v[10:11]
	v_add_f64 v[44:45], v[12:13], v[100:101]
	v_mul_f64 v[10:11], v[84:85], v[20:21]
	v_mul_f64 v[12:13], v[82:83], v[20:21]
	v_fma_f64 v[62:63], v[74:75], v[22:23], -v[62:63]
	v_fma_f64 v[64:65], v[76:77], v[22:23], v[64:65]
	v_fma_f64 v[66:67], v[74:75], v[18:19], -v[66:67]
	v_fma_f64 v[68:69], v[76:77], v[18:19], v[68:69]
	;; [unrolled: 2-line block ×3, first 2 shown]
	v_add_f64 v[62:63], v[70:71], v[62:63]
	v_mul_f64 v[70:71], v[76:77], v[16:17]
	v_add_f64 v[64:65], v[64:65], v[72:73]
	v_mul_f64 v[72:73], v[74:75], v[16:17]
	v_add_f64 v[66:67], v[110:111], v[66:67]
	v_add_f64 v[68:69], v[68:69], v[112:113]
	v_add_f64 v[38:39], v[102:103], v[10:11]
	v_add_f64 v[40:41], v[12:13], v[104:105]
	v_mul_f64 v[10:11], v[84:85], v[16:17]
	v_mul_f64 v[12:13], v[82:83], v[16:17]
	v_fma_f64 v[70:71], v[74:75], v[14:15], -v[70:71]
	v_fma_f64 v[72:73], v[76:77], v[14:15], v[72:73]
	v_fma_f64 v[10:11], v[82:83], v[14:15], -v[10:11]
	v_fma_f64 v[12:13], v[84:85], v[14:15], v[12:13]
	v_add_f64 v[70:71], v[114:115], v[70:71]
	v_add_f64 v[72:73], v[72:73], v[116:117]
	;; [unrolled: 1-line block ×4, first 2 shown]
	ds_read_b128 v[10:13], v90 offset:1792
	s_waitcnt lgkmcnt(0)
	v_mul_f64 v[30:31], v[84:85], v[12:13]
	v_mul_f64 v[32:33], v[82:83], v[12:13]
	v_fma_f64 v[30:31], v[82:83], v[10:11], -v[30:31]
	v_fma_f64 v[32:33], v[84:85], v[10:11], v[32:33]
	v_add_f64 v[30:31], v[78:79], v[30:31]
	v_mul_f64 v[78:79], v[76:77], v[12:13]
	v_add_f64 v[32:33], v[32:33], v[80:81]
	v_fma_f64 v[78:79], v[74:75], v[10:11], -v[78:79]
	v_mul_f64 v[74:75], v[74:75], v[12:13]
	v_fma_f64 v[76:77], v[76:77], v[10:11], v[74:75]
	v_add_f64 v[74:75], v[118:119], v[78:79]
	ds_read_b128 v[78:81], v93 offset:2064
	s_waitcnt lgkmcnt(0)
	v_mul_f64 v[82:83], v[80:81], v[24:25]
	v_mul_f64 v[86:87], v[80:81], v[20:21]
	;; [unrolled: 1-line block ×7, first 2 shown]
	v_add_f64 v[76:77], v[76:77], v[120:121]
	v_fma_f64 v[82:83], v[78:79], v[22:23], -v[82:83]
	v_fma_f64 v[86:87], v[78:79], v[18:19], -v[86:87]
	v_fma_f64 v[94:95], v[78:79], v[14:15], -v[94:95]
	v_fma_f64 v[98:99], v[78:79], v[10:11], -v[98:99]
	v_mul_f64 v[78:79], v[78:79], v[12:13]
	v_fma_f64 v[84:85], v[80:81], v[22:23], v[84:85]
	v_fma_f64 v[88:89], v[80:81], v[18:19], v[88:89]
	;; [unrolled: 1-line block ×3, first 2 shown]
	v_add_f64 v[82:83], v[122:123], v[82:83]
	v_add_f64 v[86:87], v[126:127], v[86:87]
	;; [unrolled: 1-line block ×4, first 2 shown]
	v_fma_f64 v[78:79], v[80:81], v[10:11], v[78:79]
	v_add_f64 v[84:85], v[84:85], v[124:125]
	v_add_f64 v[88:89], v[88:89], v[128:129]
	;; [unrolled: 1-line block ×4, first 2 shown]
	ds_read_b128 v[78:81], v93 offset:3088
	s_waitcnt lgkmcnt(0)
	v_mul_f64 v[102:103], v[80:81], v[24:25]
	v_mul_f64 v[24:25], v[78:79], v[24:25]
	v_fma_f64 v[102:103], v[78:79], v[22:23], -v[102:103]
	v_fma_f64 v[22:23], v[80:81], v[22:23], v[24:25]
	v_add_f64 v[58:59], v[58:59], v[102:103]
	v_add_f64 v[60:61], v[22:23], v[60:61]
	v_mul_f64 v[22:23], v[80:81], v[20:21]
	v_mul_f64 v[20:21], v[78:79], v[20:21]
	v_fma_f64 v[22:23], v[78:79], v[18:19], -v[22:23]
	v_fma_f64 v[18:19], v[80:81], v[18:19], v[20:21]
	v_add_f64 v[54:55], v[54:55], v[22:23]
	v_add_f64 v[56:57], v[18:19], v[56:57]
	;; [unrolled: 6-line block ×4, first 2 shown]
	ds_read_b128 v[10:13], v90 offset:2048
	s_waitcnt lgkmcnt(0)
	v_mul_f64 v[14:15], v[8:9], v[12:13]
	v_mul_f64 v[16:17], v[6:7], v[12:13]
	v_fma_f64 v[14:15], v[6:7], v[10:11], -v[14:15]
	v_fma_f64 v[16:17], v[8:9], v[10:11], v[16:17]
	v_add_f64 v[42:43], v[42:43], v[14:15]
	v_add_f64 v[44:45], v[16:17], v[44:45]
	ds_read_b128 v[14:17], v90 offset:2304
	s_waitcnt lgkmcnt(0)
	v_mul_f64 v[18:19], v[8:9], v[16:17]
	v_mul_f64 v[20:21], v[6:7], v[16:17]
	v_fma_f64 v[18:19], v[6:7], v[14:15], -v[18:19]
	v_fma_f64 v[20:21], v[8:9], v[14:15], v[20:21]
	v_add_f64 v[38:39], v[38:39], v[18:19]
	v_add_f64 v[40:41], v[20:21], v[40:41]
	;; [unrolled: 8-line block ×3, first 2 shown]
	ds_read_b128 v[22:25], v90 offset:2816
	s_waitcnt lgkmcnt(0)
	v_mul_f64 v[34:35], v[8:9], v[24:25]
	v_fma_f64 v[34:35], v[6:7], v[22:23], -v[34:35]
	v_mul_f64 v[6:7], v[6:7], v[24:25]
	v_add_f64 v[106:107], v[30:31], v[34:35]
	v_fma_f64 v[6:7], v[8:9], v[22:23], v[6:7]
	v_add_f64 v[108:109], v[6:7], v[32:33]
	ds_read_b128 v[6:9], v93 offset:1056
	s_waitcnt lgkmcnt(0)
	v_mul_f64 v[30:31], v[8:9], v[12:13]
	v_mul_f64 v[32:33], v[6:7], v[12:13]
	v_fma_f64 v[30:31], v[6:7], v[10:11], -v[30:31]
	v_fma_f64 v[32:33], v[8:9], v[10:11], v[32:33]
	v_add_f64 v[62:63], v[62:63], v[30:31]
	v_mul_f64 v[30:31], v[8:9], v[16:17]
	v_add_f64 v[64:65], v[32:33], v[64:65]
	v_mul_f64 v[32:33], v[6:7], v[16:17]
	v_fma_f64 v[30:31], v[6:7], v[14:15], -v[30:31]
	v_fma_f64 v[32:33], v[8:9], v[14:15], v[32:33]
	v_add_f64 v[66:67], v[66:67], v[30:31]
	v_mul_f64 v[30:31], v[8:9], v[20:21]
	v_add_f64 v[68:69], v[32:33], v[68:69]
	;; [unrolled: 6-line block ×3, first 2 shown]
	v_fma_f64 v[30:31], v[6:7], v[22:23], -v[30:31]
	v_mul_f64 v[6:7], v[6:7], v[24:25]
	v_add_f64 v[114:115], v[74:75], v[30:31]
	v_fma_f64 v[6:7], v[8:9], v[22:23], v[6:7]
	v_add_f64 v[116:117], v[6:7], v[76:77]
	ds_read_b128 v[6:9], v93 offset:2080
	s_waitcnt lgkmcnt(0)
	v_mul_f64 v[30:31], v[8:9], v[12:13]
	v_mul_f64 v[32:33], v[6:7], v[12:13]
	v_fma_f64 v[30:31], v[6:7], v[10:11], -v[30:31]
	v_fma_f64 v[32:33], v[8:9], v[10:11], v[32:33]
	v_add_f64 v[118:119], v[82:83], v[30:31]
	v_mul_f64 v[30:31], v[8:9], v[16:17]
	v_add_f64 v[120:121], v[32:33], v[84:85]
	v_mul_f64 v[32:33], v[6:7], v[16:17]
	v_fma_f64 v[30:31], v[6:7], v[14:15], -v[30:31]
	v_fma_f64 v[32:33], v[8:9], v[14:15], v[32:33]
	v_add_f64 v[122:123], v[86:87], v[30:31]
	v_mul_f64 v[30:31], v[8:9], v[20:21]
	v_add_f64 v[124:125], v[32:33], v[88:89]
	;; [unrolled: 6-line block ×3, first 2 shown]
	v_fma_f64 v[30:31], v[6:7], v[22:23], -v[30:31]
	v_mul_f64 v[6:7], v[6:7], v[24:25]
	v_add_f64 v[98:99], v[98:99], v[30:31]
	v_fma_f64 v[6:7], v[8:9], v[22:23], v[6:7]
	v_add_f64 v[100:101], v[6:7], v[100:101]
	ds_read_b128 v[6:9], v93 offset:3104
	s_waitcnt lgkmcnt(0)
	v_mul_f64 v[30:31], v[8:9], v[12:13]
	v_mul_f64 v[12:13], v[6:7], v[12:13]
	v_fma_f64 v[30:31], v[6:7], v[10:11], -v[30:31]
	v_fma_f64 v[10:11], v[8:9], v[10:11], v[12:13]
	v_mul_f64 v[12:13], v[6:7], v[16:17]
	v_add_f64 v[86:87], v[58:59], v[30:31]
	v_add_f64 v[88:89], v[10:11], v[60:61]
	v_mul_f64 v[10:11], v[8:9], v[16:17]
	v_fma_f64 v[12:13], v[8:9], v[14:15], v[12:13]
	v_fma_f64 v[10:11], v[6:7], v[14:15], -v[10:11]
	v_add_f64 v[84:85], v[12:13], v[56:57]
	v_mul_f64 v[12:13], v[6:7], v[20:21]
	ds_read_b128 v[14:17], v90 offset:3328
	v_add_f64 v[82:83], v[54:55], v[10:11]
	v_mul_f64 v[10:11], v[8:9], v[20:21]
	v_fma_f64 v[12:13], v[8:9], v[18:19], v[12:13]
	v_fma_f64 v[10:11], v[6:7], v[18:19], -v[10:11]
	ds_read_b128 v[18:21], v90 offset:3072
	v_add_f64 v[80:81], v[12:13], v[52:53]
	v_add_f64 v[78:79], v[50:51], v[10:11]
	v_mul_f64 v[10:11], v[8:9], v[24:25]
	v_fma_f64 v[10:11], v[6:7], v[22:23], -v[10:11]
	v_mul_f64 v[6:7], v[6:7], v[24:25]
	v_add_f64 v[74:75], v[46:47], v[10:11]
	v_fma_f64 v[6:7], v[8:9], v[22:23], v[6:7]
	s_waitcnt lgkmcnt(0)
	v_mul_f64 v[8:9], v[2:3], v[20:21]
	ds_read_b128 v[10:13], v90 offset:3584
	v_add_f64 v[76:77], v[6:7], v[48:49]
	v_mul_f64 v[6:7], v[4:5], v[20:21]
	v_fma_f64 v[8:9], v[4:5], v[18:19], v[8:9]
	v_fma_f64 v[6:7], v[2:3], v[18:19], -v[6:7]
	v_add_f64 v[52:53], v[8:9], v[44:45]
	v_mul_f64 v[8:9], v[2:3], v[16:17]
	v_add_f64 v[48:49], v[42:43], v[6:7]
	v_mul_f64 v[6:7], v[4:5], v[16:17]
	v_fma_f64 v[8:9], v[4:5], v[14:15], v[8:9]
	v_fma_f64 v[6:7], v[2:3], v[14:15], -v[6:7]
	v_add_f64 v[36:37], v[8:9], v[40:41]
	s_waitcnt lgkmcnt(0)
	v_mul_f64 v[8:9], v[2:3], v[12:13]
	v_add_f64 v[34:35], v[38:39], v[6:7]
	v_mul_f64 v[6:7], v[4:5], v[12:13]
	v_fma_f64 v[8:9], v[4:5], v[10:11], v[8:9]
	v_fma_f64 v[6:7], v[2:3], v[10:11], -v[6:7]
	v_add_f64 v[32:33], v[8:9], v[104:105]
	v_add_f64 v[30:31], v[102:103], v[6:7]
	ds_read_b128 v[6:9], v90 offset:3840
	s_waitcnt lgkmcnt(0)
	v_mul_f64 v[22:23], v[4:5], v[8:9]
	v_fma_f64 v[22:23], v[2:3], v[6:7], -v[22:23]
	v_mul_f64 v[2:3], v[2:3], v[8:9]
	v_add_f64 v[22:23], v[106:107], v[22:23]
	v_fma_f64 v[2:3], v[4:5], v[6:7], v[2:3]
	v_add_f64 v[24:25], v[2:3], v[108:109]
	ds_read_b128 v[2:5], v93 offset:1072
	s_waitcnt lgkmcnt(0)
	v_mul_f64 v[38:39], v[4:5], v[20:21]
	v_mul_f64 v[40:41], v[2:3], v[20:21]
	v_fma_f64 v[38:39], v[2:3], v[18:19], -v[38:39]
	v_fma_f64 v[40:41], v[4:5], v[18:19], v[40:41]
	v_add_f64 v[70:71], v[62:63], v[38:39]
	v_mul_f64 v[38:39], v[4:5], v[16:17]
	v_add_f64 v[72:73], v[40:41], v[64:65]
	v_mul_f64 v[40:41], v[2:3], v[16:17]
	v_fma_f64 v[38:39], v[2:3], v[14:15], -v[38:39]
	v_fma_f64 v[40:41], v[4:5], v[14:15], v[40:41]
	v_add_f64 v[62:63], v[66:67], v[38:39]
	v_mul_f64 v[38:39], v[4:5], v[12:13]
	v_add_f64 v[64:65], v[40:41], v[68:69]
	;; [unrolled: 6-line block ×3, first 2 shown]
	v_fma_f64 v[38:39], v[2:3], v[6:7], -v[38:39]
	v_mul_f64 v[2:3], v[2:3], v[8:9]
	v_add_f64 v[42:43], v[114:115], v[38:39]
	v_fma_f64 v[2:3], v[4:5], v[6:7], v[2:3]
	v_add_f64 v[46:47], v[2:3], v[116:117]
	ds_read_b128 v[2:5], v93 offset:2096
	s_waitcnt lgkmcnt(0)
	v_mul_f64 v[38:39], v[4:5], v[20:21]
	v_mul_f64 v[40:41], v[2:3], v[20:21]
	v_fma_f64 v[38:39], v[2:3], v[18:19], -v[38:39]
	v_fma_f64 v[40:41], v[4:5], v[18:19], v[40:41]
	v_add_f64 v[66:67], v[118:119], v[38:39]
	v_mul_f64 v[38:39], v[4:5], v[16:17]
	v_add_f64 v[68:69], v[40:41], v[120:121]
	v_mul_f64 v[40:41], v[2:3], v[16:17]
	v_fma_f64 v[38:39], v[2:3], v[14:15], -v[38:39]
	v_fma_f64 v[40:41], v[4:5], v[14:15], v[40:41]
	v_add_f64 v[56:57], v[122:123], v[38:39]
	v_mul_f64 v[38:39], v[4:5], v[12:13]
	v_add_f64 v[60:61], v[40:41], v[124:125]
	;; [unrolled: 6-line block ×3, first 2 shown]
	v_fma_f64 v[38:39], v[2:3], v[6:7], -v[38:39]
	v_mul_f64 v[2:3], v[2:3], v[8:9]
	v_add_f64 v[38:39], v[98:99], v[38:39]
	v_fma_f64 v[2:3], v[4:5], v[6:7], v[2:3]
	v_add_f64 v[40:41], v[2:3], v[100:101]
	ds_read_b128 v[2:5], v93 offset:3120
	s_waitcnt lgkmcnt(0)
	s_barrier
	buffer_gl0_inv
	v_mul_f64 v[94:95], v[4:5], v[20:21]
	v_mul_f64 v[20:21], v[2:3], v[20:21]
	v_fma_f64 v[94:95], v[2:3], v[18:19], -v[94:95]
	v_fma_f64 v[20:21], v[4:5], v[18:19], v[20:21]
	v_add_f64 v[18:19], v[86:87], v[94:95]
	v_mul_f64 v[86:87], v[4:5], v[16:17]
	v_mul_f64 v[16:17], v[2:3], v[16:17]
	v_add_f64 v[20:21], v[20:21], v[88:89]
	v_fma_f64 v[86:87], v[2:3], v[14:15], -v[86:87]
	v_fma_f64 v[16:17], v[4:5], v[14:15], v[16:17]
	v_add_f64 v[14:15], v[82:83], v[86:87]
	v_mul_f64 v[82:83], v[4:5], v[12:13]
	v_mul_f64 v[12:13], v[2:3], v[12:13]
	v_add_f64 v[16:17], v[16:17], v[84:85]
	v_fma_f64 v[82:83], v[2:3], v[10:11], -v[82:83]
	v_fma_f64 v[12:13], v[4:5], v[10:11], v[12:13]
	v_add_f64 v[10:11], v[78:79], v[82:83]
	v_mul_f64 v[78:79], v[4:5], v[8:9]
	v_add_f64 v[12:13], v[12:13], v[80:81]
	v_fma_f64 v[78:79], v[2:3], v[6:7], -v[78:79]
	v_mul_f64 v[2:3], v[2:3], v[8:9]
	v_add_f64 v[74:75], v[74:75], v[78:79]
	v_fma_f64 v[2:3], v[4:5], v[6:7], v[2:3]
	v_add_f64 v[76:77], v[2:3], v[76:77]
	s_cbranch_vccnz .LBB123_2
	s_branch .LBB123_4
.LBB123_3:
	v_mov_b32_e32 v48, 0
	v_mov_b32_e32 v52, 0
	;; [unrolled: 1-line block ×64, first 2 shown]
.LBB123_4:
	s_load_dwordx2 s[4:5], s[4:5], 0x90
	v_cmp_neq_f64_e64 s6, s[38:39], 0
	v_cmp_neq_f64_e64 s7, s[40:41], 0
	v_add_co_u32 v6, s2, s2, v1
	v_add_co_u32 v0, s0, s0, v0
	v_add_co_ci_u32_e64 v7, null, s3, 0, s2
	v_add_co_ci_u32_e64 v1, null, s1, 0, s0
	s_waitcnt lgkmcnt(0)
	s_mul_i32 s5, s5, s8
	s_mul_hi_u32 s9, s4, s8
	s_mul_i32 s4, s4, s8
	s_add_i32 s5, s9, s5
	s_lshl_b64 s[4:5], s[4:5], 4
	s_add_u32 s2, s48, s4
	s_addc_u32 s3, s49, s5
	s_or_b32 s4, s6, s7
	s_and_b32 vcc_lo, exec_lo, s4
	s_cbranch_vccnz .LBB123_6
; %bb.5:
	v_mul_f64 v[4:5], s[16:17], v[52:53]
	v_mul_f64 v[8:9], s[14:15], v[52:53]
	v_mul_lo_u32 v78, v7, s50
	v_mul_lo_u32 v79, v6, s51
	v_mad_u64_u32 v[2:3], null, v6, s50, 0
	v_mul_f64 v[26:27], s[16:17], v[36:37]
	v_mul_f64 v[28:29], s[14:15], v[36:37]
	;; [unrolled: 1-line block ×6, first 2 shown]
	v_add3_u32 v3, v3, v79, v78
	v_mul_f64 v[78:79], s[16:17], v[32:33]
	v_mul_f64 v[88:89], s[14:15], v[72:73]
	;; [unrolled: 1-line block ×4, first 2 shown]
	v_lshlrev_b64 v[2:3], 4, v[2:3]
	v_mul_f64 v[94:95], s[16:17], v[58:59]
	v_mul_f64 v[96:97], s[14:15], v[58:59]
	;; [unrolled: 1-line block ×4, first 2 shown]
	s_lshl_b64 s[0:1], s[50:51], 8
	v_add_co_u32 v104, vcc_lo, s2, v2
	v_add_co_ci_u32_e64 v105, null, s3, v3, vcc_lo
	v_fma_f64 v[2:3], s[14:15], v[48:49], -v[4:5]
	v_fma_f64 v[4:5], s[16:17], v[48:49], v[8:9]
	v_lshlrev_b64 v[8:9], 4, v[0:1]
	v_fma_f64 v[26:27], s[14:15], v[34:35], -v[26:27]
	v_fma_f64 v[28:29], s[16:17], v[34:35], v[28:29]
	v_fma_f64 v[80:81], s[16:17], v[30:31], v[80:81]
	v_fma_f64 v[82:83], s[14:15], v[22:23], -v[82:83]
	v_fma_f64 v[84:85], s[16:17], v[22:23], v[84:85]
	v_add_co_u32 v102, vcc_lo, v104, v8
	v_fma_f64 v[78:79], s[14:15], v[30:31], -v[78:79]
	v_add_co_ci_u32_e64 v103, null, v105, v9, vcc_lo
	v_fma_f64 v[86:87], s[14:15], v[70:71], -v[86:87]
	v_fma_f64 v[88:89], s[16:17], v[70:71], v[88:89]
	v_fma_f64 v[90:91], s[14:15], v[62:63], -v[90:91]
	v_fma_f64 v[92:93], s[16:17], v[62:63], v[92:93]
	;; [unrolled: 2-line block ×3, first 2 shown]
	v_add_co_u32 v106, vcc_lo, v104, s0
	v_add_co_ci_u32_e64 v107, null, s1, v105, vcc_lo
	global_store_dwordx4 v[102:103], v[2:5], off
	v_fma_f64 v[2:3], s[14:15], v[42:43], -v[98:99]
	v_fma_f64 v[4:5], s[16:17], v[42:43], v[100:101]
	v_add_co_u32 v104, vcc_lo, v106, v8
	v_add_co_ci_u32_e64 v105, null, v107, v9, vcc_lo
	global_store_dwordx4 v[102:103], v[26:29], off offset:256
	global_store_dwordx4 v[102:103], v[78:81], off offset:512
	global_store_dwordx4 v[102:103], v[82:85], off offset:768
	global_store_dwordx4 v[104:105], v[86:89], off
	global_store_dwordx4 v[104:105], v[90:93], off offset:256
	global_store_dwordx4 v[104:105], v[94:97], off offset:512
	v_mul_f64 v[26:27], s[16:17], v[68:69]
	v_mul_f64 v[28:29], s[14:15], v[68:69]
	;; [unrolled: 1-line block ×12, first 2 shown]
	global_store_dwordx4 v[104:105], v[2:5], off offset:768
	v_mul_f64 v[2:3], s[16:17], v[76:77]
	v_mul_f64 v[4:5], s[14:15], v[76:77]
	;; [unrolled: 1-line block ×4, first 2 shown]
	v_add_co_u32 v104, vcc_lo, v106, s0
	v_add_co_ci_u32_e64 v105, null, s1, v107, vcc_lo
	v_fma_f64 v[26:27], s[14:15], v[66:67], -v[26:27]
	v_fma_f64 v[28:29], s[16:17], v[66:67], v[28:29]
	v_fma_f64 v[78:79], s[14:15], v[56:57], -v[78:79]
	v_fma_f64 v[80:81], s[16:17], v[56:57], v[80:81]
	;; [unrolled: 2-line block ×6, first 2 shown]
	v_add_co_u32 v106, vcc_lo, v104, s0
	v_fma_f64 v[102:103], s[14:15], v[74:75], -v[2:3]
	v_fma_f64 v[2:3], s[16:17], v[74:75], v[4:5]
	v_fma_f64 v[98:99], s[14:15], v[10:11], -v[98:99]
	v_fma_f64 v[100:101], s[16:17], v[10:11], v[100:101]
	v_add_co_ci_u32_e64 v107, null, s1, v105, vcc_lo
	v_add_co_u32 v4, vcc_lo, v104, v8
	v_add_co_ci_u32_e64 v5, null, v105, v9, vcc_lo
	v_add_co_u32 v8, vcc_lo, v106, v8
	v_add_co_ci_u32_e64 v9, null, v107, v9, vcc_lo
	global_store_dwordx4 v[4:5], v[26:29], off
	global_store_dwordx4 v[4:5], v[78:81], off offset:256
	global_store_dwordx4 v[4:5], v[82:85], off offset:512
	;; [unrolled: 1-line block ×3, first 2 shown]
	global_store_dwordx4 v[8:9], v[90:93], off
	v_add_co_u32 v4, vcc_lo, 0x300, v8
	v_add_co_ci_u32_e64 v5, null, 0, v9, vcc_lo
	global_store_dwordx4 v[8:9], v[94:97], off offset:256
	global_store_dwordx4 v[8:9], v[98:101], off offset:512
	global_store_dwordx2 v[8:9], v[102:103], off offset:768
	s_cbranch_execz .LBB123_7
	s_branch .LBB123_8
.LBB123_6:
                                        ; implicit-def: $vgpr2_vgpr3
                                        ; implicit-def: $vgpr4_vgpr5
.LBB123_7:
	v_mul_lo_u32 v4, v7, s44
	v_mul_lo_u32 v5, v6, s45
	v_mad_u64_u32 v[2:3], null, v6, s44, 0
	s_mul_i32 s1, s47, s8
	s_mul_hi_u32 s4, s46, s8
	s_mul_i32 s0, s46, s8
	s_add_i32 s1, s4, s1
	v_mul_f64 v[26:27], s[16:17], v[52:53]
	s_lshl_b64 s[0:1], s[0:1], 4
	v_add3_u32 v3, v3, v5, v4
	s_add_u32 s0, s42, s0
	v_lshlrev_b64 v[4:5], 4, v[0:1]
	s_addc_u32 s1, s43, s1
	v_mul_f64 v[28:29], s[14:15], v[52:53]
	v_lshlrev_b64 v[2:3], 4, v[2:3]
	v_add_co_u32 v78, vcc_lo, s0, v2
	v_add_co_ci_u32_e64 v79, null, s1, v3, vcc_lo
	s_lshl_b64 s[0:1], s[44:45], 8
	v_add_co_u32 v8, vcc_lo, v78, v4
	v_add_co_ci_u32_e64 v9, null, v79, v5, vcc_lo
	v_fma_f64 v[26:27], s[14:15], v[48:49], -v[26:27]
	global_load_dwordx4 v[0:3], v[8:9], off
	v_fma_f64 v[28:29], s[16:17], v[48:49], v[28:29]
	s_waitcnt vmcnt(0)
	v_mul_f64 v[52:53], s[40:41], v[2:3]
	v_mul_f64 v[2:3], s[38:39], v[2:3]
	v_fma_f64 v[48:49], s[38:39], v[0:1], -v[52:53]
	v_fma_f64 v[2:3], s[40:41], v[0:1], v[2:3]
	v_mul_lo_u32 v0, v7, s50
	v_mul_lo_u32 v1, v6, s51
	v_mad_u64_u32 v[6:7], null, v6, s50, 0
	v_add3_u32 v7, v7, v1, v0
	v_lshlrev_b64 v[6:7], 4, v[6:7]
	v_add_f64 v[0:1], v[26:27], v[48:49]
	v_add_f64 v[2:3], v[28:29], v[2:3]
	v_add_co_u32 v48, vcc_lo, s2, v6
	v_add_co_ci_u32_e64 v49, null, s3, v7, vcc_lo
	v_mul_f64 v[26:27], s[16:17], v[36:37]
	v_add_co_u32 v6, vcc_lo, v48, v4
	v_add_co_ci_u32_e64 v7, null, v49, v5, vcc_lo
	v_mul_f64 v[28:29], s[14:15], v[36:37]
	s_lshl_b64 s[2:3], s[50:51], 8
	global_store_dwordx4 v[6:7], v[0:3], off
	global_load_dwordx4 v[0:3], v[8:9], off offset:256
	v_fma_f64 v[26:27], s[14:15], v[34:35], -v[26:27]
	v_fma_f64 v[28:29], s[16:17], v[34:35], v[28:29]
	s_waitcnt vmcnt(0)
	v_mul_f64 v[36:37], s[40:41], v[2:3]
	v_mul_f64 v[2:3], s[38:39], v[2:3]
	v_fma_f64 v[34:35], s[38:39], v[0:1], -v[36:37]
	v_fma_f64 v[2:3], s[40:41], v[0:1], v[2:3]
	v_add_f64 v[0:1], v[26:27], v[34:35]
	v_add_f64 v[2:3], v[28:29], v[2:3]
	v_mul_f64 v[26:27], s[16:17], v[32:33]
	v_mul_f64 v[28:29], s[14:15], v[32:33]
	global_store_dwordx4 v[6:7], v[0:3], off offset:256
	global_load_dwordx4 v[0:3], v[8:9], off offset:512
	v_fma_f64 v[26:27], s[14:15], v[30:31], -v[26:27]
	v_fma_f64 v[28:29], s[16:17], v[30:31], v[28:29]
	s_waitcnt vmcnt(0)
	v_mul_f64 v[32:33], s[40:41], v[2:3]
	v_mul_f64 v[2:3], s[38:39], v[2:3]
	v_fma_f64 v[30:31], s[38:39], v[0:1], -v[32:33]
	v_fma_f64 v[2:3], s[40:41], v[0:1], v[2:3]
	v_add_f64 v[0:1], v[26:27], v[30:31]
	v_add_f64 v[2:3], v[28:29], v[2:3]
	v_add_co_u32 v28, vcc_lo, v78, s0
	v_add_co_ci_u32_e64 v29, null, s1, v79, vcc_lo
	global_store_dwordx4 v[6:7], v[0:3], off offset:512
	global_load_dwordx4 v[0:3], v[8:9], off offset:768
	v_mul_f64 v[8:9], s[16:17], v[24:25]
	v_mul_f64 v[24:25], s[14:15], v[24:25]
	v_fma_f64 v[8:9], s[14:15], v[22:23], -v[8:9]
	v_fma_f64 v[22:23], s[16:17], v[22:23], v[24:25]
	s_waitcnt vmcnt(0)
	v_mul_f64 v[26:27], s[40:41], v[2:3]
	v_mul_f64 v[2:3], s[38:39], v[2:3]
	v_fma_f64 v[24:25], s[38:39], v[0:1], -v[26:27]
	v_fma_f64 v[2:3], s[40:41], v[0:1], v[2:3]
	v_add_f64 v[0:1], v[8:9], v[24:25]
	v_add_f64 v[2:3], v[22:23], v[2:3]
	v_add_co_u32 v8, vcc_lo, v28, v4
	v_add_co_ci_u32_e64 v9, null, v29, v5, vcc_lo
	v_mul_f64 v[22:23], s[14:15], v[72:73]
	v_add_co_u32 v30, vcc_lo, v48, s2
	v_add_co_ci_u32_e64 v31, null, s3, v49, vcc_lo
	global_store_dwordx4 v[6:7], v[0:3], off offset:768
	global_load_dwordx4 v[0:3], v[8:9], off
	v_mul_f64 v[6:7], s[16:17], v[72:73]
	v_fma_f64 v[22:23], s[16:17], v[70:71], v[22:23]
	v_fma_f64 v[6:7], s[14:15], v[70:71], -v[6:7]
	s_waitcnt vmcnt(0)
	v_mul_f64 v[24:25], s[40:41], v[2:3]
	v_mul_f64 v[2:3], s[38:39], v[2:3]
	v_fma_f64 v[24:25], s[38:39], v[0:1], -v[24:25]
	v_fma_f64 v[2:3], s[40:41], v[0:1], v[2:3]
	v_add_f64 v[0:1], v[6:7], v[24:25]
	v_add_f64 v[2:3], v[22:23], v[2:3]
	v_add_co_u32 v6, vcc_lo, v30, v4
	v_add_co_ci_u32_e64 v7, null, v31, v5, vcc_lo
	v_mul_f64 v[22:23], s[16:17], v[64:65]
	v_mul_f64 v[24:25], s[14:15], v[64:65]
	v_add_co_u32 v28, vcc_lo, v28, s0
	v_add_co_ci_u32_e64 v29, null, s1, v29, vcc_lo
	global_store_dwordx4 v[6:7], v[0:3], off
	global_load_dwordx4 v[0:3], v[8:9], off offset:256
	v_fma_f64 v[22:23], s[14:15], v[62:63], -v[22:23]
	v_fma_f64 v[24:25], s[16:17], v[62:63], v[24:25]
	s_waitcnt vmcnt(0)
	v_mul_f64 v[26:27], s[40:41], v[2:3]
	v_mul_f64 v[2:3], s[38:39], v[2:3]
	v_fma_f64 v[26:27], s[38:39], v[0:1], -v[26:27]
	v_fma_f64 v[2:3], s[40:41], v[0:1], v[2:3]
	v_add_f64 v[0:1], v[22:23], v[26:27]
	v_add_f64 v[2:3], v[24:25], v[2:3]
	v_mul_f64 v[22:23], s[16:17], v[58:59]
	v_mul_f64 v[24:25], s[14:15], v[58:59]
	global_store_dwordx4 v[6:7], v[0:3], off offset:256
	global_load_dwordx4 v[0:3], v[8:9], off offset:512
	v_fma_f64 v[22:23], s[14:15], v[54:55], -v[22:23]
	v_fma_f64 v[24:25], s[16:17], v[54:55], v[24:25]
	s_waitcnt vmcnt(0)
	v_mul_f64 v[26:27], s[40:41], v[2:3]
	v_mul_f64 v[2:3], s[38:39], v[2:3]
	v_fma_f64 v[26:27], s[38:39], v[0:1], -v[26:27]
	v_fma_f64 v[2:3], s[40:41], v[0:1], v[2:3]
	v_add_f64 v[0:1], v[22:23], v[26:27]
	v_add_f64 v[2:3], v[24:25], v[2:3]
	v_mul_f64 v[22:23], s[14:15], v[46:47]
	global_store_dwordx4 v[6:7], v[0:3], off offset:512
	global_load_dwordx4 v[0:3], v[8:9], off offset:768
	v_mul_f64 v[8:9], s[16:17], v[46:47]
	v_fma_f64 v[22:23], s[16:17], v[42:43], v[22:23]
	v_fma_f64 v[8:9], s[14:15], v[42:43], -v[8:9]
	s_waitcnt vmcnt(0)
	v_mul_f64 v[24:25], s[40:41], v[2:3]
	v_mul_f64 v[2:3], s[38:39], v[2:3]
	v_fma_f64 v[24:25], s[38:39], v[0:1], -v[24:25]
	v_fma_f64 v[2:3], s[40:41], v[0:1], v[2:3]
	v_add_f64 v[0:1], v[8:9], v[24:25]
	v_add_f64 v[2:3], v[22:23], v[2:3]
	v_add_co_u32 v8, vcc_lo, v28, v4
	v_add_co_ci_u32_e64 v9, null, v29, v5, vcc_lo
	v_mul_f64 v[22:23], s[14:15], v[68:69]
	v_add_co_u32 v30, vcc_lo, v30, s2
	v_add_co_ci_u32_e64 v31, null, s3, v31, vcc_lo
	global_store_dwordx4 v[6:7], v[0:3], off offset:768
	global_load_dwordx4 v[0:3], v[8:9], off
	v_mul_f64 v[6:7], s[16:17], v[68:69]
	v_fma_f64 v[22:23], s[16:17], v[66:67], v[22:23]
	v_fma_f64 v[6:7], s[14:15], v[66:67], -v[6:7]
	s_waitcnt vmcnt(0)
	v_mul_f64 v[24:25], s[40:41], v[2:3]
	v_mul_f64 v[2:3], s[38:39], v[2:3]
	v_fma_f64 v[24:25], s[38:39], v[0:1], -v[24:25]
	v_fma_f64 v[2:3], s[40:41], v[0:1], v[2:3]
	v_add_f64 v[0:1], v[6:7], v[24:25]
	v_add_f64 v[2:3], v[22:23], v[2:3]
	v_add_co_u32 v6, vcc_lo, v30, v4
	v_add_co_ci_u32_e64 v7, null, v31, v5, vcc_lo
	v_mul_f64 v[22:23], s[16:17], v[60:61]
	v_mul_f64 v[24:25], s[14:15], v[60:61]
	global_store_dwordx4 v[6:7], v[0:3], off
	global_load_dwordx4 v[0:3], v[8:9], off offset:256
	v_fma_f64 v[22:23], s[14:15], v[56:57], -v[22:23]
	v_fma_f64 v[24:25], s[16:17], v[56:57], v[24:25]
	s_waitcnt vmcnt(0)
	v_mul_f64 v[26:27], s[40:41], v[2:3]
	v_mul_f64 v[2:3], s[38:39], v[2:3]
	v_fma_f64 v[26:27], s[38:39], v[0:1], -v[26:27]
	v_fma_f64 v[2:3], s[40:41], v[0:1], v[2:3]
	v_add_f64 v[0:1], v[22:23], v[26:27]
	v_add_f64 v[2:3], v[24:25], v[2:3]
	v_mul_f64 v[22:23], s[16:17], v[50:51]
	v_mul_f64 v[24:25], s[14:15], v[50:51]
	global_store_dwordx4 v[6:7], v[0:3], off offset:256
	global_load_dwordx4 v[0:3], v[8:9], off offset:512
	v_fma_f64 v[22:23], s[14:15], v[44:45], -v[22:23]
	v_fma_f64 v[24:25], s[16:17], v[44:45], v[24:25]
	s_waitcnt vmcnt(0)
	v_mul_f64 v[26:27], s[40:41], v[2:3]
	v_mul_f64 v[2:3], s[38:39], v[2:3]
	v_fma_f64 v[26:27], s[38:39], v[0:1], -v[26:27]
	v_fma_f64 v[2:3], s[40:41], v[0:1], v[2:3]
	v_add_f64 v[0:1], v[22:23], v[26:27]
	v_add_f64 v[2:3], v[24:25], v[2:3]
	v_mul_f64 v[22:23], s[14:15], v[40:41]
	global_store_dwordx4 v[6:7], v[0:3], off offset:512
	global_load_dwordx4 v[0:3], v[8:9], off offset:768
	v_mul_f64 v[8:9], s[16:17], v[40:41]
	v_fma_f64 v[22:23], s[16:17], v[38:39], v[22:23]
	v_fma_f64 v[8:9], s[14:15], v[38:39], -v[8:9]
	s_waitcnt vmcnt(0)
	v_mul_f64 v[24:25], s[40:41], v[2:3]
	v_mul_f64 v[2:3], s[38:39], v[2:3]
	v_fma_f64 v[24:25], s[38:39], v[0:1], -v[24:25]
	v_fma_f64 v[2:3], s[40:41], v[0:1], v[2:3]
	v_add_f64 v[0:1], v[8:9], v[24:25]
	v_add_f64 v[2:3], v[22:23], v[2:3]
	v_add_co_u32 v8, vcc_lo, v28, s0
	v_add_co_ci_u32_e64 v9, null, s1, v29, vcc_lo
	v_add_co_u32 v8, vcc_lo, v8, v4
	v_add_co_ci_u32_e64 v9, null, v9, v5, vcc_lo
	global_store_dwordx4 v[6:7], v[0:3], off offset:768
	global_load_dwordx4 v[0:3], v[8:9], off
	v_mul_f64 v[6:7], s[16:17], v[20:21]
	v_mul_f64 v[20:21], s[14:15], v[20:21]
	v_fma_f64 v[6:7], s[14:15], v[18:19], -v[6:7]
	v_fma_f64 v[18:19], s[16:17], v[18:19], v[20:21]
	s_waitcnt vmcnt(0)
	v_mul_f64 v[22:23], s[40:41], v[2:3]
	v_mul_f64 v[2:3], s[38:39], v[2:3]
	v_fma_f64 v[20:21], s[38:39], v[0:1], -v[22:23]
	v_fma_f64 v[2:3], s[40:41], v[0:1], v[2:3]
	v_add_f64 v[0:1], v[6:7], v[20:21]
	v_add_f64 v[2:3], v[18:19], v[2:3]
	v_add_co_u32 v6, vcc_lo, v30, s2
	v_add_co_ci_u32_e64 v7, null, s3, v31, vcc_lo
	v_add_co_u32 v6, vcc_lo, v6, v4
	v_add_co_ci_u32_e64 v7, null, v7, v5, vcc_lo
	v_mul_f64 v[4:5], s[16:17], v[16:17]
	v_mul_f64 v[16:17], s[14:15], v[16:17]
	global_store_dwordx4 v[6:7], v[0:3], off
	global_load_dwordx4 v[0:3], v[8:9], off offset:256
	v_fma_f64 v[4:5], s[14:15], v[14:15], -v[4:5]
	v_fma_f64 v[14:15], s[16:17], v[14:15], v[16:17]
	s_waitcnt vmcnt(0)
	v_mul_f64 v[18:19], s[40:41], v[2:3]
	v_mul_f64 v[2:3], s[38:39], v[2:3]
	v_fma_f64 v[16:17], s[38:39], v[0:1], -v[18:19]
	v_fma_f64 v[2:3], s[40:41], v[0:1], v[2:3]
	v_add_f64 v[0:1], v[4:5], v[16:17]
	v_add_f64 v[2:3], v[14:15], v[2:3]
	v_mul_f64 v[4:5], s[16:17], v[12:13]
	v_mul_f64 v[12:13], s[14:15], v[12:13]
	global_store_dwordx4 v[6:7], v[0:3], off offset:256
	global_load_dwordx4 v[0:3], v[8:9], off offset:512
	v_fma_f64 v[4:5], s[14:15], v[10:11], -v[4:5]
	v_fma_f64 v[10:11], s[16:17], v[10:11], v[12:13]
	s_waitcnt vmcnt(0)
	v_mul_f64 v[14:15], s[40:41], v[2:3]
	v_mul_f64 v[2:3], s[38:39], v[2:3]
	v_fma_f64 v[12:13], s[38:39], v[0:1], -v[14:15]
	v_fma_f64 v[2:3], s[40:41], v[0:1], v[2:3]
	v_add_f64 v[0:1], v[4:5], v[12:13]
	v_add_f64 v[2:3], v[10:11], v[2:3]
	v_mul_f64 v[4:5], s[16:17], v[76:77]
	global_store_dwordx4 v[6:7], v[0:3], off offset:512
	global_load_dwordx4 v[0:3], v[8:9], off offset:768
	v_mul_f64 v[8:9], s[14:15], v[76:77]
	v_fma_f64 v[4:5], s[14:15], v[74:75], -v[4:5]
	v_fma_f64 v[8:9], s[16:17], v[74:75], v[8:9]
	s_waitcnt vmcnt(0)
	v_mul_f64 v[10:11], s[40:41], v[2:3]
	v_mul_f64 v[2:3], s[38:39], v[2:3]
	v_fma_f64 v[10:11], s[38:39], v[0:1], -v[10:11]
	v_fma_f64 v[0:1], s[40:41], v[0:1], v[2:3]
	v_add_f64 v[10:11], v[4:5], v[10:11]
	v_add_f64 v[2:3], v[8:9], v[0:1]
	v_add_co_u32 v4, vcc_lo, 0x300, v6
	v_add_co_ci_u32_e64 v5, null, 0, v7, vcc_lo
	global_store_dwordx2 v[6:7], v[10:11], off offset:768
.LBB123_8:
	global_store_dwordx2 v[4:5], v[2:3], off offset:8
	s_endpgm
	.section	.rodata,"a",@progbits
	.p2align	6, 0x0
	.amdhsa_kernel _ZN12_GLOBAL__N_127rocblas_gemm_batched_kernelI19rocblas_complex_numIdELi16ELi16ELi64ELi64ELi4ELi64ELi4ELi4ELi64ELc67ELc78EKS2_S3_S2_EEvlllT_PT11_llS6_llS4_PT12_llPT13_lli
		.amdhsa_group_segment_fixed_size 8192
		.amdhsa_private_segment_fixed_size 0
		.amdhsa_kernarg_size 156
		.amdhsa_user_sgpr_count 6
		.amdhsa_user_sgpr_private_segment_buffer 1
		.amdhsa_user_sgpr_dispatch_ptr 0
		.amdhsa_user_sgpr_queue_ptr 0
		.amdhsa_user_sgpr_kernarg_segment_ptr 1
		.amdhsa_user_sgpr_dispatch_id 0
		.amdhsa_user_sgpr_flat_scratch_init 0
		.amdhsa_user_sgpr_private_segment_size 0
		.amdhsa_wavefront_size32 1
		.amdhsa_uses_dynamic_stack 0
		.amdhsa_system_sgpr_private_segment_wavefront_offset 0
		.amdhsa_system_sgpr_workgroup_id_x 1
		.amdhsa_system_sgpr_workgroup_id_y 1
		.amdhsa_system_sgpr_workgroup_id_z 1
		.amdhsa_system_sgpr_workgroup_info 0
		.amdhsa_system_vgpr_workitem_id 1
		.amdhsa_next_free_vgpr 138
		.amdhsa_next_free_sgpr 52
		.amdhsa_reserve_vcc 1
		.amdhsa_reserve_flat_scratch 0
		.amdhsa_float_round_mode_32 0
		.amdhsa_float_round_mode_16_64 0
		.amdhsa_float_denorm_mode_32 3
		.amdhsa_float_denorm_mode_16_64 3
		.amdhsa_dx10_clamp 1
		.amdhsa_ieee_mode 1
		.amdhsa_fp16_overflow 0
		.amdhsa_workgroup_processor_mode 1
		.amdhsa_memory_ordered 1
		.amdhsa_forward_progress 1
		.amdhsa_shared_vgpr_count 0
		.amdhsa_exception_fp_ieee_invalid_op 0
		.amdhsa_exception_fp_denorm_src 0
		.amdhsa_exception_fp_ieee_div_zero 0
		.amdhsa_exception_fp_ieee_overflow 0
		.amdhsa_exception_fp_ieee_underflow 0
		.amdhsa_exception_fp_ieee_inexact 0
		.amdhsa_exception_int_div_zero 0
	.end_amdhsa_kernel
	.section	.text._ZN12_GLOBAL__N_127rocblas_gemm_batched_kernelI19rocblas_complex_numIdELi16ELi16ELi64ELi64ELi4ELi64ELi4ELi4ELi64ELc67ELc78EKS2_S3_S2_EEvlllT_PT11_llS6_llS4_PT12_llPT13_lli,"axG",@progbits,_ZN12_GLOBAL__N_127rocblas_gemm_batched_kernelI19rocblas_complex_numIdELi16ELi16ELi64ELi64ELi4ELi64ELi4ELi4ELi64ELc67ELc78EKS2_S3_S2_EEvlllT_PT11_llS6_llS4_PT12_llPT13_lli,comdat
.Lfunc_end123:
	.size	_ZN12_GLOBAL__N_127rocblas_gemm_batched_kernelI19rocblas_complex_numIdELi16ELi16ELi64ELi64ELi4ELi64ELi4ELi4ELi64ELc67ELc78EKS2_S3_S2_EEvlllT_PT11_llS6_llS4_PT12_llPT13_lli, .Lfunc_end123-_ZN12_GLOBAL__N_127rocblas_gemm_batched_kernelI19rocblas_complex_numIdELi16ELi16ELi64ELi64ELi4ELi64ELi4ELi4ELi64ELc67ELc78EKS2_S3_S2_EEvlllT_PT11_llS6_llS4_PT12_llPT13_lli
                                        ; -- End function
	.set _ZN12_GLOBAL__N_127rocblas_gemm_batched_kernelI19rocblas_complex_numIdELi16ELi16ELi64ELi64ELi4ELi64ELi4ELi4ELi64ELc67ELc78EKS2_S3_S2_EEvlllT_PT11_llS6_llS4_PT12_llPT13_lli.num_vgpr, 138
	.set _ZN12_GLOBAL__N_127rocblas_gemm_batched_kernelI19rocblas_complex_numIdELi16ELi16ELi64ELi64ELi4ELi64ELi4ELi4ELi64ELc67ELc78EKS2_S3_S2_EEvlllT_PT11_llS6_llS4_PT12_llPT13_lli.num_agpr, 0
	.set _ZN12_GLOBAL__N_127rocblas_gemm_batched_kernelI19rocblas_complex_numIdELi16ELi16ELi64ELi64ELi4ELi64ELi4ELi4ELi64ELc67ELc78EKS2_S3_S2_EEvlllT_PT11_llS6_llS4_PT12_llPT13_lli.numbered_sgpr, 52
	.set _ZN12_GLOBAL__N_127rocblas_gemm_batched_kernelI19rocblas_complex_numIdELi16ELi16ELi64ELi64ELi4ELi64ELi4ELi4ELi64ELc67ELc78EKS2_S3_S2_EEvlllT_PT11_llS6_llS4_PT12_llPT13_lli.num_named_barrier, 0
	.set _ZN12_GLOBAL__N_127rocblas_gemm_batched_kernelI19rocblas_complex_numIdELi16ELi16ELi64ELi64ELi4ELi64ELi4ELi4ELi64ELc67ELc78EKS2_S3_S2_EEvlllT_PT11_llS6_llS4_PT12_llPT13_lli.private_seg_size, 0
	.set _ZN12_GLOBAL__N_127rocblas_gemm_batched_kernelI19rocblas_complex_numIdELi16ELi16ELi64ELi64ELi4ELi64ELi4ELi4ELi64ELc67ELc78EKS2_S3_S2_EEvlllT_PT11_llS6_llS4_PT12_llPT13_lli.uses_vcc, 1
	.set _ZN12_GLOBAL__N_127rocblas_gemm_batched_kernelI19rocblas_complex_numIdELi16ELi16ELi64ELi64ELi4ELi64ELi4ELi4ELi64ELc67ELc78EKS2_S3_S2_EEvlllT_PT11_llS6_llS4_PT12_llPT13_lli.uses_flat_scratch, 0
	.set _ZN12_GLOBAL__N_127rocblas_gemm_batched_kernelI19rocblas_complex_numIdELi16ELi16ELi64ELi64ELi4ELi64ELi4ELi4ELi64ELc67ELc78EKS2_S3_S2_EEvlllT_PT11_llS6_llS4_PT12_llPT13_lli.has_dyn_sized_stack, 0
	.set _ZN12_GLOBAL__N_127rocblas_gemm_batched_kernelI19rocblas_complex_numIdELi16ELi16ELi64ELi64ELi4ELi64ELi4ELi4ELi64ELc67ELc78EKS2_S3_S2_EEvlllT_PT11_llS6_llS4_PT12_llPT13_lli.has_recursion, 0
	.set _ZN12_GLOBAL__N_127rocblas_gemm_batched_kernelI19rocblas_complex_numIdELi16ELi16ELi64ELi64ELi4ELi64ELi4ELi4ELi64ELc67ELc78EKS2_S3_S2_EEvlllT_PT11_llS6_llS4_PT12_llPT13_lli.has_indirect_call, 0
	.section	.AMDGPU.csdata,"",@progbits
; Kernel info:
; codeLenInByte = 7440
; TotalNumSgprs: 54
; NumVgprs: 138
; ScratchSize: 0
; MemoryBound: 0
; FloatMode: 240
; IeeeMode: 1
; LDSByteSize: 8192 bytes/workgroup (compile time only)
; SGPRBlocks: 0
; VGPRBlocks: 17
; NumSGPRsForWavesPerEU: 54
; NumVGPRsForWavesPerEU: 138
; Occupancy: 7
; WaveLimiterHint : 1
; COMPUTE_PGM_RSRC2:SCRATCH_EN: 0
; COMPUTE_PGM_RSRC2:USER_SGPR: 6
; COMPUTE_PGM_RSRC2:TRAP_HANDLER: 0
; COMPUTE_PGM_RSRC2:TGID_X_EN: 1
; COMPUTE_PGM_RSRC2:TGID_Y_EN: 1
; COMPUTE_PGM_RSRC2:TGID_Z_EN: 1
; COMPUTE_PGM_RSRC2:TIDIG_COMP_CNT: 1
	.section	.text._ZN12_GLOBAL__N_127rocblas_gemm_batched_kernelI19rocblas_complex_numIdELi16ELi16ELi64ELi64ELi4ELi64ELi4ELi4ELi64ELc67ELc84EKS2_S3_S2_EEvlllT_PT11_llS6_llS4_PT12_llPT13_lli,"axG",@progbits,_ZN12_GLOBAL__N_127rocblas_gemm_batched_kernelI19rocblas_complex_numIdELi16ELi16ELi64ELi64ELi4ELi64ELi4ELi4ELi64ELc67ELc84EKS2_S3_S2_EEvlllT_PT11_llS6_llS4_PT12_llPT13_lli,comdat
	.globl	_ZN12_GLOBAL__N_127rocblas_gemm_batched_kernelI19rocblas_complex_numIdELi16ELi16ELi64ELi64ELi4ELi64ELi4ELi4ELi64ELc67ELc84EKS2_S3_S2_EEvlllT_PT11_llS6_llS4_PT12_llPT13_lli ; -- Begin function _ZN12_GLOBAL__N_127rocblas_gemm_batched_kernelI19rocblas_complex_numIdELi16ELi16ELi64ELi64ELi4ELi64ELi4ELi4ELi64ELc67ELc84EKS2_S3_S2_EEvlllT_PT11_llS6_llS4_PT12_llPT13_lli
	.p2align	8
	.type	_ZN12_GLOBAL__N_127rocblas_gemm_batched_kernelI19rocblas_complex_numIdELi16ELi16ELi64ELi64ELi4ELi64ELi4ELi4ELi64ELc67ELc84EKS2_S3_S2_EEvlllT_PT11_llS6_llS4_PT12_llPT13_lli,@function
_ZN12_GLOBAL__N_127rocblas_gemm_batched_kernelI19rocblas_complex_numIdELi16ELi16ELi64ELi64ELi4ELi64ELi4ELi4ELi64ELc67ELc84EKS2_S3_S2_EEvlllT_PT11_llS6_llS4_PT12_llPT13_lli: ; @_ZN12_GLOBAL__N_127rocblas_gemm_batched_kernelI19rocblas_complex_numIdELi16ELi16ELi64ELi64ELi4ELi64ELi4ELi4ELi64ELc67ELc84EKS2_S3_S2_EEvlllT_PT11_llS6_llS4_PT12_llPT13_lli
; %bb.0:
	s_clause 0x1
	s_load_dwordx16 s[12:27], s[4:5], 0x10
	s_load_dwordx16 s[36:51], s[4:5], 0x50
	s_mov_b32 s2, s7
	s_ashr_i32 s7, s6, 31
	s_ashr_i32 s3, s2, 31
	s_lshl_b64 s[0:1], s[6:7], 6
	s_lshl_b64 s[2:3], s[2:3], 6
	s_waitcnt lgkmcnt(0)
	v_cmp_lt_i64_e64 s9, s[12:13], 1
	s_and_b32 vcc_lo, exec_lo, s9
	s_cbranch_vccnz .LBB124_3
; %bb.1:
	v_lshl_add_u32 v6, v1, 4, v0
	v_and_b32_e32 v7, 3, v0
	s_mul_i32 s7, s23, s8
	s_mul_hi_u32 s9, s22, s8
	v_mov_b32_e32 v76, 0
	v_lshrrev_b32_e32 v8, 2, v6
	v_and_b32_e32 v9, 63, v6
	v_lshrrev_b32_e32 v12, 6, v6
	v_lshlrev_b32_e32 v13, 4, v7
	s_add_i32 s7, s9, s7
	v_add_co_u32 v2, s6, v8, s2
	v_add_co_ci_u32_e64 v3, null, 0, s3, s6
	v_add_co_u32 v4, s6, s0, v9
	v_add_co_ci_u32_e64 v5, null, s1, 0, s6
	v_mad_u64_u32 v[2:3], null, s26, v7, v[2:3]
	v_mul_lo_u32 v10, s21, v4
	v_mul_lo_u32 v11, s20, v5
	v_mad_u64_u32 v[4:5], null, s20, v4, 0
	s_mul_i32 s6, s22, s8
	v_mov_b32_e32 v74, 0
	s_lshl_b64 s[6:7], s[6:7], 4
	v_mov_b32_e32 v16, 0
	v_mov_b32_e32 v14, 0
	;; [unrolled: 1-line block ×3, first 2 shown]
	v_add3_u32 v5, v5, v11, v10
	v_mad_u64_u32 v[6:7], null, s27, v7, v[3:4]
	v_lshl_or_b32 v7, v8, 6, v13
	v_lshlrev_b32_e32 v8, 4, v12
	v_lshlrev_b64 v[4:5], 4, v[4:5]
	v_lshlrev_b32_e32 v3, 4, v9
	v_mov_b32_e32 v10, 0
	v_mov_b32_e32 v18, 0
	;; [unrolled: 1-line block ×4, first 2 shown]
	v_add_co_u32 v4, vcc_lo, v4, s6
	v_add_co_ci_u32_e64 v5, null, s7, v5, vcc_lo
	v_lshl_or_b32 v91, v12, 10, v3
	v_add_co_u32 v4, vcc_lo, v4, v8
	v_mov_b32_e32 v3, v6
	v_add_co_ci_u32_e64 v5, null, 0, v5, vcc_lo
	s_mul_i32 s6, s37, s8
	s_mul_hi_u32 s7, s36, s8
	v_add_co_u32 v4, vcc_lo, s18, v4
	s_add_i32 s7, s7, s6
	s_mul_i32 s6, s36, s8
	v_lshlrev_b64 v[2:3], 4, v[2:3]
	v_add_co_ci_u32_e64 v5, null, s19, v5, vcc_lo
	s_lshl_b64 s[6:7], s[6:7], 4
	v_add_co_u32 v26, vcc_lo, v4, 8
	s_add_u32 s6, s24, s6
	v_add_co_ci_u32_e64 v27, null, 0, v5, vcc_lo
	s_addc_u32 s7, s25, s7
	v_add_co_u32 v28, vcc_lo, s6, v2
	v_mov_b32_e32 v12, 0
	v_mov_b32_e32 v50, 0
	;; [unrolled: 1-line block ×23, first 2 shown]
	v_lshlrev_b32_e32 v90, 4, v0
	v_add_nc_u32_e32 v92, 0x1000, v7
	v_lshl_add_u32 v93, v1, 6, 0x1000
	v_mov_b32_e32 v77, 0
	v_mov_b32_e32 v75, 0
	;; [unrolled: 1-line block ×32, first 2 shown]
	v_add_co_ci_u32_e64 v29, null, s7, v3, vcc_lo
	s_lshl_b64 s[6:7], s[26:27], 6
	s_mov_b64 s[10:11], 0
.LBB124_2:                              ; =>This Inner Loop Header: Depth=1
	global_load_dwordx4 v[2:5], v[26:27], off offset:-8
	s_add_u32 s10, s10, 4
	s_addc_u32 s11, s11, 0
	v_add_co_u32 v26, vcc_lo, v26, 64
	v_cmp_lt_i64_e64 s9, s[10:11], s[12:13]
	v_add_co_ci_u32_e64 v27, null, 0, v27, vcc_lo
	s_waitcnt vmcnt(0)
	v_xor_b32_e32 v5, 0x80000000, v5
	ds_write_b128 v91, v[2:5]
	global_load_dwordx4 v[2:5], v[28:29], off
	v_add_co_u32 v28, vcc_lo, v28, s6
	v_add_co_ci_u32_e64 v29, null, s7, v29, vcc_lo
	s_and_b32 vcc_lo, exec_lo, s9
	s_waitcnt vmcnt(0)
	ds_write2_b64 v92, v[2:3], v[4:5] offset1:1
	s_waitcnt lgkmcnt(0)
	s_barrier
	buffer_gl0_inv
	ds_read_b128 v[78:81], v93
	ds_read_b128 v[82:85], v93 offset:16
	ds_read_b128 v[6:9], v93 offset:32
	;; [unrolled: 1-line block ×3, first 2 shown]
	ds_read_b128 v[86:89], v90
	s_waitcnt lgkmcnt(0)
	v_mul_f64 v[94:95], v[80:81], v[88:89]
	v_mul_f64 v[96:97], v[78:79], v[88:89]
	v_fma_f64 v[94:95], v[78:79], v[86:87], -v[94:95]
	v_fma_f64 v[96:97], v[80:81], v[86:87], v[96:97]
	v_add_f64 v[98:99], v[48:49], v[94:95]
	v_add_f64 v[100:101], v[96:97], v[52:53]
	ds_read_b128 v[94:97], v90 offset:256
	s_waitcnt lgkmcnt(0)
	v_mul_f64 v[48:49], v[80:81], v[96:97]
	v_mul_f64 v[52:53], v[78:79], v[96:97]
	v_fma_f64 v[48:49], v[78:79], v[94:95], -v[48:49]
	v_fma_f64 v[52:53], v[80:81], v[94:95], v[52:53]
	v_add_f64 v[102:103], v[34:35], v[48:49]
	v_add_f64 v[104:105], v[52:53], v[36:37]
	ds_read_b128 v[34:37], v90 offset:512
	;; [unrolled: 8-line block ×4, first 2 shown]
	s_waitcnt lgkmcnt(0)
	v_mul_f64 v[48:49], v[24:25], v[88:89]
	v_mul_f64 v[52:53], v[22:23], v[88:89]
	v_fma_f64 v[48:49], v[22:23], v[86:87], -v[48:49]
	v_fma_f64 v[52:53], v[24:25], v[86:87], v[52:53]
	v_add_f64 v[70:71], v[70:71], v[48:49]
	v_mul_f64 v[48:49], v[24:25], v[96:97]
	v_add_f64 v[72:73], v[52:53], v[72:73]
	v_mul_f64 v[52:53], v[22:23], v[96:97]
	v_fma_f64 v[48:49], v[22:23], v[94:95], -v[48:49]
	v_fma_f64 v[52:53], v[24:25], v[94:95], v[52:53]
	v_add_f64 v[110:111], v[62:63], v[48:49]
	v_mul_f64 v[48:49], v[24:25], v[36:37]
	v_add_f64 v[112:113], v[52:53], v[64:65]
	;; [unrolled: 6-line block ×3, first 2 shown]
	v_fma_f64 v[48:49], v[22:23], v[30:31], -v[48:49]
	v_mul_f64 v[22:23], v[22:23], v[32:33]
	v_add_f64 v[118:119], v[42:43], v[48:49]
	v_fma_f64 v[22:23], v[24:25], v[30:31], v[22:23]
	v_add_f64 v[120:121], v[22:23], v[46:47]
	ds_read_b128 v[22:25], v93 offset:2048
	s_waitcnt lgkmcnt(0)
	v_mul_f64 v[42:43], v[24:25], v[88:89]
	v_mul_f64 v[46:47], v[22:23], v[88:89]
	v_fma_f64 v[42:43], v[22:23], v[86:87], -v[42:43]
	v_fma_f64 v[46:47], v[24:25], v[86:87], v[46:47]
	v_add_f64 v[122:123], v[66:67], v[42:43]
	v_mul_f64 v[42:43], v[24:25], v[96:97]
	v_add_f64 v[124:125], v[46:47], v[68:69]
	v_mul_f64 v[46:47], v[22:23], v[96:97]
	v_fma_f64 v[42:43], v[22:23], v[94:95], -v[42:43]
	v_fma_f64 v[46:47], v[24:25], v[94:95], v[46:47]
	v_add_f64 v[126:127], v[56:57], v[42:43]
	v_mul_f64 v[42:43], v[24:25], v[36:37]
	v_add_f64 v[128:129], v[46:47], v[60:61]
	;; [unrolled: 6-line block ×3, first 2 shown]
	v_fma_f64 v[42:43], v[22:23], v[30:31], -v[42:43]
	v_mul_f64 v[22:23], v[22:23], v[32:33]
	v_add_f64 v[134:135], v[38:39], v[42:43]
	v_fma_f64 v[22:23], v[24:25], v[30:31], v[22:23]
	v_add_f64 v[136:137], v[22:23], v[40:41]
	ds_read_b128 v[22:25], v93 offset:3072
	s_waitcnt lgkmcnt(0)
	v_mul_f64 v[38:39], v[24:25], v[88:89]
	v_mul_f64 v[40:41], v[22:23], v[88:89]
	v_fma_f64 v[38:39], v[22:23], v[86:87], -v[38:39]
	v_fma_f64 v[40:41], v[24:25], v[86:87], v[40:41]
	v_add_f64 v[58:59], v[18:19], v[38:39]
	v_add_f64 v[60:61], v[40:41], v[20:21]
	v_mul_f64 v[18:19], v[24:25], v[96:97]
	v_mul_f64 v[20:21], v[22:23], v[96:97]
	v_fma_f64 v[18:19], v[22:23], v[94:95], -v[18:19]
	v_fma_f64 v[20:21], v[24:25], v[94:95], v[20:21]
	v_add_f64 v[54:55], v[14:15], v[18:19]
	v_add_f64 v[56:57], v[20:21], v[16:17]
	v_mul_f64 v[14:15], v[24:25], v[36:37]
	v_mul_f64 v[16:17], v[22:23], v[36:37]
	ds_read_b128 v[18:21], v90 offset:1280
	v_fma_f64 v[14:15], v[22:23], v[34:35], -v[14:15]
	v_fma_f64 v[16:17], v[24:25], v[34:35], v[16:17]
	v_add_f64 v[50:51], v[10:11], v[14:15]
	v_add_f64 v[52:53], v[16:17], v[12:13]
	v_mul_f64 v[10:11], v[24:25], v[32:33]
	v_mul_f64 v[12:13], v[22:23], v[32:33]
	ds_read_b128 v[14:17], v90 offset:1536
	v_fma_f64 v[10:11], v[22:23], v[30:31], -v[10:11]
	v_fma_f64 v[12:13], v[24:25], v[30:31], v[12:13]
	ds_read_b128 v[22:25], v90 offset:1024
	v_add_f64 v[46:47], v[74:75], v[10:11]
	v_add_f64 v[48:49], v[12:13], v[76:77]
	s_waitcnt lgkmcnt(0)
	v_mul_f64 v[10:11], v[84:85], v[24:25]
	v_mul_f64 v[12:13], v[82:83], v[24:25]
	ds_read_b128 v[74:77], v93 offset:1040
	v_fma_f64 v[10:11], v[82:83], v[22:23], -v[10:11]
	v_fma_f64 v[12:13], v[84:85], v[22:23], v[12:13]
	s_waitcnt lgkmcnt(0)
	v_mul_f64 v[62:63], v[76:77], v[24:25]
	v_mul_f64 v[64:65], v[74:75], v[24:25]
	;; [unrolled: 1-line block ×4, first 2 shown]
	v_add_f64 v[42:43], v[98:99], v[10:11]
	v_add_f64 v[44:45], v[12:13], v[100:101]
	v_mul_f64 v[10:11], v[84:85], v[20:21]
	v_mul_f64 v[12:13], v[82:83], v[20:21]
	v_fma_f64 v[62:63], v[74:75], v[22:23], -v[62:63]
	v_fma_f64 v[64:65], v[76:77], v[22:23], v[64:65]
	v_fma_f64 v[66:67], v[74:75], v[18:19], -v[66:67]
	v_fma_f64 v[68:69], v[76:77], v[18:19], v[68:69]
	;; [unrolled: 2-line block ×3, first 2 shown]
	v_add_f64 v[62:63], v[70:71], v[62:63]
	v_mul_f64 v[70:71], v[76:77], v[16:17]
	v_add_f64 v[64:65], v[64:65], v[72:73]
	v_mul_f64 v[72:73], v[74:75], v[16:17]
	v_add_f64 v[66:67], v[110:111], v[66:67]
	v_add_f64 v[68:69], v[68:69], v[112:113]
	v_add_f64 v[38:39], v[102:103], v[10:11]
	v_add_f64 v[40:41], v[12:13], v[104:105]
	v_mul_f64 v[10:11], v[84:85], v[16:17]
	v_mul_f64 v[12:13], v[82:83], v[16:17]
	v_fma_f64 v[70:71], v[74:75], v[14:15], -v[70:71]
	v_fma_f64 v[72:73], v[76:77], v[14:15], v[72:73]
	v_fma_f64 v[10:11], v[82:83], v[14:15], -v[10:11]
	v_fma_f64 v[12:13], v[84:85], v[14:15], v[12:13]
	v_add_f64 v[70:71], v[114:115], v[70:71]
	v_add_f64 v[72:73], v[72:73], v[116:117]
	;; [unrolled: 1-line block ×4, first 2 shown]
	ds_read_b128 v[10:13], v90 offset:1792
	s_waitcnt lgkmcnt(0)
	v_mul_f64 v[30:31], v[84:85], v[12:13]
	v_mul_f64 v[32:33], v[82:83], v[12:13]
	v_fma_f64 v[30:31], v[82:83], v[10:11], -v[30:31]
	v_fma_f64 v[32:33], v[84:85], v[10:11], v[32:33]
	v_add_f64 v[30:31], v[78:79], v[30:31]
	v_mul_f64 v[78:79], v[76:77], v[12:13]
	v_add_f64 v[32:33], v[32:33], v[80:81]
	v_fma_f64 v[78:79], v[74:75], v[10:11], -v[78:79]
	v_mul_f64 v[74:75], v[74:75], v[12:13]
	v_fma_f64 v[76:77], v[76:77], v[10:11], v[74:75]
	v_add_f64 v[74:75], v[118:119], v[78:79]
	ds_read_b128 v[78:81], v93 offset:2064
	s_waitcnt lgkmcnt(0)
	v_mul_f64 v[82:83], v[80:81], v[24:25]
	v_mul_f64 v[86:87], v[80:81], v[20:21]
	;; [unrolled: 1-line block ×7, first 2 shown]
	v_add_f64 v[76:77], v[76:77], v[120:121]
	v_fma_f64 v[82:83], v[78:79], v[22:23], -v[82:83]
	v_fma_f64 v[86:87], v[78:79], v[18:19], -v[86:87]
	;; [unrolled: 1-line block ×4, first 2 shown]
	v_mul_f64 v[78:79], v[78:79], v[12:13]
	v_fma_f64 v[84:85], v[80:81], v[22:23], v[84:85]
	v_fma_f64 v[88:89], v[80:81], v[18:19], v[88:89]
	;; [unrolled: 1-line block ×3, first 2 shown]
	v_add_f64 v[82:83], v[122:123], v[82:83]
	v_add_f64 v[86:87], v[126:127], v[86:87]
	;; [unrolled: 1-line block ×4, first 2 shown]
	v_fma_f64 v[78:79], v[80:81], v[10:11], v[78:79]
	v_add_f64 v[84:85], v[84:85], v[124:125]
	v_add_f64 v[88:89], v[88:89], v[128:129]
	;; [unrolled: 1-line block ×4, first 2 shown]
	ds_read_b128 v[78:81], v93 offset:3088
	s_waitcnt lgkmcnt(0)
	v_mul_f64 v[102:103], v[80:81], v[24:25]
	v_mul_f64 v[24:25], v[78:79], v[24:25]
	v_fma_f64 v[102:103], v[78:79], v[22:23], -v[102:103]
	v_fma_f64 v[22:23], v[80:81], v[22:23], v[24:25]
	v_add_f64 v[58:59], v[58:59], v[102:103]
	v_add_f64 v[60:61], v[22:23], v[60:61]
	v_mul_f64 v[22:23], v[80:81], v[20:21]
	v_mul_f64 v[20:21], v[78:79], v[20:21]
	v_fma_f64 v[22:23], v[78:79], v[18:19], -v[22:23]
	v_fma_f64 v[18:19], v[80:81], v[18:19], v[20:21]
	v_add_f64 v[54:55], v[54:55], v[22:23]
	v_add_f64 v[56:57], v[18:19], v[56:57]
	;; [unrolled: 6-line block ×4, first 2 shown]
	ds_read_b128 v[10:13], v90 offset:2048
	s_waitcnt lgkmcnt(0)
	v_mul_f64 v[14:15], v[8:9], v[12:13]
	v_mul_f64 v[16:17], v[6:7], v[12:13]
	v_fma_f64 v[14:15], v[6:7], v[10:11], -v[14:15]
	v_fma_f64 v[16:17], v[8:9], v[10:11], v[16:17]
	v_add_f64 v[42:43], v[42:43], v[14:15]
	v_add_f64 v[44:45], v[16:17], v[44:45]
	ds_read_b128 v[14:17], v90 offset:2304
	s_waitcnt lgkmcnt(0)
	v_mul_f64 v[18:19], v[8:9], v[16:17]
	v_mul_f64 v[20:21], v[6:7], v[16:17]
	v_fma_f64 v[18:19], v[6:7], v[14:15], -v[18:19]
	v_fma_f64 v[20:21], v[8:9], v[14:15], v[20:21]
	v_add_f64 v[38:39], v[38:39], v[18:19]
	v_add_f64 v[40:41], v[20:21], v[40:41]
	ds_read_b128 v[18:21], v90 offset:2560
	s_waitcnt lgkmcnt(0)
	v_mul_f64 v[22:23], v[8:9], v[20:21]
	v_mul_f64 v[24:25], v[6:7], v[20:21]
	v_fma_f64 v[22:23], v[6:7], v[18:19], -v[22:23]
	v_fma_f64 v[24:25], v[8:9], v[18:19], v[24:25]
	v_add_f64 v[102:103], v[34:35], v[22:23]
	v_add_f64 v[104:105], v[24:25], v[36:37]
	ds_read_b128 v[22:25], v90 offset:2816
	s_waitcnt lgkmcnt(0)
	v_mul_f64 v[34:35], v[8:9], v[24:25]
	v_fma_f64 v[34:35], v[6:7], v[22:23], -v[34:35]
	v_mul_f64 v[6:7], v[6:7], v[24:25]
	v_add_f64 v[106:107], v[30:31], v[34:35]
	v_fma_f64 v[6:7], v[8:9], v[22:23], v[6:7]
	v_add_f64 v[108:109], v[6:7], v[32:33]
	ds_read_b128 v[6:9], v93 offset:1056
	s_waitcnt lgkmcnt(0)
	v_mul_f64 v[30:31], v[8:9], v[12:13]
	v_mul_f64 v[32:33], v[6:7], v[12:13]
	v_fma_f64 v[30:31], v[6:7], v[10:11], -v[30:31]
	v_fma_f64 v[32:33], v[8:9], v[10:11], v[32:33]
	v_add_f64 v[62:63], v[62:63], v[30:31]
	v_mul_f64 v[30:31], v[8:9], v[16:17]
	v_add_f64 v[64:65], v[32:33], v[64:65]
	v_mul_f64 v[32:33], v[6:7], v[16:17]
	v_fma_f64 v[30:31], v[6:7], v[14:15], -v[30:31]
	v_fma_f64 v[32:33], v[8:9], v[14:15], v[32:33]
	v_add_f64 v[66:67], v[66:67], v[30:31]
	v_mul_f64 v[30:31], v[8:9], v[20:21]
	v_add_f64 v[68:69], v[32:33], v[68:69]
	;; [unrolled: 6-line block ×3, first 2 shown]
	v_fma_f64 v[30:31], v[6:7], v[22:23], -v[30:31]
	v_mul_f64 v[6:7], v[6:7], v[24:25]
	v_add_f64 v[114:115], v[74:75], v[30:31]
	v_fma_f64 v[6:7], v[8:9], v[22:23], v[6:7]
	v_add_f64 v[116:117], v[6:7], v[76:77]
	ds_read_b128 v[6:9], v93 offset:2080
	s_waitcnt lgkmcnt(0)
	v_mul_f64 v[30:31], v[8:9], v[12:13]
	v_mul_f64 v[32:33], v[6:7], v[12:13]
	v_fma_f64 v[30:31], v[6:7], v[10:11], -v[30:31]
	v_fma_f64 v[32:33], v[8:9], v[10:11], v[32:33]
	v_add_f64 v[118:119], v[82:83], v[30:31]
	v_mul_f64 v[30:31], v[8:9], v[16:17]
	v_add_f64 v[120:121], v[32:33], v[84:85]
	v_mul_f64 v[32:33], v[6:7], v[16:17]
	v_fma_f64 v[30:31], v[6:7], v[14:15], -v[30:31]
	v_fma_f64 v[32:33], v[8:9], v[14:15], v[32:33]
	v_add_f64 v[122:123], v[86:87], v[30:31]
	v_mul_f64 v[30:31], v[8:9], v[20:21]
	v_add_f64 v[124:125], v[32:33], v[88:89]
	;; [unrolled: 6-line block ×3, first 2 shown]
	v_fma_f64 v[30:31], v[6:7], v[22:23], -v[30:31]
	v_mul_f64 v[6:7], v[6:7], v[24:25]
	v_add_f64 v[98:99], v[98:99], v[30:31]
	v_fma_f64 v[6:7], v[8:9], v[22:23], v[6:7]
	v_add_f64 v[100:101], v[6:7], v[100:101]
	ds_read_b128 v[6:9], v93 offset:3104
	s_waitcnt lgkmcnt(0)
	v_mul_f64 v[30:31], v[8:9], v[12:13]
	v_mul_f64 v[12:13], v[6:7], v[12:13]
	v_fma_f64 v[30:31], v[6:7], v[10:11], -v[30:31]
	v_fma_f64 v[10:11], v[8:9], v[10:11], v[12:13]
	v_mul_f64 v[12:13], v[6:7], v[16:17]
	v_add_f64 v[86:87], v[58:59], v[30:31]
	v_add_f64 v[88:89], v[10:11], v[60:61]
	v_mul_f64 v[10:11], v[8:9], v[16:17]
	v_fma_f64 v[12:13], v[8:9], v[14:15], v[12:13]
	v_fma_f64 v[10:11], v[6:7], v[14:15], -v[10:11]
	v_add_f64 v[84:85], v[12:13], v[56:57]
	v_mul_f64 v[12:13], v[6:7], v[20:21]
	ds_read_b128 v[14:17], v90 offset:3328
	v_add_f64 v[82:83], v[54:55], v[10:11]
	v_mul_f64 v[10:11], v[8:9], v[20:21]
	v_fma_f64 v[12:13], v[8:9], v[18:19], v[12:13]
	v_fma_f64 v[10:11], v[6:7], v[18:19], -v[10:11]
	ds_read_b128 v[18:21], v90 offset:3072
	v_add_f64 v[80:81], v[12:13], v[52:53]
	v_add_f64 v[78:79], v[50:51], v[10:11]
	v_mul_f64 v[10:11], v[8:9], v[24:25]
	v_fma_f64 v[10:11], v[6:7], v[22:23], -v[10:11]
	v_mul_f64 v[6:7], v[6:7], v[24:25]
	v_add_f64 v[74:75], v[46:47], v[10:11]
	v_fma_f64 v[6:7], v[8:9], v[22:23], v[6:7]
	s_waitcnt lgkmcnt(0)
	v_mul_f64 v[8:9], v[2:3], v[20:21]
	ds_read_b128 v[10:13], v90 offset:3584
	v_add_f64 v[76:77], v[6:7], v[48:49]
	v_mul_f64 v[6:7], v[4:5], v[20:21]
	v_fma_f64 v[8:9], v[4:5], v[18:19], v[8:9]
	v_fma_f64 v[6:7], v[2:3], v[18:19], -v[6:7]
	v_add_f64 v[52:53], v[8:9], v[44:45]
	v_mul_f64 v[8:9], v[2:3], v[16:17]
	v_add_f64 v[48:49], v[42:43], v[6:7]
	v_mul_f64 v[6:7], v[4:5], v[16:17]
	v_fma_f64 v[8:9], v[4:5], v[14:15], v[8:9]
	v_fma_f64 v[6:7], v[2:3], v[14:15], -v[6:7]
	v_add_f64 v[36:37], v[8:9], v[40:41]
	s_waitcnt lgkmcnt(0)
	v_mul_f64 v[8:9], v[2:3], v[12:13]
	v_add_f64 v[34:35], v[38:39], v[6:7]
	v_mul_f64 v[6:7], v[4:5], v[12:13]
	v_fma_f64 v[8:9], v[4:5], v[10:11], v[8:9]
	v_fma_f64 v[6:7], v[2:3], v[10:11], -v[6:7]
	v_add_f64 v[32:33], v[8:9], v[104:105]
	v_add_f64 v[30:31], v[102:103], v[6:7]
	ds_read_b128 v[6:9], v90 offset:3840
	s_waitcnt lgkmcnt(0)
	v_mul_f64 v[22:23], v[4:5], v[8:9]
	v_fma_f64 v[22:23], v[2:3], v[6:7], -v[22:23]
	v_mul_f64 v[2:3], v[2:3], v[8:9]
	v_add_f64 v[22:23], v[106:107], v[22:23]
	v_fma_f64 v[2:3], v[4:5], v[6:7], v[2:3]
	v_add_f64 v[24:25], v[2:3], v[108:109]
	ds_read_b128 v[2:5], v93 offset:1072
	s_waitcnt lgkmcnt(0)
	v_mul_f64 v[38:39], v[4:5], v[20:21]
	v_mul_f64 v[40:41], v[2:3], v[20:21]
	v_fma_f64 v[38:39], v[2:3], v[18:19], -v[38:39]
	v_fma_f64 v[40:41], v[4:5], v[18:19], v[40:41]
	v_add_f64 v[70:71], v[62:63], v[38:39]
	v_mul_f64 v[38:39], v[4:5], v[16:17]
	v_add_f64 v[72:73], v[40:41], v[64:65]
	v_mul_f64 v[40:41], v[2:3], v[16:17]
	v_fma_f64 v[38:39], v[2:3], v[14:15], -v[38:39]
	v_fma_f64 v[40:41], v[4:5], v[14:15], v[40:41]
	v_add_f64 v[62:63], v[66:67], v[38:39]
	v_mul_f64 v[38:39], v[4:5], v[12:13]
	v_add_f64 v[64:65], v[40:41], v[68:69]
	;; [unrolled: 6-line block ×3, first 2 shown]
	v_fma_f64 v[38:39], v[2:3], v[6:7], -v[38:39]
	v_mul_f64 v[2:3], v[2:3], v[8:9]
	v_add_f64 v[42:43], v[114:115], v[38:39]
	v_fma_f64 v[2:3], v[4:5], v[6:7], v[2:3]
	v_add_f64 v[46:47], v[2:3], v[116:117]
	ds_read_b128 v[2:5], v93 offset:2096
	s_waitcnt lgkmcnt(0)
	v_mul_f64 v[38:39], v[4:5], v[20:21]
	v_mul_f64 v[40:41], v[2:3], v[20:21]
	v_fma_f64 v[38:39], v[2:3], v[18:19], -v[38:39]
	v_fma_f64 v[40:41], v[4:5], v[18:19], v[40:41]
	v_add_f64 v[66:67], v[118:119], v[38:39]
	v_mul_f64 v[38:39], v[4:5], v[16:17]
	v_add_f64 v[68:69], v[40:41], v[120:121]
	v_mul_f64 v[40:41], v[2:3], v[16:17]
	v_fma_f64 v[38:39], v[2:3], v[14:15], -v[38:39]
	v_fma_f64 v[40:41], v[4:5], v[14:15], v[40:41]
	v_add_f64 v[56:57], v[122:123], v[38:39]
	v_mul_f64 v[38:39], v[4:5], v[12:13]
	v_add_f64 v[60:61], v[40:41], v[124:125]
	;; [unrolled: 6-line block ×3, first 2 shown]
	v_fma_f64 v[38:39], v[2:3], v[6:7], -v[38:39]
	v_mul_f64 v[2:3], v[2:3], v[8:9]
	v_add_f64 v[38:39], v[98:99], v[38:39]
	v_fma_f64 v[2:3], v[4:5], v[6:7], v[2:3]
	v_add_f64 v[40:41], v[2:3], v[100:101]
	ds_read_b128 v[2:5], v93 offset:3120
	s_waitcnt lgkmcnt(0)
	s_barrier
	buffer_gl0_inv
	v_mul_f64 v[94:95], v[4:5], v[20:21]
	v_mul_f64 v[20:21], v[2:3], v[20:21]
	v_fma_f64 v[94:95], v[2:3], v[18:19], -v[94:95]
	v_fma_f64 v[20:21], v[4:5], v[18:19], v[20:21]
	v_add_f64 v[18:19], v[86:87], v[94:95]
	v_mul_f64 v[86:87], v[4:5], v[16:17]
	v_mul_f64 v[16:17], v[2:3], v[16:17]
	v_add_f64 v[20:21], v[20:21], v[88:89]
	v_fma_f64 v[86:87], v[2:3], v[14:15], -v[86:87]
	v_fma_f64 v[16:17], v[4:5], v[14:15], v[16:17]
	v_add_f64 v[14:15], v[82:83], v[86:87]
	v_mul_f64 v[82:83], v[4:5], v[12:13]
	v_mul_f64 v[12:13], v[2:3], v[12:13]
	v_add_f64 v[16:17], v[16:17], v[84:85]
	v_fma_f64 v[82:83], v[2:3], v[10:11], -v[82:83]
	v_fma_f64 v[12:13], v[4:5], v[10:11], v[12:13]
	v_add_f64 v[10:11], v[78:79], v[82:83]
	v_mul_f64 v[78:79], v[4:5], v[8:9]
	v_add_f64 v[12:13], v[12:13], v[80:81]
	v_fma_f64 v[78:79], v[2:3], v[6:7], -v[78:79]
	v_mul_f64 v[2:3], v[2:3], v[8:9]
	v_add_f64 v[74:75], v[74:75], v[78:79]
	v_fma_f64 v[2:3], v[4:5], v[6:7], v[2:3]
	v_add_f64 v[76:77], v[2:3], v[76:77]
	s_cbranch_vccnz .LBB124_2
	s_branch .LBB124_4
.LBB124_3:
	v_mov_b32_e32 v48, 0
	v_mov_b32_e32 v52, 0
	;; [unrolled: 1-line block ×64, first 2 shown]
.LBB124_4:
	s_load_dwordx2 s[4:5], s[4:5], 0x90
	v_cmp_neq_f64_e64 s6, s[38:39], 0
	v_cmp_neq_f64_e64 s7, s[40:41], 0
	v_add_co_u32 v6, s2, s2, v1
	v_add_co_u32 v0, s0, s0, v0
	v_add_co_ci_u32_e64 v7, null, s3, 0, s2
	v_add_co_ci_u32_e64 v1, null, s1, 0, s0
	s_waitcnt lgkmcnt(0)
	s_mul_i32 s5, s5, s8
	s_mul_hi_u32 s9, s4, s8
	s_mul_i32 s4, s4, s8
	s_add_i32 s5, s9, s5
	s_lshl_b64 s[4:5], s[4:5], 4
	s_add_u32 s2, s48, s4
	s_addc_u32 s3, s49, s5
	s_or_b32 s4, s6, s7
	s_and_b32 vcc_lo, exec_lo, s4
	s_cbranch_vccnz .LBB124_6
; %bb.5:
	v_mul_f64 v[4:5], s[16:17], v[52:53]
	v_mul_f64 v[8:9], s[14:15], v[52:53]
	v_mul_lo_u32 v78, v7, s50
	v_mul_lo_u32 v79, v6, s51
	v_mad_u64_u32 v[2:3], null, v6, s50, 0
	v_mul_f64 v[26:27], s[16:17], v[36:37]
	v_mul_f64 v[28:29], s[14:15], v[36:37]
	;; [unrolled: 1-line block ×6, first 2 shown]
	v_add3_u32 v3, v3, v79, v78
	v_mul_f64 v[78:79], s[16:17], v[32:33]
	v_mul_f64 v[88:89], s[14:15], v[72:73]
	;; [unrolled: 1-line block ×4, first 2 shown]
	v_lshlrev_b64 v[2:3], 4, v[2:3]
	v_mul_f64 v[94:95], s[16:17], v[58:59]
	v_mul_f64 v[96:97], s[14:15], v[58:59]
	;; [unrolled: 1-line block ×4, first 2 shown]
	s_lshl_b64 s[0:1], s[50:51], 8
	v_add_co_u32 v104, vcc_lo, s2, v2
	v_add_co_ci_u32_e64 v105, null, s3, v3, vcc_lo
	v_fma_f64 v[2:3], s[14:15], v[48:49], -v[4:5]
	v_fma_f64 v[4:5], s[16:17], v[48:49], v[8:9]
	v_lshlrev_b64 v[8:9], 4, v[0:1]
	v_fma_f64 v[26:27], s[14:15], v[34:35], -v[26:27]
	v_fma_f64 v[28:29], s[16:17], v[34:35], v[28:29]
	v_fma_f64 v[80:81], s[16:17], v[30:31], v[80:81]
	v_fma_f64 v[82:83], s[14:15], v[22:23], -v[82:83]
	v_fma_f64 v[84:85], s[16:17], v[22:23], v[84:85]
	v_add_co_u32 v102, vcc_lo, v104, v8
	v_fma_f64 v[78:79], s[14:15], v[30:31], -v[78:79]
	v_add_co_ci_u32_e64 v103, null, v105, v9, vcc_lo
	v_fma_f64 v[86:87], s[14:15], v[70:71], -v[86:87]
	v_fma_f64 v[88:89], s[16:17], v[70:71], v[88:89]
	v_fma_f64 v[90:91], s[14:15], v[62:63], -v[90:91]
	v_fma_f64 v[92:93], s[16:17], v[62:63], v[92:93]
	;; [unrolled: 2-line block ×3, first 2 shown]
	v_add_co_u32 v106, vcc_lo, v104, s0
	v_add_co_ci_u32_e64 v107, null, s1, v105, vcc_lo
	global_store_dwordx4 v[102:103], v[2:5], off
	v_fma_f64 v[2:3], s[14:15], v[42:43], -v[98:99]
	v_fma_f64 v[4:5], s[16:17], v[42:43], v[100:101]
	v_add_co_u32 v104, vcc_lo, v106, v8
	v_add_co_ci_u32_e64 v105, null, v107, v9, vcc_lo
	global_store_dwordx4 v[102:103], v[26:29], off offset:256
	global_store_dwordx4 v[102:103], v[78:81], off offset:512
	global_store_dwordx4 v[102:103], v[82:85], off offset:768
	global_store_dwordx4 v[104:105], v[86:89], off
	global_store_dwordx4 v[104:105], v[90:93], off offset:256
	global_store_dwordx4 v[104:105], v[94:97], off offset:512
	v_mul_f64 v[26:27], s[16:17], v[68:69]
	v_mul_f64 v[28:29], s[14:15], v[68:69]
	;; [unrolled: 1-line block ×12, first 2 shown]
	global_store_dwordx4 v[104:105], v[2:5], off offset:768
	v_mul_f64 v[2:3], s[16:17], v[76:77]
	v_mul_f64 v[4:5], s[14:15], v[76:77]
	;; [unrolled: 1-line block ×4, first 2 shown]
	v_add_co_u32 v104, vcc_lo, v106, s0
	v_add_co_ci_u32_e64 v105, null, s1, v107, vcc_lo
	v_fma_f64 v[26:27], s[14:15], v[66:67], -v[26:27]
	v_fma_f64 v[28:29], s[16:17], v[66:67], v[28:29]
	v_fma_f64 v[78:79], s[14:15], v[56:57], -v[78:79]
	v_fma_f64 v[80:81], s[16:17], v[56:57], v[80:81]
	;; [unrolled: 2-line block ×6, first 2 shown]
	v_add_co_u32 v106, vcc_lo, v104, s0
	v_fma_f64 v[102:103], s[14:15], v[74:75], -v[2:3]
	v_fma_f64 v[2:3], s[16:17], v[74:75], v[4:5]
	v_fma_f64 v[98:99], s[14:15], v[10:11], -v[98:99]
	v_fma_f64 v[100:101], s[16:17], v[10:11], v[100:101]
	v_add_co_ci_u32_e64 v107, null, s1, v105, vcc_lo
	v_add_co_u32 v4, vcc_lo, v104, v8
	v_add_co_ci_u32_e64 v5, null, v105, v9, vcc_lo
	v_add_co_u32 v8, vcc_lo, v106, v8
	v_add_co_ci_u32_e64 v9, null, v107, v9, vcc_lo
	global_store_dwordx4 v[4:5], v[26:29], off
	global_store_dwordx4 v[4:5], v[78:81], off offset:256
	global_store_dwordx4 v[4:5], v[82:85], off offset:512
	;; [unrolled: 1-line block ×3, first 2 shown]
	global_store_dwordx4 v[8:9], v[90:93], off
	v_add_co_u32 v4, vcc_lo, 0x300, v8
	v_add_co_ci_u32_e64 v5, null, 0, v9, vcc_lo
	global_store_dwordx4 v[8:9], v[94:97], off offset:256
	global_store_dwordx4 v[8:9], v[98:101], off offset:512
	global_store_dwordx2 v[8:9], v[102:103], off offset:768
	s_cbranch_execz .LBB124_7
	s_branch .LBB124_8
.LBB124_6:
                                        ; implicit-def: $vgpr2_vgpr3
                                        ; implicit-def: $vgpr4_vgpr5
.LBB124_7:
	v_mul_lo_u32 v4, v7, s44
	v_mul_lo_u32 v5, v6, s45
	v_mad_u64_u32 v[2:3], null, v6, s44, 0
	s_mul_i32 s1, s47, s8
	s_mul_hi_u32 s4, s46, s8
	s_mul_i32 s0, s46, s8
	s_add_i32 s1, s4, s1
	v_mul_f64 v[26:27], s[16:17], v[52:53]
	s_lshl_b64 s[0:1], s[0:1], 4
	v_add3_u32 v3, v3, v5, v4
	s_add_u32 s0, s42, s0
	v_lshlrev_b64 v[4:5], 4, v[0:1]
	s_addc_u32 s1, s43, s1
	v_mul_f64 v[28:29], s[14:15], v[52:53]
	v_lshlrev_b64 v[2:3], 4, v[2:3]
	v_add_co_u32 v78, vcc_lo, s0, v2
	v_add_co_ci_u32_e64 v79, null, s1, v3, vcc_lo
	s_lshl_b64 s[0:1], s[44:45], 8
	v_add_co_u32 v8, vcc_lo, v78, v4
	v_add_co_ci_u32_e64 v9, null, v79, v5, vcc_lo
	v_fma_f64 v[26:27], s[14:15], v[48:49], -v[26:27]
	global_load_dwordx4 v[0:3], v[8:9], off
	v_fma_f64 v[28:29], s[16:17], v[48:49], v[28:29]
	s_waitcnt vmcnt(0)
	v_mul_f64 v[52:53], s[40:41], v[2:3]
	v_mul_f64 v[2:3], s[38:39], v[2:3]
	v_fma_f64 v[48:49], s[38:39], v[0:1], -v[52:53]
	v_fma_f64 v[2:3], s[40:41], v[0:1], v[2:3]
	v_mul_lo_u32 v0, v7, s50
	v_mul_lo_u32 v1, v6, s51
	v_mad_u64_u32 v[6:7], null, v6, s50, 0
	v_add3_u32 v7, v7, v1, v0
	v_lshlrev_b64 v[6:7], 4, v[6:7]
	v_add_f64 v[0:1], v[26:27], v[48:49]
	v_add_f64 v[2:3], v[28:29], v[2:3]
	v_add_co_u32 v48, vcc_lo, s2, v6
	v_add_co_ci_u32_e64 v49, null, s3, v7, vcc_lo
	v_mul_f64 v[26:27], s[16:17], v[36:37]
	v_add_co_u32 v6, vcc_lo, v48, v4
	v_add_co_ci_u32_e64 v7, null, v49, v5, vcc_lo
	v_mul_f64 v[28:29], s[14:15], v[36:37]
	s_lshl_b64 s[2:3], s[50:51], 8
	global_store_dwordx4 v[6:7], v[0:3], off
	global_load_dwordx4 v[0:3], v[8:9], off offset:256
	v_fma_f64 v[26:27], s[14:15], v[34:35], -v[26:27]
	v_fma_f64 v[28:29], s[16:17], v[34:35], v[28:29]
	s_waitcnt vmcnt(0)
	v_mul_f64 v[36:37], s[40:41], v[2:3]
	v_mul_f64 v[2:3], s[38:39], v[2:3]
	v_fma_f64 v[34:35], s[38:39], v[0:1], -v[36:37]
	v_fma_f64 v[2:3], s[40:41], v[0:1], v[2:3]
	v_add_f64 v[0:1], v[26:27], v[34:35]
	v_add_f64 v[2:3], v[28:29], v[2:3]
	v_mul_f64 v[26:27], s[16:17], v[32:33]
	v_mul_f64 v[28:29], s[14:15], v[32:33]
	global_store_dwordx4 v[6:7], v[0:3], off offset:256
	global_load_dwordx4 v[0:3], v[8:9], off offset:512
	v_fma_f64 v[26:27], s[14:15], v[30:31], -v[26:27]
	v_fma_f64 v[28:29], s[16:17], v[30:31], v[28:29]
	s_waitcnt vmcnt(0)
	v_mul_f64 v[32:33], s[40:41], v[2:3]
	v_mul_f64 v[2:3], s[38:39], v[2:3]
	v_fma_f64 v[30:31], s[38:39], v[0:1], -v[32:33]
	v_fma_f64 v[2:3], s[40:41], v[0:1], v[2:3]
	v_add_f64 v[0:1], v[26:27], v[30:31]
	v_add_f64 v[2:3], v[28:29], v[2:3]
	v_add_co_u32 v28, vcc_lo, v78, s0
	v_add_co_ci_u32_e64 v29, null, s1, v79, vcc_lo
	global_store_dwordx4 v[6:7], v[0:3], off offset:512
	global_load_dwordx4 v[0:3], v[8:9], off offset:768
	v_mul_f64 v[8:9], s[16:17], v[24:25]
	v_mul_f64 v[24:25], s[14:15], v[24:25]
	v_fma_f64 v[8:9], s[14:15], v[22:23], -v[8:9]
	v_fma_f64 v[22:23], s[16:17], v[22:23], v[24:25]
	s_waitcnt vmcnt(0)
	v_mul_f64 v[26:27], s[40:41], v[2:3]
	v_mul_f64 v[2:3], s[38:39], v[2:3]
	v_fma_f64 v[24:25], s[38:39], v[0:1], -v[26:27]
	v_fma_f64 v[2:3], s[40:41], v[0:1], v[2:3]
	v_add_f64 v[0:1], v[8:9], v[24:25]
	v_add_f64 v[2:3], v[22:23], v[2:3]
	v_add_co_u32 v8, vcc_lo, v28, v4
	v_add_co_ci_u32_e64 v9, null, v29, v5, vcc_lo
	v_mul_f64 v[22:23], s[14:15], v[72:73]
	v_add_co_u32 v30, vcc_lo, v48, s2
	v_add_co_ci_u32_e64 v31, null, s3, v49, vcc_lo
	global_store_dwordx4 v[6:7], v[0:3], off offset:768
	global_load_dwordx4 v[0:3], v[8:9], off
	v_mul_f64 v[6:7], s[16:17], v[72:73]
	v_fma_f64 v[22:23], s[16:17], v[70:71], v[22:23]
	v_fma_f64 v[6:7], s[14:15], v[70:71], -v[6:7]
	s_waitcnt vmcnt(0)
	v_mul_f64 v[24:25], s[40:41], v[2:3]
	v_mul_f64 v[2:3], s[38:39], v[2:3]
	v_fma_f64 v[24:25], s[38:39], v[0:1], -v[24:25]
	v_fma_f64 v[2:3], s[40:41], v[0:1], v[2:3]
	v_add_f64 v[0:1], v[6:7], v[24:25]
	v_add_f64 v[2:3], v[22:23], v[2:3]
	v_add_co_u32 v6, vcc_lo, v30, v4
	v_add_co_ci_u32_e64 v7, null, v31, v5, vcc_lo
	v_mul_f64 v[22:23], s[16:17], v[64:65]
	v_mul_f64 v[24:25], s[14:15], v[64:65]
	v_add_co_u32 v28, vcc_lo, v28, s0
	v_add_co_ci_u32_e64 v29, null, s1, v29, vcc_lo
	global_store_dwordx4 v[6:7], v[0:3], off
	global_load_dwordx4 v[0:3], v[8:9], off offset:256
	v_fma_f64 v[22:23], s[14:15], v[62:63], -v[22:23]
	v_fma_f64 v[24:25], s[16:17], v[62:63], v[24:25]
	s_waitcnt vmcnt(0)
	v_mul_f64 v[26:27], s[40:41], v[2:3]
	v_mul_f64 v[2:3], s[38:39], v[2:3]
	v_fma_f64 v[26:27], s[38:39], v[0:1], -v[26:27]
	v_fma_f64 v[2:3], s[40:41], v[0:1], v[2:3]
	v_add_f64 v[0:1], v[22:23], v[26:27]
	v_add_f64 v[2:3], v[24:25], v[2:3]
	v_mul_f64 v[22:23], s[16:17], v[58:59]
	v_mul_f64 v[24:25], s[14:15], v[58:59]
	global_store_dwordx4 v[6:7], v[0:3], off offset:256
	global_load_dwordx4 v[0:3], v[8:9], off offset:512
	v_fma_f64 v[22:23], s[14:15], v[54:55], -v[22:23]
	v_fma_f64 v[24:25], s[16:17], v[54:55], v[24:25]
	s_waitcnt vmcnt(0)
	v_mul_f64 v[26:27], s[40:41], v[2:3]
	v_mul_f64 v[2:3], s[38:39], v[2:3]
	v_fma_f64 v[26:27], s[38:39], v[0:1], -v[26:27]
	v_fma_f64 v[2:3], s[40:41], v[0:1], v[2:3]
	v_add_f64 v[0:1], v[22:23], v[26:27]
	v_add_f64 v[2:3], v[24:25], v[2:3]
	v_mul_f64 v[22:23], s[14:15], v[46:47]
	global_store_dwordx4 v[6:7], v[0:3], off offset:512
	global_load_dwordx4 v[0:3], v[8:9], off offset:768
	v_mul_f64 v[8:9], s[16:17], v[46:47]
	v_fma_f64 v[22:23], s[16:17], v[42:43], v[22:23]
	v_fma_f64 v[8:9], s[14:15], v[42:43], -v[8:9]
	s_waitcnt vmcnt(0)
	v_mul_f64 v[24:25], s[40:41], v[2:3]
	v_mul_f64 v[2:3], s[38:39], v[2:3]
	v_fma_f64 v[24:25], s[38:39], v[0:1], -v[24:25]
	v_fma_f64 v[2:3], s[40:41], v[0:1], v[2:3]
	v_add_f64 v[0:1], v[8:9], v[24:25]
	v_add_f64 v[2:3], v[22:23], v[2:3]
	v_add_co_u32 v8, vcc_lo, v28, v4
	v_add_co_ci_u32_e64 v9, null, v29, v5, vcc_lo
	v_mul_f64 v[22:23], s[14:15], v[68:69]
	v_add_co_u32 v30, vcc_lo, v30, s2
	v_add_co_ci_u32_e64 v31, null, s3, v31, vcc_lo
	global_store_dwordx4 v[6:7], v[0:3], off offset:768
	global_load_dwordx4 v[0:3], v[8:9], off
	v_mul_f64 v[6:7], s[16:17], v[68:69]
	v_fma_f64 v[22:23], s[16:17], v[66:67], v[22:23]
	v_fma_f64 v[6:7], s[14:15], v[66:67], -v[6:7]
	s_waitcnt vmcnt(0)
	v_mul_f64 v[24:25], s[40:41], v[2:3]
	v_mul_f64 v[2:3], s[38:39], v[2:3]
	v_fma_f64 v[24:25], s[38:39], v[0:1], -v[24:25]
	v_fma_f64 v[2:3], s[40:41], v[0:1], v[2:3]
	v_add_f64 v[0:1], v[6:7], v[24:25]
	v_add_f64 v[2:3], v[22:23], v[2:3]
	v_add_co_u32 v6, vcc_lo, v30, v4
	v_add_co_ci_u32_e64 v7, null, v31, v5, vcc_lo
	v_mul_f64 v[22:23], s[16:17], v[60:61]
	v_mul_f64 v[24:25], s[14:15], v[60:61]
	global_store_dwordx4 v[6:7], v[0:3], off
	global_load_dwordx4 v[0:3], v[8:9], off offset:256
	v_fma_f64 v[22:23], s[14:15], v[56:57], -v[22:23]
	v_fma_f64 v[24:25], s[16:17], v[56:57], v[24:25]
	s_waitcnt vmcnt(0)
	v_mul_f64 v[26:27], s[40:41], v[2:3]
	v_mul_f64 v[2:3], s[38:39], v[2:3]
	v_fma_f64 v[26:27], s[38:39], v[0:1], -v[26:27]
	v_fma_f64 v[2:3], s[40:41], v[0:1], v[2:3]
	v_add_f64 v[0:1], v[22:23], v[26:27]
	v_add_f64 v[2:3], v[24:25], v[2:3]
	v_mul_f64 v[22:23], s[16:17], v[50:51]
	v_mul_f64 v[24:25], s[14:15], v[50:51]
	global_store_dwordx4 v[6:7], v[0:3], off offset:256
	global_load_dwordx4 v[0:3], v[8:9], off offset:512
	v_fma_f64 v[22:23], s[14:15], v[44:45], -v[22:23]
	v_fma_f64 v[24:25], s[16:17], v[44:45], v[24:25]
	s_waitcnt vmcnt(0)
	v_mul_f64 v[26:27], s[40:41], v[2:3]
	v_mul_f64 v[2:3], s[38:39], v[2:3]
	v_fma_f64 v[26:27], s[38:39], v[0:1], -v[26:27]
	v_fma_f64 v[2:3], s[40:41], v[0:1], v[2:3]
	v_add_f64 v[0:1], v[22:23], v[26:27]
	v_add_f64 v[2:3], v[24:25], v[2:3]
	v_mul_f64 v[22:23], s[14:15], v[40:41]
	global_store_dwordx4 v[6:7], v[0:3], off offset:512
	global_load_dwordx4 v[0:3], v[8:9], off offset:768
	v_mul_f64 v[8:9], s[16:17], v[40:41]
	v_fma_f64 v[22:23], s[16:17], v[38:39], v[22:23]
	v_fma_f64 v[8:9], s[14:15], v[38:39], -v[8:9]
	s_waitcnt vmcnt(0)
	v_mul_f64 v[24:25], s[40:41], v[2:3]
	v_mul_f64 v[2:3], s[38:39], v[2:3]
	v_fma_f64 v[24:25], s[38:39], v[0:1], -v[24:25]
	v_fma_f64 v[2:3], s[40:41], v[0:1], v[2:3]
	v_add_f64 v[0:1], v[8:9], v[24:25]
	v_add_f64 v[2:3], v[22:23], v[2:3]
	v_add_co_u32 v8, vcc_lo, v28, s0
	v_add_co_ci_u32_e64 v9, null, s1, v29, vcc_lo
	v_add_co_u32 v8, vcc_lo, v8, v4
	v_add_co_ci_u32_e64 v9, null, v9, v5, vcc_lo
	global_store_dwordx4 v[6:7], v[0:3], off offset:768
	global_load_dwordx4 v[0:3], v[8:9], off
	v_mul_f64 v[6:7], s[16:17], v[20:21]
	v_mul_f64 v[20:21], s[14:15], v[20:21]
	v_fma_f64 v[6:7], s[14:15], v[18:19], -v[6:7]
	v_fma_f64 v[18:19], s[16:17], v[18:19], v[20:21]
	s_waitcnt vmcnt(0)
	v_mul_f64 v[22:23], s[40:41], v[2:3]
	v_mul_f64 v[2:3], s[38:39], v[2:3]
	v_fma_f64 v[20:21], s[38:39], v[0:1], -v[22:23]
	v_fma_f64 v[2:3], s[40:41], v[0:1], v[2:3]
	v_add_f64 v[0:1], v[6:7], v[20:21]
	v_add_f64 v[2:3], v[18:19], v[2:3]
	v_add_co_u32 v6, vcc_lo, v30, s2
	v_add_co_ci_u32_e64 v7, null, s3, v31, vcc_lo
	v_add_co_u32 v6, vcc_lo, v6, v4
	v_add_co_ci_u32_e64 v7, null, v7, v5, vcc_lo
	v_mul_f64 v[4:5], s[16:17], v[16:17]
	v_mul_f64 v[16:17], s[14:15], v[16:17]
	global_store_dwordx4 v[6:7], v[0:3], off
	global_load_dwordx4 v[0:3], v[8:9], off offset:256
	v_fma_f64 v[4:5], s[14:15], v[14:15], -v[4:5]
	v_fma_f64 v[14:15], s[16:17], v[14:15], v[16:17]
	s_waitcnt vmcnt(0)
	v_mul_f64 v[18:19], s[40:41], v[2:3]
	v_mul_f64 v[2:3], s[38:39], v[2:3]
	v_fma_f64 v[16:17], s[38:39], v[0:1], -v[18:19]
	v_fma_f64 v[2:3], s[40:41], v[0:1], v[2:3]
	v_add_f64 v[0:1], v[4:5], v[16:17]
	v_add_f64 v[2:3], v[14:15], v[2:3]
	v_mul_f64 v[4:5], s[16:17], v[12:13]
	v_mul_f64 v[12:13], s[14:15], v[12:13]
	global_store_dwordx4 v[6:7], v[0:3], off offset:256
	global_load_dwordx4 v[0:3], v[8:9], off offset:512
	v_fma_f64 v[4:5], s[14:15], v[10:11], -v[4:5]
	v_fma_f64 v[10:11], s[16:17], v[10:11], v[12:13]
	s_waitcnt vmcnt(0)
	v_mul_f64 v[14:15], s[40:41], v[2:3]
	v_mul_f64 v[2:3], s[38:39], v[2:3]
	v_fma_f64 v[12:13], s[38:39], v[0:1], -v[14:15]
	v_fma_f64 v[2:3], s[40:41], v[0:1], v[2:3]
	v_add_f64 v[0:1], v[4:5], v[12:13]
	v_add_f64 v[2:3], v[10:11], v[2:3]
	v_mul_f64 v[4:5], s[16:17], v[76:77]
	global_store_dwordx4 v[6:7], v[0:3], off offset:512
	global_load_dwordx4 v[0:3], v[8:9], off offset:768
	v_mul_f64 v[8:9], s[14:15], v[76:77]
	v_fma_f64 v[4:5], s[14:15], v[74:75], -v[4:5]
	v_fma_f64 v[8:9], s[16:17], v[74:75], v[8:9]
	s_waitcnt vmcnt(0)
	v_mul_f64 v[10:11], s[40:41], v[2:3]
	v_mul_f64 v[2:3], s[38:39], v[2:3]
	v_fma_f64 v[10:11], s[38:39], v[0:1], -v[10:11]
	v_fma_f64 v[0:1], s[40:41], v[0:1], v[2:3]
	v_add_f64 v[10:11], v[4:5], v[10:11]
	v_add_f64 v[2:3], v[8:9], v[0:1]
	v_add_co_u32 v4, vcc_lo, 0x300, v6
	v_add_co_ci_u32_e64 v5, null, 0, v7, vcc_lo
	global_store_dwordx2 v[6:7], v[10:11], off offset:768
.LBB124_8:
	global_store_dwordx2 v[4:5], v[2:3], off offset:8
	s_endpgm
	.section	.rodata,"a",@progbits
	.p2align	6, 0x0
	.amdhsa_kernel _ZN12_GLOBAL__N_127rocblas_gemm_batched_kernelI19rocblas_complex_numIdELi16ELi16ELi64ELi64ELi4ELi64ELi4ELi4ELi64ELc67ELc84EKS2_S3_S2_EEvlllT_PT11_llS6_llS4_PT12_llPT13_lli
		.amdhsa_group_segment_fixed_size 8192
		.amdhsa_private_segment_fixed_size 0
		.amdhsa_kernarg_size 156
		.amdhsa_user_sgpr_count 6
		.amdhsa_user_sgpr_private_segment_buffer 1
		.amdhsa_user_sgpr_dispatch_ptr 0
		.amdhsa_user_sgpr_queue_ptr 0
		.amdhsa_user_sgpr_kernarg_segment_ptr 1
		.amdhsa_user_sgpr_dispatch_id 0
		.amdhsa_user_sgpr_flat_scratch_init 0
		.amdhsa_user_sgpr_private_segment_size 0
		.amdhsa_wavefront_size32 1
		.amdhsa_uses_dynamic_stack 0
		.amdhsa_system_sgpr_private_segment_wavefront_offset 0
		.amdhsa_system_sgpr_workgroup_id_x 1
		.amdhsa_system_sgpr_workgroup_id_y 1
		.amdhsa_system_sgpr_workgroup_id_z 1
		.amdhsa_system_sgpr_workgroup_info 0
		.amdhsa_system_vgpr_workitem_id 1
		.amdhsa_next_free_vgpr 138
		.amdhsa_next_free_sgpr 52
		.amdhsa_reserve_vcc 1
		.amdhsa_reserve_flat_scratch 0
		.amdhsa_float_round_mode_32 0
		.amdhsa_float_round_mode_16_64 0
		.amdhsa_float_denorm_mode_32 3
		.amdhsa_float_denorm_mode_16_64 3
		.amdhsa_dx10_clamp 1
		.amdhsa_ieee_mode 1
		.amdhsa_fp16_overflow 0
		.amdhsa_workgroup_processor_mode 1
		.amdhsa_memory_ordered 1
		.amdhsa_forward_progress 1
		.amdhsa_shared_vgpr_count 0
		.amdhsa_exception_fp_ieee_invalid_op 0
		.amdhsa_exception_fp_denorm_src 0
		.amdhsa_exception_fp_ieee_div_zero 0
		.amdhsa_exception_fp_ieee_overflow 0
		.amdhsa_exception_fp_ieee_underflow 0
		.amdhsa_exception_fp_ieee_inexact 0
		.amdhsa_exception_int_div_zero 0
	.end_amdhsa_kernel
	.section	.text._ZN12_GLOBAL__N_127rocblas_gemm_batched_kernelI19rocblas_complex_numIdELi16ELi16ELi64ELi64ELi4ELi64ELi4ELi4ELi64ELc67ELc84EKS2_S3_S2_EEvlllT_PT11_llS6_llS4_PT12_llPT13_lli,"axG",@progbits,_ZN12_GLOBAL__N_127rocblas_gemm_batched_kernelI19rocblas_complex_numIdELi16ELi16ELi64ELi64ELi4ELi64ELi4ELi4ELi64ELc67ELc84EKS2_S3_S2_EEvlllT_PT11_llS6_llS4_PT12_llPT13_lli,comdat
.Lfunc_end124:
	.size	_ZN12_GLOBAL__N_127rocblas_gemm_batched_kernelI19rocblas_complex_numIdELi16ELi16ELi64ELi64ELi4ELi64ELi4ELi4ELi64ELc67ELc84EKS2_S3_S2_EEvlllT_PT11_llS6_llS4_PT12_llPT13_lli, .Lfunc_end124-_ZN12_GLOBAL__N_127rocblas_gemm_batched_kernelI19rocblas_complex_numIdELi16ELi16ELi64ELi64ELi4ELi64ELi4ELi4ELi64ELc67ELc84EKS2_S3_S2_EEvlllT_PT11_llS6_llS4_PT12_llPT13_lli
                                        ; -- End function
	.set _ZN12_GLOBAL__N_127rocblas_gemm_batched_kernelI19rocblas_complex_numIdELi16ELi16ELi64ELi64ELi4ELi64ELi4ELi4ELi64ELc67ELc84EKS2_S3_S2_EEvlllT_PT11_llS6_llS4_PT12_llPT13_lli.num_vgpr, 138
	.set _ZN12_GLOBAL__N_127rocblas_gemm_batched_kernelI19rocblas_complex_numIdELi16ELi16ELi64ELi64ELi4ELi64ELi4ELi4ELi64ELc67ELc84EKS2_S3_S2_EEvlllT_PT11_llS6_llS4_PT12_llPT13_lli.num_agpr, 0
	.set _ZN12_GLOBAL__N_127rocblas_gemm_batched_kernelI19rocblas_complex_numIdELi16ELi16ELi64ELi64ELi4ELi64ELi4ELi4ELi64ELc67ELc84EKS2_S3_S2_EEvlllT_PT11_llS6_llS4_PT12_llPT13_lli.numbered_sgpr, 52
	.set _ZN12_GLOBAL__N_127rocblas_gemm_batched_kernelI19rocblas_complex_numIdELi16ELi16ELi64ELi64ELi4ELi64ELi4ELi4ELi64ELc67ELc84EKS2_S3_S2_EEvlllT_PT11_llS6_llS4_PT12_llPT13_lli.num_named_barrier, 0
	.set _ZN12_GLOBAL__N_127rocblas_gemm_batched_kernelI19rocblas_complex_numIdELi16ELi16ELi64ELi64ELi4ELi64ELi4ELi4ELi64ELc67ELc84EKS2_S3_S2_EEvlllT_PT11_llS6_llS4_PT12_llPT13_lli.private_seg_size, 0
	.set _ZN12_GLOBAL__N_127rocblas_gemm_batched_kernelI19rocblas_complex_numIdELi16ELi16ELi64ELi64ELi4ELi64ELi4ELi4ELi64ELc67ELc84EKS2_S3_S2_EEvlllT_PT11_llS6_llS4_PT12_llPT13_lli.uses_vcc, 1
	.set _ZN12_GLOBAL__N_127rocblas_gemm_batched_kernelI19rocblas_complex_numIdELi16ELi16ELi64ELi64ELi4ELi64ELi4ELi4ELi64ELc67ELc84EKS2_S3_S2_EEvlllT_PT11_llS6_llS4_PT12_llPT13_lli.uses_flat_scratch, 0
	.set _ZN12_GLOBAL__N_127rocblas_gemm_batched_kernelI19rocblas_complex_numIdELi16ELi16ELi64ELi64ELi4ELi64ELi4ELi4ELi64ELc67ELc84EKS2_S3_S2_EEvlllT_PT11_llS6_llS4_PT12_llPT13_lli.has_dyn_sized_stack, 0
	.set _ZN12_GLOBAL__N_127rocblas_gemm_batched_kernelI19rocblas_complex_numIdELi16ELi16ELi64ELi64ELi4ELi64ELi4ELi4ELi64ELc67ELc84EKS2_S3_S2_EEvlllT_PT11_llS6_llS4_PT12_llPT13_lli.has_recursion, 0
	.set _ZN12_GLOBAL__N_127rocblas_gemm_batched_kernelI19rocblas_complex_numIdELi16ELi16ELi64ELi64ELi4ELi64ELi4ELi4ELi64ELc67ELc84EKS2_S3_S2_EEvlllT_PT11_llS6_llS4_PT12_llPT13_lli.has_indirect_call, 0
	.section	.AMDGPU.csdata,"",@progbits
; Kernel info:
; codeLenInByte = 7408
; TotalNumSgprs: 54
; NumVgprs: 138
; ScratchSize: 0
; MemoryBound: 0
; FloatMode: 240
; IeeeMode: 1
; LDSByteSize: 8192 bytes/workgroup (compile time only)
; SGPRBlocks: 0
; VGPRBlocks: 17
; NumSGPRsForWavesPerEU: 54
; NumVGPRsForWavesPerEU: 138
; Occupancy: 7
; WaveLimiterHint : 1
; COMPUTE_PGM_RSRC2:SCRATCH_EN: 0
; COMPUTE_PGM_RSRC2:USER_SGPR: 6
; COMPUTE_PGM_RSRC2:TRAP_HANDLER: 0
; COMPUTE_PGM_RSRC2:TGID_X_EN: 1
; COMPUTE_PGM_RSRC2:TGID_Y_EN: 1
; COMPUTE_PGM_RSRC2:TGID_Z_EN: 1
; COMPUTE_PGM_RSRC2:TIDIG_COMP_CNT: 1
	.section	.text._ZN12_GLOBAL__N_127rocblas_gemm_batched_kernelI19rocblas_complex_numIdELi16ELi16ELi64ELi64ELi4ELi64ELi4ELi4ELi64ELc78ELc67EKS2_S3_S2_EEvlllT_PT11_llS6_llS4_PT12_llPT13_lli,"axG",@progbits,_ZN12_GLOBAL__N_127rocblas_gemm_batched_kernelI19rocblas_complex_numIdELi16ELi16ELi64ELi64ELi4ELi64ELi4ELi4ELi64ELc78ELc67EKS2_S3_S2_EEvlllT_PT11_llS6_llS4_PT12_llPT13_lli,comdat
	.globl	_ZN12_GLOBAL__N_127rocblas_gemm_batched_kernelI19rocblas_complex_numIdELi16ELi16ELi64ELi64ELi4ELi64ELi4ELi4ELi64ELc78ELc67EKS2_S3_S2_EEvlllT_PT11_llS6_llS4_PT12_llPT13_lli ; -- Begin function _ZN12_GLOBAL__N_127rocblas_gemm_batched_kernelI19rocblas_complex_numIdELi16ELi16ELi64ELi64ELi4ELi64ELi4ELi4ELi64ELc78ELc67EKS2_S3_S2_EEvlllT_PT11_llS6_llS4_PT12_llPT13_lli
	.p2align	8
	.type	_ZN12_GLOBAL__N_127rocblas_gemm_batched_kernelI19rocblas_complex_numIdELi16ELi16ELi64ELi64ELi4ELi64ELi4ELi4ELi64ELc78ELc67EKS2_S3_S2_EEvlllT_PT11_llS6_llS4_PT12_llPT13_lli,@function
_ZN12_GLOBAL__N_127rocblas_gemm_batched_kernelI19rocblas_complex_numIdELi16ELi16ELi64ELi64ELi4ELi64ELi4ELi4ELi64ELc78ELc67EKS2_S3_S2_EEvlllT_PT11_llS6_llS4_PT12_llPT13_lli: ; @_ZN12_GLOBAL__N_127rocblas_gemm_batched_kernelI19rocblas_complex_numIdELi16ELi16ELi64ELi64ELi4ELi64ELi4ELi4ELi64ELc78ELc67EKS2_S3_S2_EEvlllT_PT11_llS6_llS4_PT12_llPT13_lli
; %bb.0:
	s_clause 0x1
	s_load_dwordx16 s[12:27], s[4:5], 0x10
	s_load_dwordx16 s[36:51], s[4:5], 0x50
	s_mov_b32 s2, s7
	s_ashr_i32 s7, s6, 31
	s_ashr_i32 s3, s2, 31
	s_lshl_b64 s[0:1], s[6:7], 6
	s_lshl_b64 s[2:3], s[2:3], 6
	s_waitcnt lgkmcnt(0)
	v_cmp_lt_i64_e64 s9, s[12:13], 1
	s_and_b32 vcc_lo, exec_lo, s9
	s_cbranch_vccnz .LBB125_3
; %bb.1:
	v_lshl_add_u32 v8, v1, 4, v0
	v_and_b32_e32 v9, 3, v0
	s_mul_i32 s7, s23, s8
	s_mul_hi_u32 s9, s22, s8
	s_mul_i32 s10, s37, s8
	v_lshrrev_b32_e32 v11, 2, v8
	v_lshrrev_b32_e32 v10, 6, v8
	s_add_i32 s7, s9, s7
	s_mul_hi_u32 s11, s36, s8
	v_mov_b32_e32 v76, 0
	v_add_co_u32 v4, s6, v11, s2
	v_add_co_ci_u32_e64 v5, null, 0, s3, s6
	v_mad_u64_u32 v[2:3], null, s20, v10, s[0:1]
	s_mul_i32 s6, s22, s8
	v_mad_u64_u32 v[4:5], null, s26, v9, v[4:5]
	s_lshl_b64 s[6:7], s[6:7], 4
	v_mov_b32_e32 v74, 0
	s_add_u32 s6, s18, s6
	s_addc_u32 s7, s19, s7
	v_mov_b32_e32 v12, 0
	v_mov_b32_e32 v16, 0
	v_mad_u64_u32 v[6:7], null, s21, v10, v[3:4]
	v_and_b32_e32 v7, 63, v8
	v_mov_b32_e32 v3, v5
	v_lshlrev_b32_e32 v8, 4, v9
	v_mov_b32_e32 v14, 0
	v_mov_b32_e32 v20, 0
	v_add_co_u32 v5, vcc_lo, v2, v7
	v_add_co_ci_u32_e64 v6, null, 0, v6, vcc_lo
	v_mad_u64_u32 v[2:3], null, s27, v9, v[3:4]
	v_lshlrev_b32_e32 v3, 4, v7
	v_lshlrev_b64 v[6:7], 4, v[5:6]
	v_lshl_or_b32 v8, v11, 6, v8
	v_mov_b32_e32 v18, 0
	v_mov_b32_e32 v40, 0
	v_lshl_or_b32 v92, v10, 10, v3
	v_mov_b32_e32 v5, v2
	v_add_co_u32 v26, vcc_lo, s6, v6
	v_add_co_ci_u32_e64 v27, null, s7, v7, vcc_lo
	s_add_i32 s7, s11, s10
	s_mul_i32 s6, s36, s8
	v_lshlrev_b64 v[2:3], 4, v[4:5]
	s_lshl_b64 s[10:11], s[6:7], 4
	s_lshl_b64 s[6:7], s[20:21], 6
	s_add_u32 s9, s24, s10
	s_addc_u32 s10, s25, s11
	v_mov_b32_e32 v10, 0
	v_add_co_u32 v2, vcc_lo, s9, v2
	v_add_co_ci_u32_e64 v3, null, s10, v3, vcc_lo
	v_mov_b32_e32 v38, 0
	v_add_co_u32 v28, vcc_lo, v2, 8
	v_mov_b32_e32 v50, 0
	v_mov_b32_e32 v44, 0
	;; [unrolled: 1-line block ×22, first 2 shown]
	v_lshlrev_b32_e32 v90, 4, v0
	v_lshl_add_u32 v91, v1, 6, 0x1000
	v_add_nc_u32_e32 v93, 0x1000, v8
	v_mov_b32_e32 v77, 0
	v_mov_b32_e32 v75, 0
	;; [unrolled: 1-line block ×32, first 2 shown]
	v_add_co_ci_u32_e64 v29, null, 0, v3, vcc_lo
	s_lshl_b64 s[10:11], s[26:27], 6
	s_mov_b64 s[18:19], 0
.LBB125_2:                              ; =>This Inner Loop Header: Depth=1
	global_load_dwordx4 v[2:5], v[26:27], off
	s_add_u32 s18, s18, 4
	s_addc_u32 s19, s19, 0
	v_add_co_u32 v26, vcc_lo, v26, s6
	v_cmp_lt_i64_e64 s9, s[18:19], s[12:13]
	v_add_co_ci_u32_e64 v27, null, s7, v27, vcc_lo
	s_waitcnt vmcnt(0)
	ds_write2_b64 v92, v[2:3], v[4:5] offset1:1
	global_load_dwordx4 v[2:5], v[28:29], off offset:-8
	v_add_co_u32 v28, vcc_lo, v28, s10
	v_add_co_ci_u32_e64 v29, null, s11, v29, vcc_lo
	s_and_b32 vcc_lo, exec_lo, s9
	s_waitcnt vmcnt(0)
	v_xor_b32_e32 v5, 0x80000000, v5
	ds_write_b128 v93, v[2:5]
	s_waitcnt lgkmcnt(0)
	s_barrier
	buffer_gl0_inv
	ds_read_b128 v[78:81], v91
	ds_read_b128 v[82:85], v91 offset:16
	ds_read_b128 v[6:9], v91 offset:32
	;; [unrolled: 1-line block ×3, first 2 shown]
	ds_read_b128 v[86:89], v90
	s_waitcnt lgkmcnt(0)
	v_mul_f64 v[94:95], v[80:81], v[88:89]
	v_mul_f64 v[96:97], v[78:79], v[88:89]
	v_fma_f64 v[94:95], v[78:79], v[86:87], -v[94:95]
	v_fma_f64 v[96:97], v[80:81], v[86:87], v[96:97]
	v_add_f64 v[98:99], v[48:49], v[94:95]
	v_add_f64 v[100:101], v[96:97], v[52:53]
	ds_read_b128 v[94:97], v90 offset:256
	s_waitcnt lgkmcnt(0)
	v_mul_f64 v[48:49], v[80:81], v[96:97]
	v_mul_f64 v[52:53], v[78:79], v[96:97]
	v_fma_f64 v[48:49], v[78:79], v[94:95], -v[48:49]
	v_fma_f64 v[52:53], v[80:81], v[94:95], v[52:53]
	v_add_f64 v[102:103], v[34:35], v[48:49]
	v_add_f64 v[104:105], v[52:53], v[36:37]
	ds_read_b128 v[34:37], v90 offset:512
	;; [unrolled: 8-line block ×4, first 2 shown]
	s_waitcnt lgkmcnt(0)
	v_mul_f64 v[48:49], v[24:25], v[88:89]
	v_mul_f64 v[52:53], v[22:23], v[88:89]
	v_fma_f64 v[48:49], v[22:23], v[86:87], -v[48:49]
	v_fma_f64 v[52:53], v[24:25], v[86:87], v[52:53]
	v_add_f64 v[70:71], v[70:71], v[48:49]
	v_mul_f64 v[48:49], v[24:25], v[96:97]
	v_add_f64 v[72:73], v[52:53], v[72:73]
	v_mul_f64 v[52:53], v[22:23], v[96:97]
	v_fma_f64 v[48:49], v[22:23], v[94:95], -v[48:49]
	v_fma_f64 v[52:53], v[24:25], v[94:95], v[52:53]
	v_add_f64 v[110:111], v[62:63], v[48:49]
	v_mul_f64 v[48:49], v[24:25], v[36:37]
	v_add_f64 v[112:113], v[52:53], v[64:65]
	;; [unrolled: 6-line block ×3, first 2 shown]
	v_fma_f64 v[48:49], v[22:23], v[30:31], -v[48:49]
	v_mul_f64 v[22:23], v[22:23], v[32:33]
	v_add_f64 v[118:119], v[42:43], v[48:49]
	v_fma_f64 v[22:23], v[24:25], v[30:31], v[22:23]
	v_add_f64 v[120:121], v[22:23], v[46:47]
	ds_read_b128 v[22:25], v91 offset:2048
	s_waitcnt lgkmcnt(0)
	v_mul_f64 v[42:43], v[24:25], v[88:89]
	v_mul_f64 v[46:47], v[22:23], v[88:89]
	v_fma_f64 v[42:43], v[22:23], v[86:87], -v[42:43]
	v_fma_f64 v[46:47], v[24:25], v[86:87], v[46:47]
	v_add_f64 v[122:123], v[66:67], v[42:43]
	v_mul_f64 v[42:43], v[24:25], v[96:97]
	v_add_f64 v[124:125], v[46:47], v[68:69]
	v_mul_f64 v[46:47], v[22:23], v[96:97]
	v_fma_f64 v[42:43], v[22:23], v[94:95], -v[42:43]
	v_fma_f64 v[46:47], v[24:25], v[94:95], v[46:47]
	v_add_f64 v[126:127], v[56:57], v[42:43]
	v_mul_f64 v[42:43], v[24:25], v[36:37]
	v_add_f64 v[128:129], v[46:47], v[60:61]
	;; [unrolled: 6-line block ×3, first 2 shown]
	v_fma_f64 v[42:43], v[22:23], v[30:31], -v[42:43]
	v_mul_f64 v[22:23], v[22:23], v[32:33]
	v_add_f64 v[134:135], v[38:39], v[42:43]
	v_fma_f64 v[22:23], v[24:25], v[30:31], v[22:23]
	v_add_f64 v[136:137], v[22:23], v[40:41]
	ds_read_b128 v[22:25], v91 offset:3072
	s_waitcnt lgkmcnt(0)
	v_mul_f64 v[38:39], v[24:25], v[88:89]
	v_mul_f64 v[40:41], v[22:23], v[88:89]
	v_fma_f64 v[38:39], v[22:23], v[86:87], -v[38:39]
	v_fma_f64 v[40:41], v[24:25], v[86:87], v[40:41]
	v_add_f64 v[58:59], v[18:19], v[38:39]
	v_add_f64 v[60:61], v[40:41], v[20:21]
	v_mul_f64 v[18:19], v[24:25], v[96:97]
	v_mul_f64 v[20:21], v[22:23], v[96:97]
	v_fma_f64 v[18:19], v[22:23], v[94:95], -v[18:19]
	v_fma_f64 v[20:21], v[24:25], v[94:95], v[20:21]
	v_add_f64 v[54:55], v[14:15], v[18:19]
	v_add_f64 v[56:57], v[20:21], v[16:17]
	v_mul_f64 v[14:15], v[24:25], v[36:37]
	v_mul_f64 v[16:17], v[22:23], v[36:37]
	ds_read_b128 v[18:21], v90 offset:1280
	v_fma_f64 v[14:15], v[22:23], v[34:35], -v[14:15]
	v_fma_f64 v[16:17], v[24:25], v[34:35], v[16:17]
	v_add_f64 v[50:51], v[10:11], v[14:15]
	v_add_f64 v[52:53], v[16:17], v[12:13]
	v_mul_f64 v[10:11], v[24:25], v[32:33]
	v_mul_f64 v[12:13], v[22:23], v[32:33]
	ds_read_b128 v[14:17], v90 offset:1536
	v_fma_f64 v[10:11], v[22:23], v[30:31], -v[10:11]
	v_fma_f64 v[12:13], v[24:25], v[30:31], v[12:13]
	ds_read_b128 v[22:25], v90 offset:1024
	v_add_f64 v[46:47], v[74:75], v[10:11]
	v_add_f64 v[48:49], v[12:13], v[76:77]
	s_waitcnt lgkmcnt(0)
	v_mul_f64 v[10:11], v[84:85], v[24:25]
	v_mul_f64 v[12:13], v[82:83], v[24:25]
	ds_read_b128 v[74:77], v91 offset:1040
	v_fma_f64 v[10:11], v[82:83], v[22:23], -v[10:11]
	v_fma_f64 v[12:13], v[84:85], v[22:23], v[12:13]
	s_waitcnt lgkmcnt(0)
	v_mul_f64 v[62:63], v[76:77], v[24:25]
	v_mul_f64 v[64:65], v[74:75], v[24:25]
	;; [unrolled: 1-line block ×4, first 2 shown]
	v_add_f64 v[42:43], v[98:99], v[10:11]
	v_add_f64 v[44:45], v[12:13], v[100:101]
	v_mul_f64 v[10:11], v[84:85], v[20:21]
	v_mul_f64 v[12:13], v[82:83], v[20:21]
	v_fma_f64 v[62:63], v[74:75], v[22:23], -v[62:63]
	v_fma_f64 v[64:65], v[76:77], v[22:23], v[64:65]
	v_fma_f64 v[66:67], v[74:75], v[18:19], -v[66:67]
	v_fma_f64 v[68:69], v[76:77], v[18:19], v[68:69]
	;; [unrolled: 2-line block ×3, first 2 shown]
	v_add_f64 v[62:63], v[70:71], v[62:63]
	v_mul_f64 v[70:71], v[76:77], v[16:17]
	v_add_f64 v[64:65], v[64:65], v[72:73]
	v_mul_f64 v[72:73], v[74:75], v[16:17]
	v_add_f64 v[66:67], v[110:111], v[66:67]
	v_add_f64 v[68:69], v[68:69], v[112:113]
	;; [unrolled: 1-line block ×4, first 2 shown]
	v_mul_f64 v[10:11], v[84:85], v[16:17]
	v_mul_f64 v[12:13], v[82:83], v[16:17]
	v_fma_f64 v[70:71], v[74:75], v[14:15], -v[70:71]
	v_fma_f64 v[72:73], v[76:77], v[14:15], v[72:73]
	v_fma_f64 v[10:11], v[82:83], v[14:15], -v[10:11]
	v_fma_f64 v[12:13], v[84:85], v[14:15], v[12:13]
	v_add_f64 v[70:71], v[114:115], v[70:71]
	v_add_f64 v[72:73], v[72:73], v[116:117]
	;; [unrolled: 1-line block ×4, first 2 shown]
	ds_read_b128 v[10:13], v90 offset:1792
	s_waitcnt lgkmcnt(0)
	v_mul_f64 v[30:31], v[84:85], v[12:13]
	v_mul_f64 v[32:33], v[82:83], v[12:13]
	v_fma_f64 v[30:31], v[82:83], v[10:11], -v[30:31]
	v_fma_f64 v[32:33], v[84:85], v[10:11], v[32:33]
	v_add_f64 v[30:31], v[78:79], v[30:31]
	v_mul_f64 v[78:79], v[76:77], v[12:13]
	v_add_f64 v[32:33], v[32:33], v[80:81]
	v_fma_f64 v[78:79], v[74:75], v[10:11], -v[78:79]
	v_mul_f64 v[74:75], v[74:75], v[12:13]
	v_fma_f64 v[76:77], v[76:77], v[10:11], v[74:75]
	v_add_f64 v[74:75], v[118:119], v[78:79]
	ds_read_b128 v[78:81], v91 offset:2064
	s_waitcnt lgkmcnt(0)
	v_mul_f64 v[82:83], v[80:81], v[24:25]
	v_mul_f64 v[86:87], v[80:81], v[20:21]
	;; [unrolled: 1-line block ×7, first 2 shown]
	v_add_f64 v[76:77], v[76:77], v[120:121]
	v_fma_f64 v[82:83], v[78:79], v[22:23], -v[82:83]
	v_fma_f64 v[86:87], v[78:79], v[18:19], -v[86:87]
	;; [unrolled: 1-line block ×4, first 2 shown]
	v_mul_f64 v[78:79], v[78:79], v[12:13]
	v_fma_f64 v[84:85], v[80:81], v[22:23], v[84:85]
	v_fma_f64 v[88:89], v[80:81], v[18:19], v[88:89]
	;; [unrolled: 1-line block ×3, first 2 shown]
	v_add_f64 v[82:83], v[122:123], v[82:83]
	v_add_f64 v[86:87], v[126:127], v[86:87]
	v_add_f64 v[94:95], v[130:131], v[94:95]
	v_add_f64 v[98:99], v[134:135], v[98:99]
	v_fma_f64 v[78:79], v[80:81], v[10:11], v[78:79]
	v_add_f64 v[84:85], v[84:85], v[124:125]
	v_add_f64 v[88:89], v[88:89], v[128:129]
	v_add_f64 v[96:97], v[96:97], v[132:133]
	v_add_f64 v[100:101], v[78:79], v[136:137]
	ds_read_b128 v[78:81], v91 offset:3088
	s_waitcnt lgkmcnt(0)
	v_mul_f64 v[102:103], v[80:81], v[24:25]
	v_mul_f64 v[24:25], v[78:79], v[24:25]
	v_fma_f64 v[102:103], v[78:79], v[22:23], -v[102:103]
	v_fma_f64 v[22:23], v[80:81], v[22:23], v[24:25]
	v_add_f64 v[58:59], v[58:59], v[102:103]
	v_add_f64 v[60:61], v[22:23], v[60:61]
	v_mul_f64 v[22:23], v[80:81], v[20:21]
	v_mul_f64 v[20:21], v[78:79], v[20:21]
	v_fma_f64 v[22:23], v[78:79], v[18:19], -v[22:23]
	v_fma_f64 v[18:19], v[80:81], v[18:19], v[20:21]
	v_add_f64 v[54:55], v[54:55], v[22:23]
	v_add_f64 v[56:57], v[18:19], v[56:57]
	v_mul_f64 v[18:19], v[80:81], v[16:17]
	v_mul_f64 v[16:17], v[78:79], v[16:17]
	v_fma_f64 v[18:19], v[78:79], v[14:15], -v[18:19]
	v_fma_f64 v[14:15], v[80:81], v[14:15], v[16:17]
	v_add_f64 v[50:51], v[50:51], v[18:19]
	v_add_f64 v[52:53], v[14:15], v[52:53]
	v_mul_f64 v[14:15], v[80:81], v[12:13]
	v_mul_f64 v[12:13], v[78:79], v[12:13]
	v_fma_f64 v[14:15], v[78:79], v[10:11], -v[14:15]
	v_fma_f64 v[10:11], v[80:81], v[10:11], v[12:13]
	v_add_f64 v[46:47], v[46:47], v[14:15]
	v_add_f64 v[48:49], v[10:11], v[48:49]
	ds_read_b128 v[10:13], v90 offset:2048
	s_waitcnt lgkmcnt(0)
	v_mul_f64 v[14:15], v[8:9], v[12:13]
	v_mul_f64 v[16:17], v[6:7], v[12:13]
	v_fma_f64 v[14:15], v[6:7], v[10:11], -v[14:15]
	v_fma_f64 v[16:17], v[8:9], v[10:11], v[16:17]
	v_add_f64 v[42:43], v[42:43], v[14:15]
	v_add_f64 v[44:45], v[16:17], v[44:45]
	ds_read_b128 v[14:17], v90 offset:2304
	s_waitcnt lgkmcnt(0)
	v_mul_f64 v[18:19], v[8:9], v[16:17]
	v_mul_f64 v[20:21], v[6:7], v[16:17]
	v_fma_f64 v[18:19], v[6:7], v[14:15], -v[18:19]
	v_fma_f64 v[20:21], v[8:9], v[14:15], v[20:21]
	v_add_f64 v[38:39], v[38:39], v[18:19]
	v_add_f64 v[40:41], v[20:21], v[40:41]
	ds_read_b128 v[18:21], v90 offset:2560
	s_waitcnt lgkmcnt(0)
	v_mul_f64 v[22:23], v[8:9], v[20:21]
	v_mul_f64 v[24:25], v[6:7], v[20:21]
	v_fma_f64 v[22:23], v[6:7], v[18:19], -v[22:23]
	v_fma_f64 v[24:25], v[8:9], v[18:19], v[24:25]
	v_add_f64 v[102:103], v[34:35], v[22:23]
	v_add_f64 v[104:105], v[24:25], v[36:37]
	ds_read_b128 v[22:25], v90 offset:2816
	s_waitcnt lgkmcnt(0)
	v_mul_f64 v[34:35], v[8:9], v[24:25]
	v_fma_f64 v[34:35], v[6:7], v[22:23], -v[34:35]
	v_mul_f64 v[6:7], v[6:7], v[24:25]
	v_add_f64 v[106:107], v[30:31], v[34:35]
	v_fma_f64 v[6:7], v[8:9], v[22:23], v[6:7]
	v_add_f64 v[108:109], v[6:7], v[32:33]
	ds_read_b128 v[6:9], v91 offset:1056
	s_waitcnt lgkmcnt(0)
	v_mul_f64 v[30:31], v[8:9], v[12:13]
	v_mul_f64 v[32:33], v[6:7], v[12:13]
	v_fma_f64 v[30:31], v[6:7], v[10:11], -v[30:31]
	v_fma_f64 v[32:33], v[8:9], v[10:11], v[32:33]
	v_add_f64 v[62:63], v[62:63], v[30:31]
	v_mul_f64 v[30:31], v[8:9], v[16:17]
	v_add_f64 v[64:65], v[32:33], v[64:65]
	v_mul_f64 v[32:33], v[6:7], v[16:17]
	v_fma_f64 v[30:31], v[6:7], v[14:15], -v[30:31]
	v_fma_f64 v[32:33], v[8:9], v[14:15], v[32:33]
	v_add_f64 v[66:67], v[66:67], v[30:31]
	v_mul_f64 v[30:31], v[8:9], v[20:21]
	v_add_f64 v[68:69], v[32:33], v[68:69]
	;; [unrolled: 6-line block ×3, first 2 shown]
	v_fma_f64 v[30:31], v[6:7], v[22:23], -v[30:31]
	v_mul_f64 v[6:7], v[6:7], v[24:25]
	v_add_f64 v[114:115], v[74:75], v[30:31]
	v_fma_f64 v[6:7], v[8:9], v[22:23], v[6:7]
	v_add_f64 v[116:117], v[6:7], v[76:77]
	ds_read_b128 v[6:9], v91 offset:2080
	s_waitcnt lgkmcnt(0)
	v_mul_f64 v[30:31], v[8:9], v[12:13]
	v_mul_f64 v[32:33], v[6:7], v[12:13]
	v_fma_f64 v[30:31], v[6:7], v[10:11], -v[30:31]
	v_fma_f64 v[32:33], v[8:9], v[10:11], v[32:33]
	v_add_f64 v[118:119], v[82:83], v[30:31]
	v_mul_f64 v[30:31], v[8:9], v[16:17]
	v_add_f64 v[120:121], v[32:33], v[84:85]
	v_mul_f64 v[32:33], v[6:7], v[16:17]
	v_fma_f64 v[30:31], v[6:7], v[14:15], -v[30:31]
	v_fma_f64 v[32:33], v[8:9], v[14:15], v[32:33]
	v_add_f64 v[122:123], v[86:87], v[30:31]
	v_mul_f64 v[30:31], v[8:9], v[20:21]
	v_add_f64 v[124:125], v[32:33], v[88:89]
	;; [unrolled: 6-line block ×3, first 2 shown]
	v_fma_f64 v[30:31], v[6:7], v[22:23], -v[30:31]
	v_mul_f64 v[6:7], v[6:7], v[24:25]
	v_add_f64 v[98:99], v[98:99], v[30:31]
	v_fma_f64 v[6:7], v[8:9], v[22:23], v[6:7]
	v_add_f64 v[100:101], v[6:7], v[100:101]
	ds_read_b128 v[6:9], v91 offset:3104
	s_waitcnt lgkmcnt(0)
	v_mul_f64 v[30:31], v[8:9], v[12:13]
	v_mul_f64 v[12:13], v[6:7], v[12:13]
	v_fma_f64 v[30:31], v[6:7], v[10:11], -v[30:31]
	v_fma_f64 v[10:11], v[8:9], v[10:11], v[12:13]
	v_mul_f64 v[12:13], v[6:7], v[16:17]
	v_add_f64 v[86:87], v[58:59], v[30:31]
	v_add_f64 v[88:89], v[10:11], v[60:61]
	v_mul_f64 v[10:11], v[8:9], v[16:17]
	v_fma_f64 v[12:13], v[8:9], v[14:15], v[12:13]
	v_fma_f64 v[10:11], v[6:7], v[14:15], -v[10:11]
	v_add_f64 v[84:85], v[12:13], v[56:57]
	v_mul_f64 v[12:13], v[6:7], v[20:21]
	ds_read_b128 v[14:17], v90 offset:3328
	v_add_f64 v[82:83], v[54:55], v[10:11]
	v_mul_f64 v[10:11], v[8:9], v[20:21]
	v_fma_f64 v[12:13], v[8:9], v[18:19], v[12:13]
	v_fma_f64 v[10:11], v[6:7], v[18:19], -v[10:11]
	ds_read_b128 v[18:21], v90 offset:3072
	v_add_f64 v[80:81], v[12:13], v[52:53]
	v_add_f64 v[78:79], v[50:51], v[10:11]
	v_mul_f64 v[10:11], v[8:9], v[24:25]
	v_fma_f64 v[10:11], v[6:7], v[22:23], -v[10:11]
	v_mul_f64 v[6:7], v[6:7], v[24:25]
	v_add_f64 v[74:75], v[46:47], v[10:11]
	v_fma_f64 v[6:7], v[8:9], v[22:23], v[6:7]
	s_waitcnt lgkmcnt(0)
	v_mul_f64 v[8:9], v[2:3], v[20:21]
	ds_read_b128 v[10:13], v90 offset:3584
	v_add_f64 v[76:77], v[6:7], v[48:49]
	v_mul_f64 v[6:7], v[4:5], v[20:21]
	v_fma_f64 v[8:9], v[4:5], v[18:19], v[8:9]
	v_fma_f64 v[6:7], v[2:3], v[18:19], -v[6:7]
	v_add_f64 v[52:53], v[8:9], v[44:45]
	v_mul_f64 v[8:9], v[2:3], v[16:17]
	v_add_f64 v[48:49], v[42:43], v[6:7]
	v_mul_f64 v[6:7], v[4:5], v[16:17]
	v_fma_f64 v[8:9], v[4:5], v[14:15], v[8:9]
	v_fma_f64 v[6:7], v[2:3], v[14:15], -v[6:7]
	v_add_f64 v[36:37], v[8:9], v[40:41]
	s_waitcnt lgkmcnt(0)
	v_mul_f64 v[8:9], v[2:3], v[12:13]
	v_add_f64 v[34:35], v[38:39], v[6:7]
	v_mul_f64 v[6:7], v[4:5], v[12:13]
	v_fma_f64 v[8:9], v[4:5], v[10:11], v[8:9]
	v_fma_f64 v[6:7], v[2:3], v[10:11], -v[6:7]
	v_add_f64 v[32:33], v[8:9], v[104:105]
	v_add_f64 v[30:31], v[102:103], v[6:7]
	ds_read_b128 v[6:9], v90 offset:3840
	s_waitcnt lgkmcnt(0)
	v_mul_f64 v[22:23], v[4:5], v[8:9]
	v_fma_f64 v[22:23], v[2:3], v[6:7], -v[22:23]
	v_mul_f64 v[2:3], v[2:3], v[8:9]
	v_add_f64 v[22:23], v[106:107], v[22:23]
	v_fma_f64 v[2:3], v[4:5], v[6:7], v[2:3]
	v_add_f64 v[24:25], v[2:3], v[108:109]
	ds_read_b128 v[2:5], v91 offset:1072
	s_waitcnt lgkmcnt(0)
	v_mul_f64 v[38:39], v[4:5], v[20:21]
	v_mul_f64 v[40:41], v[2:3], v[20:21]
	v_fma_f64 v[38:39], v[2:3], v[18:19], -v[38:39]
	v_fma_f64 v[40:41], v[4:5], v[18:19], v[40:41]
	v_add_f64 v[70:71], v[62:63], v[38:39]
	v_mul_f64 v[38:39], v[4:5], v[16:17]
	v_add_f64 v[72:73], v[40:41], v[64:65]
	v_mul_f64 v[40:41], v[2:3], v[16:17]
	v_fma_f64 v[38:39], v[2:3], v[14:15], -v[38:39]
	v_fma_f64 v[40:41], v[4:5], v[14:15], v[40:41]
	v_add_f64 v[62:63], v[66:67], v[38:39]
	v_mul_f64 v[38:39], v[4:5], v[12:13]
	v_add_f64 v[64:65], v[40:41], v[68:69]
	;; [unrolled: 6-line block ×3, first 2 shown]
	v_fma_f64 v[38:39], v[2:3], v[6:7], -v[38:39]
	v_mul_f64 v[2:3], v[2:3], v[8:9]
	v_add_f64 v[42:43], v[114:115], v[38:39]
	v_fma_f64 v[2:3], v[4:5], v[6:7], v[2:3]
	v_add_f64 v[46:47], v[2:3], v[116:117]
	ds_read_b128 v[2:5], v91 offset:2096
	s_waitcnt lgkmcnt(0)
	v_mul_f64 v[38:39], v[4:5], v[20:21]
	v_mul_f64 v[40:41], v[2:3], v[20:21]
	v_fma_f64 v[38:39], v[2:3], v[18:19], -v[38:39]
	v_fma_f64 v[40:41], v[4:5], v[18:19], v[40:41]
	v_add_f64 v[66:67], v[118:119], v[38:39]
	v_mul_f64 v[38:39], v[4:5], v[16:17]
	v_add_f64 v[68:69], v[40:41], v[120:121]
	v_mul_f64 v[40:41], v[2:3], v[16:17]
	v_fma_f64 v[38:39], v[2:3], v[14:15], -v[38:39]
	v_fma_f64 v[40:41], v[4:5], v[14:15], v[40:41]
	v_add_f64 v[56:57], v[122:123], v[38:39]
	v_mul_f64 v[38:39], v[4:5], v[12:13]
	v_add_f64 v[60:61], v[40:41], v[124:125]
	;; [unrolled: 6-line block ×3, first 2 shown]
	v_fma_f64 v[38:39], v[2:3], v[6:7], -v[38:39]
	v_mul_f64 v[2:3], v[2:3], v[8:9]
	v_add_f64 v[38:39], v[98:99], v[38:39]
	v_fma_f64 v[2:3], v[4:5], v[6:7], v[2:3]
	v_add_f64 v[40:41], v[2:3], v[100:101]
	ds_read_b128 v[2:5], v91 offset:3120
	s_waitcnt lgkmcnt(0)
	s_barrier
	buffer_gl0_inv
	v_mul_f64 v[94:95], v[4:5], v[20:21]
	v_mul_f64 v[20:21], v[2:3], v[20:21]
	v_fma_f64 v[94:95], v[2:3], v[18:19], -v[94:95]
	v_fma_f64 v[20:21], v[4:5], v[18:19], v[20:21]
	v_add_f64 v[18:19], v[86:87], v[94:95]
	v_mul_f64 v[86:87], v[4:5], v[16:17]
	v_mul_f64 v[16:17], v[2:3], v[16:17]
	v_add_f64 v[20:21], v[20:21], v[88:89]
	v_fma_f64 v[86:87], v[2:3], v[14:15], -v[86:87]
	v_fma_f64 v[16:17], v[4:5], v[14:15], v[16:17]
	v_add_f64 v[14:15], v[82:83], v[86:87]
	v_mul_f64 v[82:83], v[4:5], v[12:13]
	v_mul_f64 v[12:13], v[2:3], v[12:13]
	v_add_f64 v[16:17], v[16:17], v[84:85]
	v_fma_f64 v[82:83], v[2:3], v[10:11], -v[82:83]
	v_fma_f64 v[12:13], v[4:5], v[10:11], v[12:13]
	v_add_f64 v[10:11], v[78:79], v[82:83]
	v_mul_f64 v[78:79], v[4:5], v[8:9]
	v_add_f64 v[12:13], v[12:13], v[80:81]
	v_fma_f64 v[78:79], v[2:3], v[6:7], -v[78:79]
	v_mul_f64 v[2:3], v[2:3], v[8:9]
	v_add_f64 v[74:75], v[74:75], v[78:79]
	v_fma_f64 v[2:3], v[4:5], v[6:7], v[2:3]
	v_add_f64 v[76:77], v[2:3], v[76:77]
	s_cbranch_vccnz .LBB125_2
	s_branch .LBB125_4
.LBB125_3:
	v_mov_b32_e32 v48, 0
	v_mov_b32_e32 v52, 0
	;; [unrolled: 1-line block ×64, first 2 shown]
.LBB125_4:
	s_load_dwordx2 s[4:5], s[4:5], 0x90
	v_cmp_neq_f64_e64 s6, s[38:39], 0
	v_cmp_neq_f64_e64 s7, s[40:41], 0
	v_add_co_u32 v6, s2, s2, v1
	v_add_co_u32 v0, s0, s0, v0
	v_add_co_ci_u32_e64 v7, null, s3, 0, s2
	v_add_co_ci_u32_e64 v1, null, s1, 0, s0
	s_waitcnt lgkmcnt(0)
	s_mul_i32 s5, s5, s8
	s_mul_hi_u32 s9, s4, s8
	s_mul_i32 s4, s4, s8
	s_add_i32 s5, s9, s5
	s_lshl_b64 s[4:5], s[4:5], 4
	s_add_u32 s2, s48, s4
	s_addc_u32 s3, s49, s5
	s_or_b32 s4, s6, s7
	s_and_b32 vcc_lo, exec_lo, s4
	s_cbranch_vccnz .LBB125_6
; %bb.5:
	v_mul_f64 v[4:5], s[16:17], v[52:53]
	v_mul_f64 v[8:9], s[14:15], v[52:53]
	v_mul_lo_u32 v78, v7, s50
	v_mul_lo_u32 v79, v6, s51
	v_mad_u64_u32 v[2:3], null, v6, s50, 0
	v_mul_f64 v[26:27], s[16:17], v[36:37]
	v_mul_f64 v[28:29], s[14:15], v[36:37]
	;; [unrolled: 1-line block ×6, first 2 shown]
	v_add3_u32 v3, v3, v79, v78
	v_mul_f64 v[78:79], s[16:17], v[32:33]
	v_mul_f64 v[88:89], s[14:15], v[72:73]
	;; [unrolled: 1-line block ×4, first 2 shown]
	v_lshlrev_b64 v[2:3], 4, v[2:3]
	v_mul_f64 v[94:95], s[16:17], v[58:59]
	v_mul_f64 v[96:97], s[14:15], v[58:59]
	v_mul_f64 v[98:99], s[16:17], v[46:47]
	v_mul_f64 v[100:101], s[14:15], v[46:47]
	s_lshl_b64 s[0:1], s[50:51], 8
	v_add_co_u32 v104, vcc_lo, s2, v2
	v_add_co_ci_u32_e64 v105, null, s3, v3, vcc_lo
	v_fma_f64 v[2:3], s[14:15], v[48:49], -v[4:5]
	v_fma_f64 v[4:5], s[16:17], v[48:49], v[8:9]
	v_lshlrev_b64 v[8:9], 4, v[0:1]
	v_fma_f64 v[26:27], s[14:15], v[34:35], -v[26:27]
	v_fma_f64 v[28:29], s[16:17], v[34:35], v[28:29]
	v_fma_f64 v[80:81], s[16:17], v[30:31], v[80:81]
	v_fma_f64 v[82:83], s[14:15], v[22:23], -v[82:83]
	v_fma_f64 v[84:85], s[16:17], v[22:23], v[84:85]
	v_add_co_u32 v102, vcc_lo, v104, v8
	v_fma_f64 v[78:79], s[14:15], v[30:31], -v[78:79]
	v_add_co_ci_u32_e64 v103, null, v105, v9, vcc_lo
	v_fma_f64 v[86:87], s[14:15], v[70:71], -v[86:87]
	v_fma_f64 v[88:89], s[16:17], v[70:71], v[88:89]
	v_fma_f64 v[90:91], s[14:15], v[62:63], -v[90:91]
	v_fma_f64 v[92:93], s[16:17], v[62:63], v[92:93]
	;; [unrolled: 2-line block ×3, first 2 shown]
	v_add_co_u32 v106, vcc_lo, v104, s0
	v_add_co_ci_u32_e64 v107, null, s1, v105, vcc_lo
	global_store_dwordx4 v[102:103], v[2:5], off
	v_fma_f64 v[2:3], s[14:15], v[42:43], -v[98:99]
	v_fma_f64 v[4:5], s[16:17], v[42:43], v[100:101]
	v_add_co_u32 v104, vcc_lo, v106, v8
	v_add_co_ci_u32_e64 v105, null, v107, v9, vcc_lo
	global_store_dwordx4 v[102:103], v[26:29], off offset:256
	global_store_dwordx4 v[102:103], v[78:81], off offset:512
	;; [unrolled: 1-line block ×3, first 2 shown]
	global_store_dwordx4 v[104:105], v[86:89], off
	global_store_dwordx4 v[104:105], v[90:93], off offset:256
	global_store_dwordx4 v[104:105], v[94:97], off offset:512
	v_mul_f64 v[26:27], s[16:17], v[68:69]
	v_mul_f64 v[28:29], s[14:15], v[68:69]
	v_mul_f64 v[78:79], s[16:17], v[60:61]
	v_mul_f64 v[80:81], s[14:15], v[60:61]
	v_mul_f64 v[82:83], s[16:17], v[50:51]
	v_mul_f64 v[84:85], s[14:15], v[50:51]
	v_mul_f64 v[86:87], s[16:17], v[40:41]
	v_mul_f64 v[88:89], s[14:15], v[40:41]
	v_mul_f64 v[90:91], s[16:17], v[20:21]
	v_mul_f64 v[92:93], s[14:15], v[20:21]
	v_mul_f64 v[94:95], s[16:17], v[16:17]
	v_mul_f64 v[96:97], s[14:15], v[16:17]
	global_store_dwordx4 v[104:105], v[2:5], off offset:768
	v_mul_f64 v[2:3], s[16:17], v[76:77]
	v_mul_f64 v[4:5], s[14:15], v[76:77]
	;; [unrolled: 1-line block ×4, first 2 shown]
	v_add_co_u32 v104, vcc_lo, v106, s0
	v_add_co_ci_u32_e64 v105, null, s1, v107, vcc_lo
	v_fma_f64 v[26:27], s[14:15], v[66:67], -v[26:27]
	v_fma_f64 v[28:29], s[16:17], v[66:67], v[28:29]
	v_fma_f64 v[78:79], s[14:15], v[56:57], -v[78:79]
	v_fma_f64 v[80:81], s[16:17], v[56:57], v[80:81]
	;; [unrolled: 2-line block ×6, first 2 shown]
	v_add_co_u32 v106, vcc_lo, v104, s0
	v_fma_f64 v[102:103], s[14:15], v[74:75], -v[2:3]
	v_fma_f64 v[2:3], s[16:17], v[74:75], v[4:5]
	v_fma_f64 v[98:99], s[14:15], v[10:11], -v[98:99]
	v_fma_f64 v[100:101], s[16:17], v[10:11], v[100:101]
	v_add_co_ci_u32_e64 v107, null, s1, v105, vcc_lo
	v_add_co_u32 v4, vcc_lo, v104, v8
	v_add_co_ci_u32_e64 v5, null, v105, v9, vcc_lo
	v_add_co_u32 v8, vcc_lo, v106, v8
	v_add_co_ci_u32_e64 v9, null, v107, v9, vcc_lo
	global_store_dwordx4 v[4:5], v[26:29], off
	global_store_dwordx4 v[4:5], v[78:81], off offset:256
	global_store_dwordx4 v[4:5], v[82:85], off offset:512
	;; [unrolled: 1-line block ×3, first 2 shown]
	global_store_dwordx4 v[8:9], v[90:93], off
	v_add_co_u32 v4, vcc_lo, 0x300, v8
	v_add_co_ci_u32_e64 v5, null, 0, v9, vcc_lo
	global_store_dwordx4 v[8:9], v[94:97], off offset:256
	global_store_dwordx4 v[8:9], v[98:101], off offset:512
	global_store_dwordx2 v[8:9], v[102:103], off offset:768
	s_cbranch_execz .LBB125_7
	s_branch .LBB125_8
.LBB125_6:
                                        ; implicit-def: $vgpr2_vgpr3
                                        ; implicit-def: $vgpr4_vgpr5
.LBB125_7:
	v_mul_lo_u32 v4, v7, s44
	v_mul_lo_u32 v5, v6, s45
	v_mad_u64_u32 v[2:3], null, v6, s44, 0
	s_mul_i32 s1, s47, s8
	s_mul_hi_u32 s4, s46, s8
	s_mul_i32 s0, s46, s8
	s_add_i32 s1, s4, s1
	v_mul_f64 v[26:27], s[16:17], v[52:53]
	s_lshl_b64 s[0:1], s[0:1], 4
	v_add3_u32 v3, v3, v5, v4
	s_add_u32 s0, s42, s0
	v_lshlrev_b64 v[4:5], 4, v[0:1]
	s_addc_u32 s1, s43, s1
	v_mul_f64 v[28:29], s[14:15], v[52:53]
	v_lshlrev_b64 v[2:3], 4, v[2:3]
	v_add_co_u32 v78, vcc_lo, s0, v2
	v_add_co_ci_u32_e64 v79, null, s1, v3, vcc_lo
	s_lshl_b64 s[0:1], s[44:45], 8
	v_add_co_u32 v8, vcc_lo, v78, v4
	v_add_co_ci_u32_e64 v9, null, v79, v5, vcc_lo
	v_fma_f64 v[26:27], s[14:15], v[48:49], -v[26:27]
	global_load_dwordx4 v[0:3], v[8:9], off
	v_fma_f64 v[28:29], s[16:17], v[48:49], v[28:29]
	s_waitcnt vmcnt(0)
	v_mul_f64 v[52:53], s[40:41], v[2:3]
	v_mul_f64 v[2:3], s[38:39], v[2:3]
	v_fma_f64 v[48:49], s[38:39], v[0:1], -v[52:53]
	v_fma_f64 v[2:3], s[40:41], v[0:1], v[2:3]
	v_mul_lo_u32 v0, v7, s50
	v_mul_lo_u32 v1, v6, s51
	v_mad_u64_u32 v[6:7], null, v6, s50, 0
	v_add3_u32 v7, v7, v1, v0
	v_lshlrev_b64 v[6:7], 4, v[6:7]
	v_add_f64 v[0:1], v[26:27], v[48:49]
	v_add_f64 v[2:3], v[28:29], v[2:3]
	v_add_co_u32 v48, vcc_lo, s2, v6
	v_add_co_ci_u32_e64 v49, null, s3, v7, vcc_lo
	v_mul_f64 v[26:27], s[16:17], v[36:37]
	v_add_co_u32 v6, vcc_lo, v48, v4
	v_add_co_ci_u32_e64 v7, null, v49, v5, vcc_lo
	v_mul_f64 v[28:29], s[14:15], v[36:37]
	s_lshl_b64 s[2:3], s[50:51], 8
	global_store_dwordx4 v[6:7], v[0:3], off
	global_load_dwordx4 v[0:3], v[8:9], off offset:256
	v_fma_f64 v[26:27], s[14:15], v[34:35], -v[26:27]
	v_fma_f64 v[28:29], s[16:17], v[34:35], v[28:29]
	s_waitcnt vmcnt(0)
	v_mul_f64 v[36:37], s[40:41], v[2:3]
	v_mul_f64 v[2:3], s[38:39], v[2:3]
	v_fma_f64 v[34:35], s[38:39], v[0:1], -v[36:37]
	v_fma_f64 v[2:3], s[40:41], v[0:1], v[2:3]
	v_add_f64 v[0:1], v[26:27], v[34:35]
	v_add_f64 v[2:3], v[28:29], v[2:3]
	v_mul_f64 v[26:27], s[16:17], v[32:33]
	v_mul_f64 v[28:29], s[14:15], v[32:33]
	global_store_dwordx4 v[6:7], v[0:3], off offset:256
	global_load_dwordx4 v[0:3], v[8:9], off offset:512
	v_fma_f64 v[26:27], s[14:15], v[30:31], -v[26:27]
	v_fma_f64 v[28:29], s[16:17], v[30:31], v[28:29]
	s_waitcnt vmcnt(0)
	v_mul_f64 v[32:33], s[40:41], v[2:3]
	v_mul_f64 v[2:3], s[38:39], v[2:3]
	v_fma_f64 v[30:31], s[38:39], v[0:1], -v[32:33]
	v_fma_f64 v[2:3], s[40:41], v[0:1], v[2:3]
	v_add_f64 v[0:1], v[26:27], v[30:31]
	v_add_f64 v[2:3], v[28:29], v[2:3]
	v_add_co_u32 v28, vcc_lo, v78, s0
	v_add_co_ci_u32_e64 v29, null, s1, v79, vcc_lo
	global_store_dwordx4 v[6:7], v[0:3], off offset:512
	global_load_dwordx4 v[0:3], v[8:9], off offset:768
	v_mul_f64 v[8:9], s[16:17], v[24:25]
	v_mul_f64 v[24:25], s[14:15], v[24:25]
	v_fma_f64 v[8:9], s[14:15], v[22:23], -v[8:9]
	v_fma_f64 v[22:23], s[16:17], v[22:23], v[24:25]
	s_waitcnt vmcnt(0)
	v_mul_f64 v[26:27], s[40:41], v[2:3]
	v_mul_f64 v[2:3], s[38:39], v[2:3]
	v_fma_f64 v[24:25], s[38:39], v[0:1], -v[26:27]
	v_fma_f64 v[2:3], s[40:41], v[0:1], v[2:3]
	v_add_f64 v[0:1], v[8:9], v[24:25]
	v_add_f64 v[2:3], v[22:23], v[2:3]
	v_add_co_u32 v8, vcc_lo, v28, v4
	v_add_co_ci_u32_e64 v9, null, v29, v5, vcc_lo
	v_mul_f64 v[22:23], s[14:15], v[72:73]
	v_add_co_u32 v30, vcc_lo, v48, s2
	v_add_co_ci_u32_e64 v31, null, s3, v49, vcc_lo
	global_store_dwordx4 v[6:7], v[0:3], off offset:768
	global_load_dwordx4 v[0:3], v[8:9], off
	v_mul_f64 v[6:7], s[16:17], v[72:73]
	v_fma_f64 v[22:23], s[16:17], v[70:71], v[22:23]
	v_fma_f64 v[6:7], s[14:15], v[70:71], -v[6:7]
	s_waitcnt vmcnt(0)
	v_mul_f64 v[24:25], s[40:41], v[2:3]
	v_mul_f64 v[2:3], s[38:39], v[2:3]
	v_fma_f64 v[24:25], s[38:39], v[0:1], -v[24:25]
	v_fma_f64 v[2:3], s[40:41], v[0:1], v[2:3]
	v_add_f64 v[0:1], v[6:7], v[24:25]
	v_add_f64 v[2:3], v[22:23], v[2:3]
	v_add_co_u32 v6, vcc_lo, v30, v4
	v_add_co_ci_u32_e64 v7, null, v31, v5, vcc_lo
	v_mul_f64 v[22:23], s[16:17], v[64:65]
	v_mul_f64 v[24:25], s[14:15], v[64:65]
	v_add_co_u32 v28, vcc_lo, v28, s0
	v_add_co_ci_u32_e64 v29, null, s1, v29, vcc_lo
	global_store_dwordx4 v[6:7], v[0:3], off
	global_load_dwordx4 v[0:3], v[8:9], off offset:256
	v_fma_f64 v[22:23], s[14:15], v[62:63], -v[22:23]
	v_fma_f64 v[24:25], s[16:17], v[62:63], v[24:25]
	s_waitcnt vmcnt(0)
	v_mul_f64 v[26:27], s[40:41], v[2:3]
	v_mul_f64 v[2:3], s[38:39], v[2:3]
	v_fma_f64 v[26:27], s[38:39], v[0:1], -v[26:27]
	v_fma_f64 v[2:3], s[40:41], v[0:1], v[2:3]
	v_add_f64 v[0:1], v[22:23], v[26:27]
	v_add_f64 v[2:3], v[24:25], v[2:3]
	v_mul_f64 v[22:23], s[16:17], v[58:59]
	v_mul_f64 v[24:25], s[14:15], v[58:59]
	global_store_dwordx4 v[6:7], v[0:3], off offset:256
	global_load_dwordx4 v[0:3], v[8:9], off offset:512
	v_fma_f64 v[22:23], s[14:15], v[54:55], -v[22:23]
	v_fma_f64 v[24:25], s[16:17], v[54:55], v[24:25]
	s_waitcnt vmcnt(0)
	v_mul_f64 v[26:27], s[40:41], v[2:3]
	v_mul_f64 v[2:3], s[38:39], v[2:3]
	v_fma_f64 v[26:27], s[38:39], v[0:1], -v[26:27]
	v_fma_f64 v[2:3], s[40:41], v[0:1], v[2:3]
	v_add_f64 v[0:1], v[22:23], v[26:27]
	v_add_f64 v[2:3], v[24:25], v[2:3]
	v_mul_f64 v[22:23], s[14:15], v[46:47]
	global_store_dwordx4 v[6:7], v[0:3], off offset:512
	global_load_dwordx4 v[0:3], v[8:9], off offset:768
	v_mul_f64 v[8:9], s[16:17], v[46:47]
	v_fma_f64 v[22:23], s[16:17], v[42:43], v[22:23]
	v_fma_f64 v[8:9], s[14:15], v[42:43], -v[8:9]
	s_waitcnt vmcnt(0)
	v_mul_f64 v[24:25], s[40:41], v[2:3]
	v_mul_f64 v[2:3], s[38:39], v[2:3]
	v_fma_f64 v[24:25], s[38:39], v[0:1], -v[24:25]
	v_fma_f64 v[2:3], s[40:41], v[0:1], v[2:3]
	v_add_f64 v[0:1], v[8:9], v[24:25]
	v_add_f64 v[2:3], v[22:23], v[2:3]
	v_add_co_u32 v8, vcc_lo, v28, v4
	v_add_co_ci_u32_e64 v9, null, v29, v5, vcc_lo
	v_mul_f64 v[22:23], s[14:15], v[68:69]
	v_add_co_u32 v30, vcc_lo, v30, s2
	v_add_co_ci_u32_e64 v31, null, s3, v31, vcc_lo
	global_store_dwordx4 v[6:7], v[0:3], off offset:768
	global_load_dwordx4 v[0:3], v[8:9], off
	v_mul_f64 v[6:7], s[16:17], v[68:69]
	v_fma_f64 v[22:23], s[16:17], v[66:67], v[22:23]
	v_fma_f64 v[6:7], s[14:15], v[66:67], -v[6:7]
	s_waitcnt vmcnt(0)
	v_mul_f64 v[24:25], s[40:41], v[2:3]
	v_mul_f64 v[2:3], s[38:39], v[2:3]
	v_fma_f64 v[24:25], s[38:39], v[0:1], -v[24:25]
	v_fma_f64 v[2:3], s[40:41], v[0:1], v[2:3]
	v_add_f64 v[0:1], v[6:7], v[24:25]
	v_add_f64 v[2:3], v[22:23], v[2:3]
	v_add_co_u32 v6, vcc_lo, v30, v4
	v_add_co_ci_u32_e64 v7, null, v31, v5, vcc_lo
	v_mul_f64 v[22:23], s[16:17], v[60:61]
	v_mul_f64 v[24:25], s[14:15], v[60:61]
	global_store_dwordx4 v[6:7], v[0:3], off
	global_load_dwordx4 v[0:3], v[8:9], off offset:256
	v_fma_f64 v[22:23], s[14:15], v[56:57], -v[22:23]
	v_fma_f64 v[24:25], s[16:17], v[56:57], v[24:25]
	s_waitcnt vmcnt(0)
	v_mul_f64 v[26:27], s[40:41], v[2:3]
	v_mul_f64 v[2:3], s[38:39], v[2:3]
	v_fma_f64 v[26:27], s[38:39], v[0:1], -v[26:27]
	v_fma_f64 v[2:3], s[40:41], v[0:1], v[2:3]
	v_add_f64 v[0:1], v[22:23], v[26:27]
	v_add_f64 v[2:3], v[24:25], v[2:3]
	v_mul_f64 v[22:23], s[16:17], v[50:51]
	v_mul_f64 v[24:25], s[14:15], v[50:51]
	global_store_dwordx4 v[6:7], v[0:3], off offset:256
	global_load_dwordx4 v[0:3], v[8:9], off offset:512
	v_fma_f64 v[22:23], s[14:15], v[44:45], -v[22:23]
	v_fma_f64 v[24:25], s[16:17], v[44:45], v[24:25]
	s_waitcnt vmcnt(0)
	v_mul_f64 v[26:27], s[40:41], v[2:3]
	v_mul_f64 v[2:3], s[38:39], v[2:3]
	v_fma_f64 v[26:27], s[38:39], v[0:1], -v[26:27]
	v_fma_f64 v[2:3], s[40:41], v[0:1], v[2:3]
	v_add_f64 v[0:1], v[22:23], v[26:27]
	v_add_f64 v[2:3], v[24:25], v[2:3]
	v_mul_f64 v[22:23], s[14:15], v[40:41]
	global_store_dwordx4 v[6:7], v[0:3], off offset:512
	global_load_dwordx4 v[0:3], v[8:9], off offset:768
	v_mul_f64 v[8:9], s[16:17], v[40:41]
	v_fma_f64 v[22:23], s[16:17], v[38:39], v[22:23]
	v_fma_f64 v[8:9], s[14:15], v[38:39], -v[8:9]
	s_waitcnt vmcnt(0)
	v_mul_f64 v[24:25], s[40:41], v[2:3]
	v_mul_f64 v[2:3], s[38:39], v[2:3]
	v_fma_f64 v[24:25], s[38:39], v[0:1], -v[24:25]
	v_fma_f64 v[2:3], s[40:41], v[0:1], v[2:3]
	v_add_f64 v[0:1], v[8:9], v[24:25]
	v_add_f64 v[2:3], v[22:23], v[2:3]
	v_add_co_u32 v8, vcc_lo, v28, s0
	v_add_co_ci_u32_e64 v9, null, s1, v29, vcc_lo
	v_add_co_u32 v8, vcc_lo, v8, v4
	v_add_co_ci_u32_e64 v9, null, v9, v5, vcc_lo
	global_store_dwordx4 v[6:7], v[0:3], off offset:768
	global_load_dwordx4 v[0:3], v[8:9], off
	v_mul_f64 v[6:7], s[16:17], v[20:21]
	v_mul_f64 v[20:21], s[14:15], v[20:21]
	v_fma_f64 v[6:7], s[14:15], v[18:19], -v[6:7]
	v_fma_f64 v[18:19], s[16:17], v[18:19], v[20:21]
	s_waitcnt vmcnt(0)
	v_mul_f64 v[22:23], s[40:41], v[2:3]
	v_mul_f64 v[2:3], s[38:39], v[2:3]
	v_fma_f64 v[20:21], s[38:39], v[0:1], -v[22:23]
	v_fma_f64 v[2:3], s[40:41], v[0:1], v[2:3]
	v_add_f64 v[0:1], v[6:7], v[20:21]
	v_add_f64 v[2:3], v[18:19], v[2:3]
	v_add_co_u32 v6, vcc_lo, v30, s2
	v_add_co_ci_u32_e64 v7, null, s3, v31, vcc_lo
	v_add_co_u32 v6, vcc_lo, v6, v4
	v_add_co_ci_u32_e64 v7, null, v7, v5, vcc_lo
	v_mul_f64 v[4:5], s[16:17], v[16:17]
	v_mul_f64 v[16:17], s[14:15], v[16:17]
	global_store_dwordx4 v[6:7], v[0:3], off
	global_load_dwordx4 v[0:3], v[8:9], off offset:256
	v_fma_f64 v[4:5], s[14:15], v[14:15], -v[4:5]
	v_fma_f64 v[14:15], s[16:17], v[14:15], v[16:17]
	s_waitcnt vmcnt(0)
	v_mul_f64 v[18:19], s[40:41], v[2:3]
	v_mul_f64 v[2:3], s[38:39], v[2:3]
	v_fma_f64 v[16:17], s[38:39], v[0:1], -v[18:19]
	v_fma_f64 v[2:3], s[40:41], v[0:1], v[2:3]
	v_add_f64 v[0:1], v[4:5], v[16:17]
	v_add_f64 v[2:3], v[14:15], v[2:3]
	v_mul_f64 v[4:5], s[16:17], v[12:13]
	v_mul_f64 v[12:13], s[14:15], v[12:13]
	global_store_dwordx4 v[6:7], v[0:3], off offset:256
	global_load_dwordx4 v[0:3], v[8:9], off offset:512
	v_fma_f64 v[4:5], s[14:15], v[10:11], -v[4:5]
	v_fma_f64 v[10:11], s[16:17], v[10:11], v[12:13]
	s_waitcnt vmcnt(0)
	v_mul_f64 v[14:15], s[40:41], v[2:3]
	v_mul_f64 v[2:3], s[38:39], v[2:3]
	v_fma_f64 v[12:13], s[38:39], v[0:1], -v[14:15]
	v_fma_f64 v[2:3], s[40:41], v[0:1], v[2:3]
	v_add_f64 v[0:1], v[4:5], v[12:13]
	v_add_f64 v[2:3], v[10:11], v[2:3]
	v_mul_f64 v[4:5], s[16:17], v[76:77]
	global_store_dwordx4 v[6:7], v[0:3], off offset:512
	global_load_dwordx4 v[0:3], v[8:9], off offset:768
	v_mul_f64 v[8:9], s[14:15], v[76:77]
	v_fma_f64 v[4:5], s[14:15], v[74:75], -v[4:5]
	v_fma_f64 v[8:9], s[16:17], v[74:75], v[8:9]
	s_waitcnt vmcnt(0)
	v_mul_f64 v[10:11], s[40:41], v[2:3]
	v_mul_f64 v[2:3], s[38:39], v[2:3]
	v_fma_f64 v[10:11], s[38:39], v[0:1], -v[10:11]
	v_fma_f64 v[0:1], s[40:41], v[0:1], v[2:3]
	v_add_f64 v[10:11], v[4:5], v[10:11]
	v_add_f64 v[2:3], v[8:9], v[0:1]
	v_add_co_u32 v4, vcc_lo, 0x300, v6
	v_add_co_ci_u32_e64 v5, null, 0, v7, vcc_lo
	global_store_dwordx2 v[6:7], v[10:11], off offset:768
.LBB125_8:
	global_store_dwordx2 v[4:5], v[2:3], off offset:8
	s_endpgm
	.section	.rodata,"a",@progbits
	.p2align	6, 0x0
	.amdhsa_kernel _ZN12_GLOBAL__N_127rocblas_gemm_batched_kernelI19rocblas_complex_numIdELi16ELi16ELi64ELi64ELi4ELi64ELi4ELi4ELi64ELc78ELc67EKS2_S3_S2_EEvlllT_PT11_llS6_llS4_PT12_llPT13_lli
		.amdhsa_group_segment_fixed_size 8192
		.amdhsa_private_segment_fixed_size 0
		.amdhsa_kernarg_size 156
		.amdhsa_user_sgpr_count 6
		.amdhsa_user_sgpr_private_segment_buffer 1
		.amdhsa_user_sgpr_dispatch_ptr 0
		.amdhsa_user_sgpr_queue_ptr 0
		.amdhsa_user_sgpr_kernarg_segment_ptr 1
		.amdhsa_user_sgpr_dispatch_id 0
		.amdhsa_user_sgpr_flat_scratch_init 0
		.amdhsa_user_sgpr_private_segment_size 0
		.amdhsa_wavefront_size32 1
		.amdhsa_uses_dynamic_stack 0
		.amdhsa_system_sgpr_private_segment_wavefront_offset 0
		.amdhsa_system_sgpr_workgroup_id_x 1
		.amdhsa_system_sgpr_workgroup_id_y 1
		.amdhsa_system_sgpr_workgroup_id_z 1
		.amdhsa_system_sgpr_workgroup_info 0
		.amdhsa_system_vgpr_workitem_id 1
		.amdhsa_next_free_vgpr 138
		.amdhsa_next_free_sgpr 52
		.amdhsa_reserve_vcc 1
		.amdhsa_reserve_flat_scratch 0
		.amdhsa_float_round_mode_32 0
		.amdhsa_float_round_mode_16_64 0
		.amdhsa_float_denorm_mode_32 3
		.amdhsa_float_denorm_mode_16_64 3
		.amdhsa_dx10_clamp 1
		.amdhsa_ieee_mode 1
		.amdhsa_fp16_overflow 0
		.amdhsa_workgroup_processor_mode 1
		.amdhsa_memory_ordered 1
		.amdhsa_forward_progress 1
		.amdhsa_shared_vgpr_count 0
		.amdhsa_exception_fp_ieee_invalid_op 0
		.amdhsa_exception_fp_denorm_src 0
		.amdhsa_exception_fp_ieee_div_zero 0
		.amdhsa_exception_fp_ieee_overflow 0
		.amdhsa_exception_fp_ieee_underflow 0
		.amdhsa_exception_fp_ieee_inexact 0
		.amdhsa_exception_int_div_zero 0
	.end_amdhsa_kernel
	.section	.text._ZN12_GLOBAL__N_127rocblas_gemm_batched_kernelI19rocblas_complex_numIdELi16ELi16ELi64ELi64ELi4ELi64ELi4ELi4ELi64ELc78ELc67EKS2_S3_S2_EEvlllT_PT11_llS6_llS4_PT12_llPT13_lli,"axG",@progbits,_ZN12_GLOBAL__N_127rocblas_gemm_batched_kernelI19rocblas_complex_numIdELi16ELi16ELi64ELi64ELi4ELi64ELi4ELi4ELi64ELc78ELc67EKS2_S3_S2_EEvlllT_PT11_llS6_llS4_PT12_llPT13_lli,comdat
.Lfunc_end125:
	.size	_ZN12_GLOBAL__N_127rocblas_gemm_batched_kernelI19rocblas_complex_numIdELi16ELi16ELi64ELi64ELi4ELi64ELi4ELi4ELi64ELc78ELc67EKS2_S3_S2_EEvlllT_PT11_llS6_llS4_PT12_llPT13_lli, .Lfunc_end125-_ZN12_GLOBAL__N_127rocblas_gemm_batched_kernelI19rocblas_complex_numIdELi16ELi16ELi64ELi64ELi4ELi64ELi4ELi4ELi64ELc78ELc67EKS2_S3_S2_EEvlllT_PT11_llS6_llS4_PT12_llPT13_lli
                                        ; -- End function
	.set _ZN12_GLOBAL__N_127rocblas_gemm_batched_kernelI19rocblas_complex_numIdELi16ELi16ELi64ELi64ELi4ELi64ELi4ELi4ELi64ELc78ELc67EKS2_S3_S2_EEvlllT_PT11_llS6_llS4_PT12_llPT13_lli.num_vgpr, 138
	.set _ZN12_GLOBAL__N_127rocblas_gemm_batched_kernelI19rocblas_complex_numIdELi16ELi16ELi64ELi64ELi4ELi64ELi4ELi4ELi64ELc78ELc67EKS2_S3_S2_EEvlllT_PT11_llS6_llS4_PT12_llPT13_lli.num_agpr, 0
	.set _ZN12_GLOBAL__N_127rocblas_gemm_batched_kernelI19rocblas_complex_numIdELi16ELi16ELi64ELi64ELi4ELi64ELi4ELi4ELi64ELc78ELc67EKS2_S3_S2_EEvlllT_PT11_llS6_llS4_PT12_llPT13_lli.numbered_sgpr, 52
	.set _ZN12_GLOBAL__N_127rocblas_gemm_batched_kernelI19rocblas_complex_numIdELi16ELi16ELi64ELi64ELi4ELi64ELi4ELi4ELi64ELc78ELc67EKS2_S3_S2_EEvlllT_PT11_llS6_llS4_PT12_llPT13_lli.num_named_barrier, 0
	.set _ZN12_GLOBAL__N_127rocblas_gemm_batched_kernelI19rocblas_complex_numIdELi16ELi16ELi64ELi64ELi4ELi64ELi4ELi4ELi64ELc78ELc67EKS2_S3_S2_EEvlllT_PT11_llS6_llS4_PT12_llPT13_lli.private_seg_size, 0
	.set _ZN12_GLOBAL__N_127rocblas_gemm_batched_kernelI19rocblas_complex_numIdELi16ELi16ELi64ELi64ELi4ELi64ELi4ELi4ELi64ELc78ELc67EKS2_S3_S2_EEvlllT_PT11_llS6_llS4_PT12_llPT13_lli.uses_vcc, 1
	.set _ZN12_GLOBAL__N_127rocblas_gemm_batched_kernelI19rocblas_complex_numIdELi16ELi16ELi64ELi64ELi4ELi64ELi4ELi4ELi64ELc78ELc67EKS2_S3_S2_EEvlllT_PT11_llS6_llS4_PT12_llPT13_lli.uses_flat_scratch, 0
	.set _ZN12_GLOBAL__N_127rocblas_gemm_batched_kernelI19rocblas_complex_numIdELi16ELi16ELi64ELi64ELi4ELi64ELi4ELi4ELi64ELc78ELc67EKS2_S3_S2_EEvlllT_PT11_llS6_llS4_PT12_llPT13_lli.has_dyn_sized_stack, 0
	.set _ZN12_GLOBAL__N_127rocblas_gemm_batched_kernelI19rocblas_complex_numIdELi16ELi16ELi64ELi64ELi4ELi64ELi4ELi4ELi64ELc78ELc67EKS2_S3_S2_EEvlllT_PT11_llS6_llS4_PT12_llPT13_lli.has_recursion, 0
	.set _ZN12_GLOBAL__N_127rocblas_gemm_batched_kernelI19rocblas_complex_numIdELi16ELi16ELi64ELi64ELi4ELi64ELi4ELi4ELi64ELc78ELc67EKS2_S3_S2_EEvlllT_PT11_llS6_llS4_PT12_llPT13_lli.has_indirect_call, 0
	.section	.AMDGPU.csdata,"",@progbits
; Kernel info:
; codeLenInByte = 7372
; TotalNumSgprs: 54
; NumVgprs: 138
; ScratchSize: 0
; MemoryBound: 0
; FloatMode: 240
; IeeeMode: 1
; LDSByteSize: 8192 bytes/workgroup (compile time only)
; SGPRBlocks: 0
; VGPRBlocks: 17
; NumSGPRsForWavesPerEU: 54
; NumVGPRsForWavesPerEU: 138
; Occupancy: 7
; WaveLimiterHint : 1
; COMPUTE_PGM_RSRC2:SCRATCH_EN: 0
; COMPUTE_PGM_RSRC2:USER_SGPR: 6
; COMPUTE_PGM_RSRC2:TRAP_HANDLER: 0
; COMPUTE_PGM_RSRC2:TGID_X_EN: 1
; COMPUTE_PGM_RSRC2:TGID_Y_EN: 1
; COMPUTE_PGM_RSRC2:TGID_Z_EN: 1
; COMPUTE_PGM_RSRC2:TIDIG_COMP_CNT: 1
	.section	.text._ZN12_GLOBAL__N_127rocblas_gemm_batched_kernelI19rocblas_complex_numIdELi16ELi16ELi64ELi64ELi4ELi64ELi4ELi4ELi64ELc84ELc67EKS2_S3_S2_EEvlllT_PT11_llS6_llS4_PT12_llPT13_lli,"axG",@progbits,_ZN12_GLOBAL__N_127rocblas_gemm_batched_kernelI19rocblas_complex_numIdELi16ELi16ELi64ELi64ELi4ELi64ELi4ELi4ELi64ELc84ELc67EKS2_S3_S2_EEvlllT_PT11_llS6_llS4_PT12_llPT13_lli,comdat
	.globl	_ZN12_GLOBAL__N_127rocblas_gemm_batched_kernelI19rocblas_complex_numIdELi16ELi16ELi64ELi64ELi4ELi64ELi4ELi4ELi64ELc84ELc67EKS2_S3_S2_EEvlllT_PT11_llS6_llS4_PT12_llPT13_lli ; -- Begin function _ZN12_GLOBAL__N_127rocblas_gemm_batched_kernelI19rocblas_complex_numIdELi16ELi16ELi64ELi64ELi4ELi64ELi4ELi4ELi64ELc84ELc67EKS2_S3_S2_EEvlllT_PT11_llS6_llS4_PT12_llPT13_lli
	.p2align	8
	.type	_ZN12_GLOBAL__N_127rocblas_gemm_batched_kernelI19rocblas_complex_numIdELi16ELi16ELi64ELi64ELi4ELi64ELi4ELi4ELi64ELc84ELc67EKS2_S3_S2_EEvlllT_PT11_llS6_llS4_PT12_llPT13_lli,@function
_ZN12_GLOBAL__N_127rocblas_gemm_batched_kernelI19rocblas_complex_numIdELi16ELi16ELi64ELi64ELi4ELi64ELi4ELi4ELi64ELc84ELc67EKS2_S3_S2_EEvlllT_PT11_llS6_llS4_PT12_llPT13_lli: ; @_ZN12_GLOBAL__N_127rocblas_gemm_batched_kernelI19rocblas_complex_numIdELi16ELi16ELi64ELi64ELi4ELi64ELi4ELi4ELi64ELc84ELc67EKS2_S3_S2_EEvlllT_PT11_llS6_llS4_PT12_llPT13_lli
; %bb.0:
	s_clause 0x1
	s_load_dwordx16 s[12:27], s[4:5], 0x10
	s_load_dwordx16 s[36:51], s[4:5], 0x50
	s_mov_b32 s2, s7
	s_ashr_i32 s7, s6, 31
	s_ashr_i32 s3, s2, 31
	s_lshl_b64 s[0:1], s[6:7], 6
	s_lshl_b64 s[2:3], s[2:3], 6
	s_waitcnt lgkmcnt(0)
	v_cmp_lt_i64_e64 s9, s[12:13], 1
	s_and_b32 vcc_lo, exec_lo, s9
	s_cbranch_vccnz .LBB126_3
; %bb.1:
	v_lshl_add_u32 v6, v1, 4, v0
	v_and_b32_e32 v7, 3, v0
	s_mul_i32 s7, s23, s8
	s_mul_hi_u32 s9, s22, s8
	s_mul_hi_u32 s10, s36, s8
	v_lshrrev_b32_e32 v8, 2, v6
	v_and_b32_e32 v9, 63, v6
	v_lshlrev_b32_e32 v12, 4, v7
	v_lshrrev_b32_e32 v13, 6, v6
	s_add_i32 s7, s9, s7
	v_add_co_u32 v2, s6, v8, s2
	v_add_co_ci_u32_e64 v3, null, 0, s3, s6
	v_add_co_u32 v4, s6, s0, v9
	v_add_co_ci_u32_e64 v5, null, s1, 0, s6
	v_mad_u64_u32 v[2:3], null, s26, v7, v[2:3]
	v_mul_lo_u32 v10, s21, v4
	v_mul_lo_u32 v11, s20, v5
	v_mad_u64_u32 v[4:5], null, s20, v4, 0
	s_mul_i32 s6, s22, s8
	s_mul_i32 s9, s37, s8
	s_lshl_b64 s[6:7], s[6:7], 4
	v_lshlrev_b32_e32 v9, 4, v9
	v_mov_b32_e32 v76, 0
	v_mov_b32_e32 v74, 0
	v_add3_u32 v5, v5, v11, v10
	v_mad_u64_u32 v[6:7], null, s27, v7, v[3:4]
	v_lshl_or_b32 v3, v8, 6, v12
	v_lshl_or_b32 v92, v13, 10, v9
	v_lshlrev_b64 v[4:5], 4, v[4:5]
	v_mov_b32_e32 v10, 0
	v_mov_b32_e32 v16, 0
	v_add_nc_u32_e32 v93, 0x1000, v3
	v_mov_b32_e32 v3, v6
	v_lshlrev_b32_e32 v6, 4, v13
	v_add_co_u32 v4, vcc_lo, v4, s6
	v_add_co_ci_u32_e64 v5, null, s7, v5, vcc_lo
	s_add_i32 s7, s10, s9
	v_add_co_u32 v4, vcc_lo, v4, v6
	s_mul_i32 s6, s36, s8
	v_lshlrev_b64 v[2:3], 4, v[2:3]
	v_add_co_ci_u32_e64 v5, null, 0, v5, vcc_lo
	s_lshl_b64 s[6:7], s[6:7], 4
	v_add_co_u32 v26, vcc_lo, s18, v4
	s_add_u32 s6, s24, s6
	v_add_co_ci_u32_e64 v27, null, s19, v5, vcc_lo
	s_addc_u32 s7, s25, s7
	v_add_co_u32 v2, vcc_lo, s6, v2
	v_add_co_ci_u32_e64 v3, null, s7, v3, vcc_lo
	v_mov_b32_e32 v12, 0
	v_add_co_u32 v28, vcc_lo, v2, 8
	v_mov_b32_e32 v14, 0
	v_mov_b32_e32 v20, 0
	;; [unrolled: 1-line block ×27, first 2 shown]
	v_lshlrev_b32_e32 v90, 4, v0
	v_lshl_add_u32 v91, v1, 6, 0x1000
	v_mov_b32_e32 v77, 0
	v_mov_b32_e32 v75, 0
	;; [unrolled: 1-line block ×32, first 2 shown]
	v_add_co_ci_u32_e64 v29, null, 0, v3, vcc_lo
	s_lshl_b64 s[6:7], s[26:27], 6
	s_mov_b64 s[10:11], 0
.LBB126_2:                              ; =>This Inner Loop Header: Depth=1
	global_load_dwordx4 v[2:5], v[26:27], off
	s_add_u32 s10, s10, 4
	s_addc_u32 s11, s11, 0
	v_add_co_u32 v26, vcc_lo, v26, 64
	v_cmp_lt_i64_e64 s9, s[10:11], s[12:13]
	v_add_co_ci_u32_e64 v27, null, 0, v27, vcc_lo
	s_waitcnt vmcnt(0)
	ds_write2_b64 v92, v[2:3], v[4:5] offset1:1
	global_load_dwordx4 v[2:5], v[28:29], off offset:-8
	v_add_co_u32 v28, vcc_lo, v28, s6
	v_add_co_ci_u32_e64 v29, null, s7, v29, vcc_lo
	s_and_b32 vcc_lo, exec_lo, s9
	s_waitcnt vmcnt(0)
	v_xor_b32_e32 v5, 0x80000000, v5
	ds_write_b128 v93, v[2:5]
	s_waitcnt lgkmcnt(0)
	s_barrier
	buffer_gl0_inv
	ds_read_b128 v[78:81], v91
	ds_read_b128 v[82:85], v91 offset:16
	ds_read_b128 v[6:9], v91 offset:32
	;; [unrolled: 1-line block ×3, first 2 shown]
	ds_read_b128 v[86:89], v90
	s_waitcnt lgkmcnt(0)
	v_mul_f64 v[94:95], v[80:81], v[88:89]
	v_mul_f64 v[96:97], v[78:79], v[88:89]
	v_fma_f64 v[94:95], v[78:79], v[86:87], -v[94:95]
	v_fma_f64 v[96:97], v[80:81], v[86:87], v[96:97]
	v_add_f64 v[98:99], v[48:49], v[94:95]
	v_add_f64 v[100:101], v[96:97], v[52:53]
	ds_read_b128 v[94:97], v90 offset:256
	s_waitcnt lgkmcnt(0)
	v_mul_f64 v[48:49], v[80:81], v[96:97]
	v_mul_f64 v[52:53], v[78:79], v[96:97]
	v_fma_f64 v[48:49], v[78:79], v[94:95], -v[48:49]
	v_fma_f64 v[52:53], v[80:81], v[94:95], v[52:53]
	v_add_f64 v[102:103], v[34:35], v[48:49]
	v_add_f64 v[104:105], v[52:53], v[36:37]
	ds_read_b128 v[34:37], v90 offset:512
	;; [unrolled: 8-line block ×4, first 2 shown]
	s_waitcnt lgkmcnt(0)
	v_mul_f64 v[48:49], v[24:25], v[88:89]
	v_mul_f64 v[52:53], v[22:23], v[88:89]
	v_fma_f64 v[48:49], v[22:23], v[86:87], -v[48:49]
	v_fma_f64 v[52:53], v[24:25], v[86:87], v[52:53]
	v_add_f64 v[70:71], v[70:71], v[48:49]
	v_mul_f64 v[48:49], v[24:25], v[96:97]
	v_add_f64 v[72:73], v[52:53], v[72:73]
	v_mul_f64 v[52:53], v[22:23], v[96:97]
	v_fma_f64 v[48:49], v[22:23], v[94:95], -v[48:49]
	v_fma_f64 v[52:53], v[24:25], v[94:95], v[52:53]
	v_add_f64 v[110:111], v[62:63], v[48:49]
	v_mul_f64 v[48:49], v[24:25], v[36:37]
	v_add_f64 v[112:113], v[52:53], v[64:65]
	;; [unrolled: 6-line block ×3, first 2 shown]
	v_fma_f64 v[48:49], v[22:23], v[30:31], -v[48:49]
	v_mul_f64 v[22:23], v[22:23], v[32:33]
	v_add_f64 v[118:119], v[42:43], v[48:49]
	v_fma_f64 v[22:23], v[24:25], v[30:31], v[22:23]
	v_add_f64 v[120:121], v[22:23], v[46:47]
	ds_read_b128 v[22:25], v91 offset:2048
	s_waitcnt lgkmcnt(0)
	v_mul_f64 v[42:43], v[24:25], v[88:89]
	v_mul_f64 v[46:47], v[22:23], v[88:89]
	v_fma_f64 v[42:43], v[22:23], v[86:87], -v[42:43]
	v_fma_f64 v[46:47], v[24:25], v[86:87], v[46:47]
	v_add_f64 v[122:123], v[66:67], v[42:43]
	v_mul_f64 v[42:43], v[24:25], v[96:97]
	v_add_f64 v[124:125], v[46:47], v[68:69]
	v_mul_f64 v[46:47], v[22:23], v[96:97]
	v_fma_f64 v[42:43], v[22:23], v[94:95], -v[42:43]
	v_fma_f64 v[46:47], v[24:25], v[94:95], v[46:47]
	v_add_f64 v[126:127], v[56:57], v[42:43]
	v_mul_f64 v[42:43], v[24:25], v[36:37]
	v_add_f64 v[128:129], v[46:47], v[60:61]
	;; [unrolled: 6-line block ×3, first 2 shown]
	v_fma_f64 v[42:43], v[22:23], v[30:31], -v[42:43]
	v_mul_f64 v[22:23], v[22:23], v[32:33]
	v_add_f64 v[134:135], v[38:39], v[42:43]
	v_fma_f64 v[22:23], v[24:25], v[30:31], v[22:23]
	v_add_f64 v[136:137], v[22:23], v[40:41]
	ds_read_b128 v[22:25], v91 offset:3072
	s_waitcnt lgkmcnt(0)
	v_mul_f64 v[38:39], v[24:25], v[88:89]
	v_mul_f64 v[40:41], v[22:23], v[88:89]
	v_fma_f64 v[38:39], v[22:23], v[86:87], -v[38:39]
	v_fma_f64 v[40:41], v[24:25], v[86:87], v[40:41]
	v_add_f64 v[58:59], v[18:19], v[38:39]
	v_add_f64 v[60:61], v[40:41], v[20:21]
	v_mul_f64 v[18:19], v[24:25], v[96:97]
	v_mul_f64 v[20:21], v[22:23], v[96:97]
	v_fma_f64 v[18:19], v[22:23], v[94:95], -v[18:19]
	v_fma_f64 v[20:21], v[24:25], v[94:95], v[20:21]
	v_add_f64 v[54:55], v[14:15], v[18:19]
	v_add_f64 v[56:57], v[20:21], v[16:17]
	v_mul_f64 v[14:15], v[24:25], v[36:37]
	v_mul_f64 v[16:17], v[22:23], v[36:37]
	ds_read_b128 v[18:21], v90 offset:1280
	v_fma_f64 v[14:15], v[22:23], v[34:35], -v[14:15]
	v_fma_f64 v[16:17], v[24:25], v[34:35], v[16:17]
	v_add_f64 v[50:51], v[10:11], v[14:15]
	v_add_f64 v[52:53], v[16:17], v[12:13]
	v_mul_f64 v[10:11], v[24:25], v[32:33]
	v_mul_f64 v[12:13], v[22:23], v[32:33]
	ds_read_b128 v[14:17], v90 offset:1536
	v_fma_f64 v[10:11], v[22:23], v[30:31], -v[10:11]
	v_fma_f64 v[12:13], v[24:25], v[30:31], v[12:13]
	ds_read_b128 v[22:25], v90 offset:1024
	v_add_f64 v[46:47], v[74:75], v[10:11]
	v_add_f64 v[48:49], v[12:13], v[76:77]
	s_waitcnt lgkmcnt(0)
	v_mul_f64 v[10:11], v[84:85], v[24:25]
	v_mul_f64 v[12:13], v[82:83], v[24:25]
	ds_read_b128 v[74:77], v91 offset:1040
	v_fma_f64 v[10:11], v[82:83], v[22:23], -v[10:11]
	v_fma_f64 v[12:13], v[84:85], v[22:23], v[12:13]
	s_waitcnt lgkmcnt(0)
	v_mul_f64 v[62:63], v[76:77], v[24:25]
	v_mul_f64 v[64:65], v[74:75], v[24:25]
	;; [unrolled: 1-line block ×4, first 2 shown]
	v_add_f64 v[42:43], v[98:99], v[10:11]
	v_add_f64 v[44:45], v[12:13], v[100:101]
	v_mul_f64 v[10:11], v[84:85], v[20:21]
	v_mul_f64 v[12:13], v[82:83], v[20:21]
	v_fma_f64 v[62:63], v[74:75], v[22:23], -v[62:63]
	v_fma_f64 v[64:65], v[76:77], v[22:23], v[64:65]
	v_fma_f64 v[66:67], v[74:75], v[18:19], -v[66:67]
	v_fma_f64 v[68:69], v[76:77], v[18:19], v[68:69]
	;; [unrolled: 2-line block ×3, first 2 shown]
	v_add_f64 v[62:63], v[70:71], v[62:63]
	v_mul_f64 v[70:71], v[76:77], v[16:17]
	v_add_f64 v[64:65], v[64:65], v[72:73]
	v_mul_f64 v[72:73], v[74:75], v[16:17]
	v_add_f64 v[66:67], v[110:111], v[66:67]
	v_add_f64 v[68:69], v[68:69], v[112:113]
	;; [unrolled: 1-line block ×4, first 2 shown]
	v_mul_f64 v[10:11], v[84:85], v[16:17]
	v_mul_f64 v[12:13], v[82:83], v[16:17]
	v_fma_f64 v[70:71], v[74:75], v[14:15], -v[70:71]
	v_fma_f64 v[72:73], v[76:77], v[14:15], v[72:73]
	v_fma_f64 v[10:11], v[82:83], v[14:15], -v[10:11]
	v_fma_f64 v[12:13], v[84:85], v[14:15], v[12:13]
	v_add_f64 v[70:71], v[114:115], v[70:71]
	v_add_f64 v[72:73], v[72:73], v[116:117]
	;; [unrolled: 1-line block ×4, first 2 shown]
	ds_read_b128 v[10:13], v90 offset:1792
	s_waitcnt lgkmcnt(0)
	v_mul_f64 v[30:31], v[84:85], v[12:13]
	v_mul_f64 v[32:33], v[82:83], v[12:13]
	v_fma_f64 v[30:31], v[82:83], v[10:11], -v[30:31]
	v_fma_f64 v[32:33], v[84:85], v[10:11], v[32:33]
	v_add_f64 v[30:31], v[78:79], v[30:31]
	v_mul_f64 v[78:79], v[76:77], v[12:13]
	v_add_f64 v[32:33], v[32:33], v[80:81]
	v_fma_f64 v[78:79], v[74:75], v[10:11], -v[78:79]
	v_mul_f64 v[74:75], v[74:75], v[12:13]
	v_fma_f64 v[76:77], v[76:77], v[10:11], v[74:75]
	v_add_f64 v[74:75], v[118:119], v[78:79]
	ds_read_b128 v[78:81], v91 offset:2064
	s_waitcnt lgkmcnt(0)
	v_mul_f64 v[82:83], v[80:81], v[24:25]
	v_mul_f64 v[86:87], v[80:81], v[20:21]
	;; [unrolled: 1-line block ×7, first 2 shown]
	v_add_f64 v[76:77], v[76:77], v[120:121]
	v_fma_f64 v[82:83], v[78:79], v[22:23], -v[82:83]
	v_fma_f64 v[86:87], v[78:79], v[18:19], -v[86:87]
	;; [unrolled: 1-line block ×4, first 2 shown]
	v_mul_f64 v[78:79], v[78:79], v[12:13]
	v_fma_f64 v[84:85], v[80:81], v[22:23], v[84:85]
	v_fma_f64 v[88:89], v[80:81], v[18:19], v[88:89]
	;; [unrolled: 1-line block ×3, first 2 shown]
	v_add_f64 v[82:83], v[122:123], v[82:83]
	v_add_f64 v[86:87], v[126:127], v[86:87]
	;; [unrolled: 1-line block ×4, first 2 shown]
	v_fma_f64 v[78:79], v[80:81], v[10:11], v[78:79]
	v_add_f64 v[84:85], v[84:85], v[124:125]
	v_add_f64 v[88:89], v[88:89], v[128:129]
	;; [unrolled: 1-line block ×4, first 2 shown]
	ds_read_b128 v[78:81], v91 offset:3088
	s_waitcnt lgkmcnt(0)
	v_mul_f64 v[102:103], v[80:81], v[24:25]
	v_mul_f64 v[24:25], v[78:79], v[24:25]
	v_fma_f64 v[102:103], v[78:79], v[22:23], -v[102:103]
	v_fma_f64 v[22:23], v[80:81], v[22:23], v[24:25]
	v_add_f64 v[58:59], v[58:59], v[102:103]
	v_add_f64 v[60:61], v[22:23], v[60:61]
	v_mul_f64 v[22:23], v[80:81], v[20:21]
	v_mul_f64 v[20:21], v[78:79], v[20:21]
	v_fma_f64 v[22:23], v[78:79], v[18:19], -v[22:23]
	v_fma_f64 v[18:19], v[80:81], v[18:19], v[20:21]
	v_add_f64 v[54:55], v[54:55], v[22:23]
	v_add_f64 v[56:57], v[18:19], v[56:57]
	;; [unrolled: 6-line block ×4, first 2 shown]
	ds_read_b128 v[10:13], v90 offset:2048
	s_waitcnt lgkmcnt(0)
	v_mul_f64 v[14:15], v[8:9], v[12:13]
	v_mul_f64 v[16:17], v[6:7], v[12:13]
	v_fma_f64 v[14:15], v[6:7], v[10:11], -v[14:15]
	v_fma_f64 v[16:17], v[8:9], v[10:11], v[16:17]
	v_add_f64 v[42:43], v[42:43], v[14:15]
	v_add_f64 v[44:45], v[16:17], v[44:45]
	ds_read_b128 v[14:17], v90 offset:2304
	s_waitcnt lgkmcnt(0)
	v_mul_f64 v[18:19], v[8:9], v[16:17]
	v_mul_f64 v[20:21], v[6:7], v[16:17]
	v_fma_f64 v[18:19], v[6:7], v[14:15], -v[18:19]
	v_fma_f64 v[20:21], v[8:9], v[14:15], v[20:21]
	v_add_f64 v[38:39], v[38:39], v[18:19]
	v_add_f64 v[40:41], v[20:21], v[40:41]
	ds_read_b128 v[18:21], v90 offset:2560
	s_waitcnt lgkmcnt(0)
	v_mul_f64 v[22:23], v[8:9], v[20:21]
	v_mul_f64 v[24:25], v[6:7], v[20:21]
	v_fma_f64 v[22:23], v[6:7], v[18:19], -v[22:23]
	v_fma_f64 v[24:25], v[8:9], v[18:19], v[24:25]
	v_add_f64 v[102:103], v[34:35], v[22:23]
	v_add_f64 v[104:105], v[24:25], v[36:37]
	ds_read_b128 v[22:25], v90 offset:2816
	s_waitcnt lgkmcnt(0)
	v_mul_f64 v[34:35], v[8:9], v[24:25]
	v_fma_f64 v[34:35], v[6:7], v[22:23], -v[34:35]
	v_mul_f64 v[6:7], v[6:7], v[24:25]
	v_add_f64 v[106:107], v[30:31], v[34:35]
	v_fma_f64 v[6:7], v[8:9], v[22:23], v[6:7]
	v_add_f64 v[108:109], v[6:7], v[32:33]
	ds_read_b128 v[6:9], v91 offset:1056
	s_waitcnt lgkmcnt(0)
	v_mul_f64 v[30:31], v[8:9], v[12:13]
	v_mul_f64 v[32:33], v[6:7], v[12:13]
	v_fma_f64 v[30:31], v[6:7], v[10:11], -v[30:31]
	v_fma_f64 v[32:33], v[8:9], v[10:11], v[32:33]
	v_add_f64 v[62:63], v[62:63], v[30:31]
	v_mul_f64 v[30:31], v[8:9], v[16:17]
	v_add_f64 v[64:65], v[32:33], v[64:65]
	v_mul_f64 v[32:33], v[6:7], v[16:17]
	v_fma_f64 v[30:31], v[6:7], v[14:15], -v[30:31]
	v_fma_f64 v[32:33], v[8:9], v[14:15], v[32:33]
	v_add_f64 v[66:67], v[66:67], v[30:31]
	v_mul_f64 v[30:31], v[8:9], v[20:21]
	v_add_f64 v[68:69], v[32:33], v[68:69]
	;; [unrolled: 6-line block ×3, first 2 shown]
	v_fma_f64 v[30:31], v[6:7], v[22:23], -v[30:31]
	v_mul_f64 v[6:7], v[6:7], v[24:25]
	v_add_f64 v[114:115], v[74:75], v[30:31]
	v_fma_f64 v[6:7], v[8:9], v[22:23], v[6:7]
	v_add_f64 v[116:117], v[6:7], v[76:77]
	ds_read_b128 v[6:9], v91 offset:2080
	s_waitcnt lgkmcnt(0)
	v_mul_f64 v[30:31], v[8:9], v[12:13]
	v_mul_f64 v[32:33], v[6:7], v[12:13]
	v_fma_f64 v[30:31], v[6:7], v[10:11], -v[30:31]
	v_fma_f64 v[32:33], v[8:9], v[10:11], v[32:33]
	v_add_f64 v[118:119], v[82:83], v[30:31]
	v_mul_f64 v[30:31], v[8:9], v[16:17]
	v_add_f64 v[120:121], v[32:33], v[84:85]
	v_mul_f64 v[32:33], v[6:7], v[16:17]
	v_fma_f64 v[30:31], v[6:7], v[14:15], -v[30:31]
	v_fma_f64 v[32:33], v[8:9], v[14:15], v[32:33]
	v_add_f64 v[122:123], v[86:87], v[30:31]
	v_mul_f64 v[30:31], v[8:9], v[20:21]
	v_add_f64 v[124:125], v[32:33], v[88:89]
	;; [unrolled: 6-line block ×3, first 2 shown]
	v_fma_f64 v[30:31], v[6:7], v[22:23], -v[30:31]
	v_mul_f64 v[6:7], v[6:7], v[24:25]
	v_add_f64 v[98:99], v[98:99], v[30:31]
	v_fma_f64 v[6:7], v[8:9], v[22:23], v[6:7]
	v_add_f64 v[100:101], v[6:7], v[100:101]
	ds_read_b128 v[6:9], v91 offset:3104
	s_waitcnt lgkmcnt(0)
	v_mul_f64 v[30:31], v[8:9], v[12:13]
	v_mul_f64 v[12:13], v[6:7], v[12:13]
	v_fma_f64 v[30:31], v[6:7], v[10:11], -v[30:31]
	v_fma_f64 v[10:11], v[8:9], v[10:11], v[12:13]
	v_mul_f64 v[12:13], v[6:7], v[16:17]
	v_add_f64 v[86:87], v[58:59], v[30:31]
	v_add_f64 v[88:89], v[10:11], v[60:61]
	v_mul_f64 v[10:11], v[8:9], v[16:17]
	v_fma_f64 v[12:13], v[8:9], v[14:15], v[12:13]
	v_fma_f64 v[10:11], v[6:7], v[14:15], -v[10:11]
	v_add_f64 v[84:85], v[12:13], v[56:57]
	v_mul_f64 v[12:13], v[6:7], v[20:21]
	ds_read_b128 v[14:17], v90 offset:3328
	v_add_f64 v[82:83], v[54:55], v[10:11]
	v_mul_f64 v[10:11], v[8:9], v[20:21]
	v_fma_f64 v[12:13], v[8:9], v[18:19], v[12:13]
	v_fma_f64 v[10:11], v[6:7], v[18:19], -v[10:11]
	ds_read_b128 v[18:21], v90 offset:3072
	v_add_f64 v[80:81], v[12:13], v[52:53]
	v_add_f64 v[78:79], v[50:51], v[10:11]
	v_mul_f64 v[10:11], v[8:9], v[24:25]
	v_fma_f64 v[10:11], v[6:7], v[22:23], -v[10:11]
	v_mul_f64 v[6:7], v[6:7], v[24:25]
	v_add_f64 v[74:75], v[46:47], v[10:11]
	v_fma_f64 v[6:7], v[8:9], v[22:23], v[6:7]
	s_waitcnt lgkmcnt(0)
	v_mul_f64 v[8:9], v[2:3], v[20:21]
	ds_read_b128 v[10:13], v90 offset:3584
	v_add_f64 v[76:77], v[6:7], v[48:49]
	v_mul_f64 v[6:7], v[4:5], v[20:21]
	v_fma_f64 v[8:9], v[4:5], v[18:19], v[8:9]
	v_fma_f64 v[6:7], v[2:3], v[18:19], -v[6:7]
	v_add_f64 v[52:53], v[8:9], v[44:45]
	v_mul_f64 v[8:9], v[2:3], v[16:17]
	v_add_f64 v[48:49], v[42:43], v[6:7]
	v_mul_f64 v[6:7], v[4:5], v[16:17]
	v_fma_f64 v[8:9], v[4:5], v[14:15], v[8:9]
	v_fma_f64 v[6:7], v[2:3], v[14:15], -v[6:7]
	v_add_f64 v[36:37], v[8:9], v[40:41]
	s_waitcnt lgkmcnt(0)
	v_mul_f64 v[8:9], v[2:3], v[12:13]
	v_add_f64 v[34:35], v[38:39], v[6:7]
	v_mul_f64 v[6:7], v[4:5], v[12:13]
	v_fma_f64 v[8:9], v[4:5], v[10:11], v[8:9]
	v_fma_f64 v[6:7], v[2:3], v[10:11], -v[6:7]
	v_add_f64 v[32:33], v[8:9], v[104:105]
	v_add_f64 v[30:31], v[102:103], v[6:7]
	ds_read_b128 v[6:9], v90 offset:3840
	s_waitcnt lgkmcnt(0)
	v_mul_f64 v[22:23], v[4:5], v[8:9]
	v_fma_f64 v[22:23], v[2:3], v[6:7], -v[22:23]
	v_mul_f64 v[2:3], v[2:3], v[8:9]
	v_add_f64 v[22:23], v[106:107], v[22:23]
	v_fma_f64 v[2:3], v[4:5], v[6:7], v[2:3]
	v_add_f64 v[24:25], v[2:3], v[108:109]
	ds_read_b128 v[2:5], v91 offset:1072
	s_waitcnt lgkmcnt(0)
	v_mul_f64 v[38:39], v[4:5], v[20:21]
	v_mul_f64 v[40:41], v[2:3], v[20:21]
	v_fma_f64 v[38:39], v[2:3], v[18:19], -v[38:39]
	v_fma_f64 v[40:41], v[4:5], v[18:19], v[40:41]
	v_add_f64 v[70:71], v[62:63], v[38:39]
	v_mul_f64 v[38:39], v[4:5], v[16:17]
	v_add_f64 v[72:73], v[40:41], v[64:65]
	v_mul_f64 v[40:41], v[2:3], v[16:17]
	v_fma_f64 v[38:39], v[2:3], v[14:15], -v[38:39]
	v_fma_f64 v[40:41], v[4:5], v[14:15], v[40:41]
	v_add_f64 v[62:63], v[66:67], v[38:39]
	v_mul_f64 v[38:39], v[4:5], v[12:13]
	v_add_f64 v[64:65], v[40:41], v[68:69]
	;; [unrolled: 6-line block ×3, first 2 shown]
	v_fma_f64 v[38:39], v[2:3], v[6:7], -v[38:39]
	v_mul_f64 v[2:3], v[2:3], v[8:9]
	v_add_f64 v[42:43], v[114:115], v[38:39]
	v_fma_f64 v[2:3], v[4:5], v[6:7], v[2:3]
	v_add_f64 v[46:47], v[2:3], v[116:117]
	ds_read_b128 v[2:5], v91 offset:2096
	s_waitcnt lgkmcnt(0)
	v_mul_f64 v[38:39], v[4:5], v[20:21]
	v_mul_f64 v[40:41], v[2:3], v[20:21]
	v_fma_f64 v[38:39], v[2:3], v[18:19], -v[38:39]
	v_fma_f64 v[40:41], v[4:5], v[18:19], v[40:41]
	v_add_f64 v[66:67], v[118:119], v[38:39]
	v_mul_f64 v[38:39], v[4:5], v[16:17]
	v_add_f64 v[68:69], v[40:41], v[120:121]
	v_mul_f64 v[40:41], v[2:3], v[16:17]
	v_fma_f64 v[38:39], v[2:3], v[14:15], -v[38:39]
	v_fma_f64 v[40:41], v[4:5], v[14:15], v[40:41]
	v_add_f64 v[56:57], v[122:123], v[38:39]
	v_mul_f64 v[38:39], v[4:5], v[12:13]
	v_add_f64 v[60:61], v[40:41], v[124:125]
	;; [unrolled: 6-line block ×3, first 2 shown]
	v_fma_f64 v[38:39], v[2:3], v[6:7], -v[38:39]
	v_mul_f64 v[2:3], v[2:3], v[8:9]
	v_add_f64 v[38:39], v[98:99], v[38:39]
	v_fma_f64 v[2:3], v[4:5], v[6:7], v[2:3]
	v_add_f64 v[40:41], v[2:3], v[100:101]
	ds_read_b128 v[2:5], v91 offset:3120
	s_waitcnt lgkmcnt(0)
	s_barrier
	buffer_gl0_inv
	v_mul_f64 v[94:95], v[4:5], v[20:21]
	v_mul_f64 v[20:21], v[2:3], v[20:21]
	v_fma_f64 v[94:95], v[2:3], v[18:19], -v[94:95]
	v_fma_f64 v[20:21], v[4:5], v[18:19], v[20:21]
	v_add_f64 v[18:19], v[86:87], v[94:95]
	v_mul_f64 v[86:87], v[4:5], v[16:17]
	v_mul_f64 v[16:17], v[2:3], v[16:17]
	v_add_f64 v[20:21], v[20:21], v[88:89]
	v_fma_f64 v[86:87], v[2:3], v[14:15], -v[86:87]
	v_fma_f64 v[16:17], v[4:5], v[14:15], v[16:17]
	v_add_f64 v[14:15], v[82:83], v[86:87]
	v_mul_f64 v[82:83], v[4:5], v[12:13]
	v_mul_f64 v[12:13], v[2:3], v[12:13]
	v_add_f64 v[16:17], v[16:17], v[84:85]
	v_fma_f64 v[82:83], v[2:3], v[10:11], -v[82:83]
	v_fma_f64 v[12:13], v[4:5], v[10:11], v[12:13]
	v_add_f64 v[10:11], v[78:79], v[82:83]
	v_mul_f64 v[78:79], v[4:5], v[8:9]
	v_add_f64 v[12:13], v[12:13], v[80:81]
	v_fma_f64 v[78:79], v[2:3], v[6:7], -v[78:79]
	v_mul_f64 v[2:3], v[2:3], v[8:9]
	v_add_f64 v[74:75], v[74:75], v[78:79]
	v_fma_f64 v[2:3], v[4:5], v[6:7], v[2:3]
	v_add_f64 v[76:77], v[2:3], v[76:77]
	s_cbranch_vccnz .LBB126_2
	s_branch .LBB126_4
.LBB126_3:
	v_mov_b32_e32 v48, 0
	v_mov_b32_e32 v52, 0
	;; [unrolled: 1-line block ×64, first 2 shown]
.LBB126_4:
	s_load_dwordx2 s[4:5], s[4:5], 0x90
	v_cmp_neq_f64_e64 s6, s[38:39], 0
	v_cmp_neq_f64_e64 s7, s[40:41], 0
	v_add_co_u32 v6, s2, s2, v1
	v_add_co_u32 v0, s0, s0, v0
	v_add_co_ci_u32_e64 v7, null, s3, 0, s2
	v_add_co_ci_u32_e64 v1, null, s1, 0, s0
	s_waitcnt lgkmcnt(0)
	s_mul_i32 s5, s5, s8
	s_mul_hi_u32 s9, s4, s8
	s_mul_i32 s4, s4, s8
	s_add_i32 s5, s9, s5
	s_lshl_b64 s[4:5], s[4:5], 4
	s_add_u32 s2, s48, s4
	s_addc_u32 s3, s49, s5
	s_or_b32 s4, s6, s7
	s_and_b32 vcc_lo, exec_lo, s4
	s_cbranch_vccnz .LBB126_6
; %bb.5:
	v_mul_f64 v[4:5], s[16:17], v[52:53]
	v_mul_f64 v[8:9], s[14:15], v[52:53]
	v_mul_lo_u32 v78, v7, s50
	v_mul_lo_u32 v79, v6, s51
	v_mad_u64_u32 v[2:3], null, v6, s50, 0
	v_mul_f64 v[26:27], s[16:17], v[36:37]
	v_mul_f64 v[28:29], s[14:15], v[36:37]
	;; [unrolled: 1-line block ×6, first 2 shown]
	v_add3_u32 v3, v3, v79, v78
	v_mul_f64 v[78:79], s[16:17], v[32:33]
	v_mul_f64 v[88:89], s[14:15], v[72:73]
	;; [unrolled: 1-line block ×4, first 2 shown]
	v_lshlrev_b64 v[2:3], 4, v[2:3]
	v_mul_f64 v[94:95], s[16:17], v[58:59]
	v_mul_f64 v[96:97], s[14:15], v[58:59]
	;; [unrolled: 1-line block ×4, first 2 shown]
	s_lshl_b64 s[0:1], s[50:51], 8
	v_add_co_u32 v104, vcc_lo, s2, v2
	v_add_co_ci_u32_e64 v105, null, s3, v3, vcc_lo
	v_fma_f64 v[2:3], s[14:15], v[48:49], -v[4:5]
	v_fma_f64 v[4:5], s[16:17], v[48:49], v[8:9]
	v_lshlrev_b64 v[8:9], 4, v[0:1]
	v_fma_f64 v[26:27], s[14:15], v[34:35], -v[26:27]
	v_fma_f64 v[28:29], s[16:17], v[34:35], v[28:29]
	v_fma_f64 v[80:81], s[16:17], v[30:31], v[80:81]
	v_fma_f64 v[82:83], s[14:15], v[22:23], -v[82:83]
	v_fma_f64 v[84:85], s[16:17], v[22:23], v[84:85]
	v_add_co_u32 v102, vcc_lo, v104, v8
	v_fma_f64 v[78:79], s[14:15], v[30:31], -v[78:79]
	v_add_co_ci_u32_e64 v103, null, v105, v9, vcc_lo
	v_fma_f64 v[86:87], s[14:15], v[70:71], -v[86:87]
	v_fma_f64 v[88:89], s[16:17], v[70:71], v[88:89]
	v_fma_f64 v[90:91], s[14:15], v[62:63], -v[90:91]
	v_fma_f64 v[92:93], s[16:17], v[62:63], v[92:93]
	;; [unrolled: 2-line block ×3, first 2 shown]
	v_add_co_u32 v106, vcc_lo, v104, s0
	v_add_co_ci_u32_e64 v107, null, s1, v105, vcc_lo
	global_store_dwordx4 v[102:103], v[2:5], off
	v_fma_f64 v[2:3], s[14:15], v[42:43], -v[98:99]
	v_fma_f64 v[4:5], s[16:17], v[42:43], v[100:101]
	v_add_co_u32 v104, vcc_lo, v106, v8
	v_add_co_ci_u32_e64 v105, null, v107, v9, vcc_lo
	global_store_dwordx4 v[102:103], v[26:29], off offset:256
	global_store_dwordx4 v[102:103], v[78:81], off offset:512
	;; [unrolled: 1-line block ×3, first 2 shown]
	global_store_dwordx4 v[104:105], v[86:89], off
	global_store_dwordx4 v[104:105], v[90:93], off offset:256
	global_store_dwordx4 v[104:105], v[94:97], off offset:512
	v_mul_f64 v[26:27], s[16:17], v[68:69]
	v_mul_f64 v[28:29], s[14:15], v[68:69]
	;; [unrolled: 1-line block ×12, first 2 shown]
	global_store_dwordx4 v[104:105], v[2:5], off offset:768
	v_mul_f64 v[2:3], s[16:17], v[76:77]
	v_mul_f64 v[4:5], s[14:15], v[76:77]
	;; [unrolled: 1-line block ×4, first 2 shown]
	v_add_co_u32 v104, vcc_lo, v106, s0
	v_add_co_ci_u32_e64 v105, null, s1, v107, vcc_lo
	v_fma_f64 v[26:27], s[14:15], v[66:67], -v[26:27]
	v_fma_f64 v[28:29], s[16:17], v[66:67], v[28:29]
	v_fma_f64 v[78:79], s[14:15], v[56:57], -v[78:79]
	v_fma_f64 v[80:81], s[16:17], v[56:57], v[80:81]
	;; [unrolled: 2-line block ×6, first 2 shown]
	v_add_co_u32 v106, vcc_lo, v104, s0
	v_fma_f64 v[102:103], s[14:15], v[74:75], -v[2:3]
	v_fma_f64 v[2:3], s[16:17], v[74:75], v[4:5]
	v_fma_f64 v[98:99], s[14:15], v[10:11], -v[98:99]
	v_fma_f64 v[100:101], s[16:17], v[10:11], v[100:101]
	v_add_co_ci_u32_e64 v107, null, s1, v105, vcc_lo
	v_add_co_u32 v4, vcc_lo, v104, v8
	v_add_co_ci_u32_e64 v5, null, v105, v9, vcc_lo
	v_add_co_u32 v8, vcc_lo, v106, v8
	v_add_co_ci_u32_e64 v9, null, v107, v9, vcc_lo
	global_store_dwordx4 v[4:5], v[26:29], off
	global_store_dwordx4 v[4:5], v[78:81], off offset:256
	global_store_dwordx4 v[4:5], v[82:85], off offset:512
	global_store_dwordx4 v[4:5], v[86:89], off offset:768
	global_store_dwordx4 v[8:9], v[90:93], off
	v_add_co_u32 v4, vcc_lo, 0x300, v8
	v_add_co_ci_u32_e64 v5, null, 0, v9, vcc_lo
	global_store_dwordx4 v[8:9], v[94:97], off offset:256
	global_store_dwordx4 v[8:9], v[98:101], off offset:512
	global_store_dwordx2 v[8:9], v[102:103], off offset:768
	s_cbranch_execz .LBB126_7
	s_branch .LBB126_8
.LBB126_6:
                                        ; implicit-def: $vgpr2_vgpr3
                                        ; implicit-def: $vgpr4_vgpr5
.LBB126_7:
	v_mul_lo_u32 v4, v7, s44
	v_mul_lo_u32 v5, v6, s45
	v_mad_u64_u32 v[2:3], null, v6, s44, 0
	s_mul_i32 s1, s47, s8
	s_mul_hi_u32 s4, s46, s8
	s_mul_i32 s0, s46, s8
	s_add_i32 s1, s4, s1
	v_mul_f64 v[26:27], s[16:17], v[52:53]
	s_lshl_b64 s[0:1], s[0:1], 4
	v_add3_u32 v3, v3, v5, v4
	s_add_u32 s0, s42, s0
	v_lshlrev_b64 v[4:5], 4, v[0:1]
	s_addc_u32 s1, s43, s1
	v_mul_f64 v[28:29], s[14:15], v[52:53]
	v_lshlrev_b64 v[2:3], 4, v[2:3]
	v_add_co_u32 v78, vcc_lo, s0, v2
	v_add_co_ci_u32_e64 v79, null, s1, v3, vcc_lo
	s_lshl_b64 s[0:1], s[44:45], 8
	v_add_co_u32 v8, vcc_lo, v78, v4
	v_add_co_ci_u32_e64 v9, null, v79, v5, vcc_lo
	v_fma_f64 v[26:27], s[14:15], v[48:49], -v[26:27]
	global_load_dwordx4 v[0:3], v[8:9], off
	v_fma_f64 v[28:29], s[16:17], v[48:49], v[28:29]
	s_waitcnt vmcnt(0)
	v_mul_f64 v[52:53], s[40:41], v[2:3]
	v_mul_f64 v[2:3], s[38:39], v[2:3]
	v_fma_f64 v[48:49], s[38:39], v[0:1], -v[52:53]
	v_fma_f64 v[2:3], s[40:41], v[0:1], v[2:3]
	v_mul_lo_u32 v0, v7, s50
	v_mul_lo_u32 v1, v6, s51
	v_mad_u64_u32 v[6:7], null, v6, s50, 0
	v_add3_u32 v7, v7, v1, v0
	v_lshlrev_b64 v[6:7], 4, v[6:7]
	v_add_f64 v[0:1], v[26:27], v[48:49]
	v_add_f64 v[2:3], v[28:29], v[2:3]
	v_add_co_u32 v48, vcc_lo, s2, v6
	v_add_co_ci_u32_e64 v49, null, s3, v7, vcc_lo
	v_mul_f64 v[26:27], s[16:17], v[36:37]
	v_add_co_u32 v6, vcc_lo, v48, v4
	v_add_co_ci_u32_e64 v7, null, v49, v5, vcc_lo
	v_mul_f64 v[28:29], s[14:15], v[36:37]
	s_lshl_b64 s[2:3], s[50:51], 8
	global_store_dwordx4 v[6:7], v[0:3], off
	global_load_dwordx4 v[0:3], v[8:9], off offset:256
	v_fma_f64 v[26:27], s[14:15], v[34:35], -v[26:27]
	v_fma_f64 v[28:29], s[16:17], v[34:35], v[28:29]
	s_waitcnt vmcnt(0)
	v_mul_f64 v[36:37], s[40:41], v[2:3]
	v_mul_f64 v[2:3], s[38:39], v[2:3]
	v_fma_f64 v[34:35], s[38:39], v[0:1], -v[36:37]
	v_fma_f64 v[2:3], s[40:41], v[0:1], v[2:3]
	v_add_f64 v[0:1], v[26:27], v[34:35]
	v_add_f64 v[2:3], v[28:29], v[2:3]
	v_mul_f64 v[26:27], s[16:17], v[32:33]
	v_mul_f64 v[28:29], s[14:15], v[32:33]
	global_store_dwordx4 v[6:7], v[0:3], off offset:256
	global_load_dwordx4 v[0:3], v[8:9], off offset:512
	v_fma_f64 v[26:27], s[14:15], v[30:31], -v[26:27]
	v_fma_f64 v[28:29], s[16:17], v[30:31], v[28:29]
	s_waitcnt vmcnt(0)
	v_mul_f64 v[32:33], s[40:41], v[2:3]
	v_mul_f64 v[2:3], s[38:39], v[2:3]
	v_fma_f64 v[30:31], s[38:39], v[0:1], -v[32:33]
	v_fma_f64 v[2:3], s[40:41], v[0:1], v[2:3]
	v_add_f64 v[0:1], v[26:27], v[30:31]
	v_add_f64 v[2:3], v[28:29], v[2:3]
	v_add_co_u32 v28, vcc_lo, v78, s0
	v_add_co_ci_u32_e64 v29, null, s1, v79, vcc_lo
	global_store_dwordx4 v[6:7], v[0:3], off offset:512
	global_load_dwordx4 v[0:3], v[8:9], off offset:768
	v_mul_f64 v[8:9], s[16:17], v[24:25]
	v_mul_f64 v[24:25], s[14:15], v[24:25]
	v_fma_f64 v[8:9], s[14:15], v[22:23], -v[8:9]
	v_fma_f64 v[22:23], s[16:17], v[22:23], v[24:25]
	s_waitcnt vmcnt(0)
	v_mul_f64 v[26:27], s[40:41], v[2:3]
	v_mul_f64 v[2:3], s[38:39], v[2:3]
	v_fma_f64 v[24:25], s[38:39], v[0:1], -v[26:27]
	v_fma_f64 v[2:3], s[40:41], v[0:1], v[2:3]
	v_add_f64 v[0:1], v[8:9], v[24:25]
	v_add_f64 v[2:3], v[22:23], v[2:3]
	v_add_co_u32 v8, vcc_lo, v28, v4
	v_add_co_ci_u32_e64 v9, null, v29, v5, vcc_lo
	v_mul_f64 v[22:23], s[14:15], v[72:73]
	v_add_co_u32 v30, vcc_lo, v48, s2
	v_add_co_ci_u32_e64 v31, null, s3, v49, vcc_lo
	global_store_dwordx4 v[6:7], v[0:3], off offset:768
	global_load_dwordx4 v[0:3], v[8:9], off
	v_mul_f64 v[6:7], s[16:17], v[72:73]
	v_fma_f64 v[22:23], s[16:17], v[70:71], v[22:23]
	v_fma_f64 v[6:7], s[14:15], v[70:71], -v[6:7]
	s_waitcnt vmcnt(0)
	v_mul_f64 v[24:25], s[40:41], v[2:3]
	v_mul_f64 v[2:3], s[38:39], v[2:3]
	v_fma_f64 v[24:25], s[38:39], v[0:1], -v[24:25]
	v_fma_f64 v[2:3], s[40:41], v[0:1], v[2:3]
	v_add_f64 v[0:1], v[6:7], v[24:25]
	v_add_f64 v[2:3], v[22:23], v[2:3]
	v_add_co_u32 v6, vcc_lo, v30, v4
	v_add_co_ci_u32_e64 v7, null, v31, v5, vcc_lo
	v_mul_f64 v[22:23], s[16:17], v[64:65]
	v_mul_f64 v[24:25], s[14:15], v[64:65]
	v_add_co_u32 v28, vcc_lo, v28, s0
	v_add_co_ci_u32_e64 v29, null, s1, v29, vcc_lo
	global_store_dwordx4 v[6:7], v[0:3], off
	global_load_dwordx4 v[0:3], v[8:9], off offset:256
	v_fma_f64 v[22:23], s[14:15], v[62:63], -v[22:23]
	v_fma_f64 v[24:25], s[16:17], v[62:63], v[24:25]
	s_waitcnt vmcnt(0)
	v_mul_f64 v[26:27], s[40:41], v[2:3]
	v_mul_f64 v[2:3], s[38:39], v[2:3]
	v_fma_f64 v[26:27], s[38:39], v[0:1], -v[26:27]
	v_fma_f64 v[2:3], s[40:41], v[0:1], v[2:3]
	v_add_f64 v[0:1], v[22:23], v[26:27]
	v_add_f64 v[2:3], v[24:25], v[2:3]
	v_mul_f64 v[22:23], s[16:17], v[58:59]
	v_mul_f64 v[24:25], s[14:15], v[58:59]
	global_store_dwordx4 v[6:7], v[0:3], off offset:256
	global_load_dwordx4 v[0:3], v[8:9], off offset:512
	v_fma_f64 v[22:23], s[14:15], v[54:55], -v[22:23]
	v_fma_f64 v[24:25], s[16:17], v[54:55], v[24:25]
	s_waitcnt vmcnt(0)
	v_mul_f64 v[26:27], s[40:41], v[2:3]
	v_mul_f64 v[2:3], s[38:39], v[2:3]
	v_fma_f64 v[26:27], s[38:39], v[0:1], -v[26:27]
	v_fma_f64 v[2:3], s[40:41], v[0:1], v[2:3]
	v_add_f64 v[0:1], v[22:23], v[26:27]
	v_add_f64 v[2:3], v[24:25], v[2:3]
	v_mul_f64 v[22:23], s[14:15], v[46:47]
	global_store_dwordx4 v[6:7], v[0:3], off offset:512
	global_load_dwordx4 v[0:3], v[8:9], off offset:768
	v_mul_f64 v[8:9], s[16:17], v[46:47]
	v_fma_f64 v[22:23], s[16:17], v[42:43], v[22:23]
	v_fma_f64 v[8:9], s[14:15], v[42:43], -v[8:9]
	s_waitcnt vmcnt(0)
	v_mul_f64 v[24:25], s[40:41], v[2:3]
	v_mul_f64 v[2:3], s[38:39], v[2:3]
	v_fma_f64 v[24:25], s[38:39], v[0:1], -v[24:25]
	v_fma_f64 v[2:3], s[40:41], v[0:1], v[2:3]
	v_add_f64 v[0:1], v[8:9], v[24:25]
	v_add_f64 v[2:3], v[22:23], v[2:3]
	v_add_co_u32 v8, vcc_lo, v28, v4
	v_add_co_ci_u32_e64 v9, null, v29, v5, vcc_lo
	v_mul_f64 v[22:23], s[14:15], v[68:69]
	v_add_co_u32 v30, vcc_lo, v30, s2
	v_add_co_ci_u32_e64 v31, null, s3, v31, vcc_lo
	global_store_dwordx4 v[6:7], v[0:3], off offset:768
	global_load_dwordx4 v[0:3], v[8:9], off
	v_mul_f64 v[6:7], s[16:17], v[68:69]
	v_fma_f64 v[22:23], s[16:17], v[66:67], v[22:23]
	v_fma_f64 v[6:7], s[14:15], v[66:67], -v[6:7]
	s_waitcnt vmcnt(0)
	v_mul_f64 v[24:25], s[40:41], v[2:3]
	v_mul_f64 v[2:3], s[38:39], v[2:3]
	v_fma_f64 v[24:25], s[38:39], v[0:1], -v[24:25]
	v_fma_f64 v[2:3], s[40:41], v[0:1], v[2:3]
	v_add_f64 v[0:1], v[6:7], v[24:25]
	v_add_f64 v[2:3], v[22:23], v[2:3]
	v_add_co_u32 v6, vcc_lo, v30, v4
	v_add_co_ci_u32_e64 v7, null, v31, v5, vcc_lo
	v_mul_f64 v[22:23], s[16:17], v[60:61]
	v_mul_f64 v[24:25], s[14:15], v[60:61]
	global_store_dwordx4 v[6:7], v[0:3], off
	global_load_dwordx4 v[0:3], v[8:9], off offset:256
	v_fma_f64 v[22:23], s[14:15], v[56:57], -v[22:23]
	v_fma_f64 v[24:25], s[16:17], v[56:57], v[24:25]
	s_waitcnt vmcnt(0)
	v_mul_f64 v[26:27], s[40:41], v[2:3]
	v_mul_f64 v[2:3], s[38:39], v[2:3]
	v_fma_f64 v[26:27], s[38:39], v[0:1], -v[26:27]
	v_fma_f64 v[2:3], s[40:41], v[0:1], v[2:3]
	v_add_f64 v[0:1], v[22:23], v[26:27]
	v_add_f64 v[2:3], v[24:25], v[2:3]
	v_mul_f64 v[22:23], s[16:17], v[50:51]
	v_mul_f64 v[24:25], s[14:15], v[50:51]
	global_store_dwordx4 v[6:7], v[0:3], off offset:256
	global_load_dwordx4 v[0:3], v[8:9], off offset:512
	v_fma_f64 v[22:23], s[14:15], v[44:45], -v[22:23]
	v_fma_f64 v[24:25], s[16:17], v[44:45], v[24:25]
	s_waitcnt vmcnt(0)
	v_mul_f64 v[26:27], s[40:41], v[2:3]
	v_mul_f64 v[2:3], s[38:39], v[2:3]
	v_fma_f64 v[26:27], s[38:39], v[0:1], -v[26:27]
	v_fma_f64 v[2:3], s[40:41], v[0:1], v[2:3]
	v_add_f64 v[0:1], v[22:23], v[26:27]
	v_add_f64 v[2:3], v[24:25], v[2:3]
	v_mul_f64 v[22:23], s[14:15], v[40:41]
	global_store_dwordx4 v[6:7], v[0:3], off offset:512
	global_load_dwordx4 v[0:3], v[8:9], off offset:768
	v_mul_f64 v[8:9], s[16:17], v[40:41]
	v_fma_f64 v[22:23], s[16:17], v[38:39], v[22:23]
	v_fma_f64 v[8:9], s[14:15], v[38:39], -v[8:9]
	s_waitcnt vmcnt(0)
	v_mul_f64 v[24:25], s[40:41], v[2:3]
	v_mul_f64 v[2:3], s[38:39], v[2:3]
	v_fma_f64 v[24:25], s[38:39], v[0:1], -v[24:25]
	v_fma_f64 v[2:3], s[40:41], v[0:1], v[2:3]
	v_add_f64 v[0:1], v[8:9], v[24:25]
	v_add_f64 v[2:3], v[22:23], v[2:3]
	v_add_co_u32 v8, vcc_lo, v28, s0
	v_add_co_ci_u32_e64 v9, null, s1, v29, vcc_lo
	v_add_co_u32 v8, vcc_lo, v8, v4
	v_add_co_ci_u32_e64 v9, null, v9, v5, vcc_lo
	global_store_dwordx4 v[6:7], v[0:3], off offset:768
	global_load_dwordx4 v[0:3], v[8:9], off
	v_mul_f64 v[6:7], s[16:17], v[20:21]
	v_mul_f64 v[20:21], s[14:15], v[20:21]
	v_fma_f64 v[6:7], s[14:15], v[18:19], -v[6:7]
	v_fma_f64 v[18:19], s[16:17], v[18:19], v[20:21]
	s_waitcnt vmcnt(0)
	v_mul_f64 v[22:23], s[40:41], v[2:3]
	v_mul_f64 v[2:3], s[38:39], v[2:3]
	v_fma_f64 v[20:21], s[38:39], v[0:1], -v[22:23]
	v_fma_f64 v[2:3], s[40:41], v[0:1], v[2:3]
	v_add_f64 v[0:1], v[6:7], v[20:21]
	v_add_f64 v[2:3], v[18:19], v[2:3]
	v_add_co_u32 v6, vcc_lo, v30, s2
	v_add_co_ci_u32_e64 v7, null, s3, v31, vcc_lo
	v_add_co_u32 v6, vcc_lo, v6, v4
	v_add_co_ci_u32_e64 v7, null, v7, v5, vcc_lo
	v_mul_f64 v[4:5], s[16:17], v[16:17]
	v_mul_f64 v[16:17], s[14:15], v[16:17]
	global_store_dwordx4 v[6:7], v[0:3], off
	global_load_dwordx4 v[0:3], v[8:9], off offset:256
	v_fma_f64 v[4:5], s[14:15], v[14:15], -v[4:5]
	v_fma_f64 v[14:15], s[16:17], v[14:15], v[16:17]
	s_waitcnt vmcnt(0)
	v_mul_f64 v[18:19], s[40:41], v[2:3]
	v_mul_f64 v[2:3], s[38:39], v[2:3]
	v_fma_f64 v[16:17], s[38:39], v[0:1], -v[18:19]
	v_fma_f64 v[2:3], s[40:41], v[0:1], v[2:3]
	v_add_f64 v[0:1], v[4:5], v[16:17]
	v_add_f64 v[2:3], v[14:15], v[2:3]
	v_mul_f64 v[4:5], s[16:17], v[12:13]
	v_mul_f64 v[12:13], s[14:15], v[12:13]
	global_store_dwordx4 v[6:7], v[0:3], off offset:256
	global_load_dwordx4 v[0:3], v[8:9], off offset:512
	v_fma_f64 v[4:5], s[14:15], v[10:11], -v[4:5]
	v_fma_f64 v[10:11], s[16:17], v[10:11], v[12:13]
	s_waitcnt vmcnt(0)
	v_mul_f64 v[14:15], s[40:41], v[2:3]
	v_mul_f64 v[2:3], s[38:39], v[2:3]
	v_fma_f64 v[12:13], s[38:39], v[0:1], -v[14:15]
	v_fma_f64 v[2:3], s[40:41], v[0:1], v[2:3]
	v_add_f64 v[0:1], v[4:5], v[12:13]
	v_add_f64 v[2:3], v[10:11], v[2:3]
	v_mul_f64 v[4:5], s[16:17], v[76:77]
	global_store_dwordx4 v[6:7], v[0:3], off offset:512
	global_load_dwordx4 v[0:3], v[8:9], off offset:768
	v_mul_f64 v[8:9], s[14:15], v[76:77]
	v_fma_f64 v[4:5], s[14:15], v[74:75], -v[4:5]
	v_fma_f64 v[8:9], s[16:17], v[74:75], v[8:9]
	s_waitcnt vmcnt(0)
	v_mul_f64 v[10:11], s[40:41], v[2:3]
	v_mul_f64 v[2:3], s[38:39], v[2:3]
	v_fma_f64 v[10:11], s[38:39], v[0:1], -v[10:11]
	v_fma_f64 v[0:1], s[40:41], v[0:1], v[2:3]
	v_add_f64 v[10:11], v[4:5], v[10:11]
	v_add_f64 v[2:3], v[8:9], v[0:1]
	v_add_co_u32 v4, vcc_lo, 0x300, v6
	v_add_co_ci_u32_e64 v5, null, 0, v7, vcc_lo
	global_store_dwordx2 v[6:7], v[10:11], off offset:768
.LBB126_8:
	global_store_dwordx2 v[4:5], v[2:3], off offset:8
	s_endpgm
	.section	.rodata,"a",@progbits
	.p2align	6, 0x0
	.amdhsa_kernel _ZN12_GLOBAL__N_127rocblas_gemm_batched_kernelI19rocblas_complex_numIdELi16ELi16ELi64ELi64ELi4ELi64ELi4ELi4ELi64ELc84ELc67EKS2_S3_S2_EEvlllT_PT11_llS6_llS4_PT12_llPT13_lli
		.amdhsa_group_segment_fixed_size 8192
		.amdhsa_private_segment_fixed_size 0
		.amdhsa_kernarg_size 156
		.amdhsa_user_sgpr_count 6
		.amdhsa_user_sgpr_private_segment_buffer 1
		.amdhsa_user_sgpr_dispatch_ptr 0
		.amdhsa_user_sgpr_queue_ptr 0
		.amdhsa_user_sgpr_kernarg_segment_ptr 1
		.amdhsa_user_sgpr_dispatch_id 0
		.amdhsa_user_sgpr_flat_scratch_init 0
		.amdhsa_user_sgpr_private_segment_size 0
		.amdhsa_wavefront_size32 1
		.amdhsa_uses_dynamic_stack 0
		.amdhsa_system_sgpr_private_segment_wavefront_offset 0
		.amdhsa_system_sgpr_workgroup_id_x 1
		.amdhsa_system_sgpr_workgroup_id_y 1
		.amdhsa_system_sgpr_workgroup_id_z 1
		.amdhsa_system_sgpr_workgroup_info 0
		.amdhsa_system_vgpr_workitem_id 1
		.amdhsa_next_free_vgpr 138
		.amdhsa_next_free_sgpr 52
		.amdhsa_reserve_vcc 1
		.amdhsa_reserve_flat_scratch 0
		.amdhsa_float_round_mode_32 0
		.amdhsa_float_round_mode_16_64 0
		.amdhsa_float_denorm_mode_32 3
		.amdhsa_float_denorm_mode_16_64 3
		.amdhsa_dx10_clamp 1
		.amdhsa_ieee_mode 1
		.amdhsa_fp16_overflow 0
		.amdhsa_workgroup_processor_mode 1
		.amdhsa_memory_ordered 1
		.amdhsa_forward_progress 1
		.amdhsa_shared_vgpr_count 0
		.amdhsa_exception_fp_ieee_invalid_op 0
		.amdhsa_exception_fp_denorm_src 0
		.amdhsa_exception_fp_ieee_div_zero 0
		.amdhsa_exception_fp_ieee_overflow 0
		.amdhsa_exception_fp_ieee_underflow 0
		.amdhsa_exception_fp_ieee_inexact 0
		.amdhsa_exception_int_div_zero 0
	.end_amdhsa_kernel
	.section	.text._ZN12_GLOBAL__N_127rocblas_gemm_batched_kernelI19rocblas_complex_numIdELi16ELi16ELi64ELi64ELi4ELi64ELi4ELi4ELi64ELc84ELc67EKS2_S3_S2_EEvlllT_PT11_llS6_llS4_PT12_llPT13_lli,"axG",@progbits,_ZN12_GLOBAL__N_127rocblas_gemm_batched_kernelI19rocblas_complex_numIdELi16ELi16ELi64ELi64ELi4ELi64ELi4ELi4ELi64ELc84ELc67EKS2_S3_S2_EEvlllT_PT11_llS6_llS4_PT12_llPT13_lli,comdat
.Lfunc_end126:
	.size	_ZN12_GLOBAL__N_127rocblas_gemm_batched_kernelI19rocblas_complex_numIdELi16ELi16ELi64ELi64ELi4ELi64ELi4ELi4ELi64ELc84ELc67EKS2_S3_S2_EEvlllT_PT11_llS6_llS4_PT12_llPT13_lli, .Lfunc_end126-_ZN12_GLOBAL__N_127rocblas_gemm_batched_kernelI19rocblas_complex_numIdELi16ELi16ELi64ELi64ELi4ELi64ELi4ELi4ELi64ELc84ELc67EKS2_S3_S2_EEvlllT_PT11_llS6_llS4_PT12_llPT13_lli
                                        ; -- End function
	.set _ZN12_GLOBAL__N_127rocblas_gemm_batched_kernelI19rocblas_complex_numIdELi16ELi16ELi64ELi64ELi4ELi64ELi4ELi4ELi64ELc84ELc67EKS2_S3_S2_EEvlllT_PT11_llS6_llS4_PT12_llPT13_lli.num_vgpr, 138
	.set _ZN12_GLOBAL__N_127rocblas_gemm_batched_kernelI19rocblas_complex_numIdELi16ELi16ELi64ELi64ELi4ELi64ELi4ELi4ELi64ELc84ELc67EKS2_S3_S2_EEvlllT_PT11_llS6_llS4_PT12_llPT13_lli.num_agpr, 0
	.set _ZN12_GLOBAL__N_127rocblas_gemm_batched_kernelI19rocblas_complex_numIdELi16ELi16ELi64ELi64ELi4ELi64ELi4ELi4ELi64ELc84ELc67EKS2_S3_S2_EEvlllT_PT11_llS6_llS4_PT12_llPT13_lli.numbered_sgpr, 52
	.set _ZN12_GLOBAL__N_127rocblas_gemm_batched_kernelI19rocblas_complex_numIdELi16ELi16ELi64ELi64ELi4ELi64ELi4ELi4ELi64ELc84ELc67EKS2_S3_S2_EEvlllT_PT11_llS6_llS4_PT12_llPT13_lli.num_named_barrier, 0
	.set _ZN12_GLOBAL__N_127rocblas_gemm_batched_kernelI19rocblas_complex_numIdELi16ELi16ELi64ELi64ELi4ELi64ELi4ELi4ELi64ELc84ELc67EKS2_S3_S2_EEvlllT_PT11_llS6_llS4_PT12_llPT13_lli.private_seg_size, 0
	.set _ZN12_GLOBAL__N_127rocblas_gemm_batched_kernelI19rocblas_complex_numIdELi16ELi16ELi64ELi64ELi4ELi64ELi4ELi4ELi64ELc84ELc67EKS2_S3_S2_EEvlllT_PT11_llS6_llS4_PT12_llPT13_lli.uses_vcc, 1
	.set _ZN12_GLOBAL__N_127rocblas_gemm_batched_kernelI19rocblas_complex_numIdELi16ELi16ELi64ELi64ELi4ELi64ELi4ELi4ELi64ELc84ELc67EKS2_S3_S2_EEvlllT_PT11_llS6_llS4_PT12_llPT13_lli.uses_flat_scratch, 0
	.set _ZN12_GLOBAL__N_127rocblas_gemm_batched_kernelI19rocblas_complex_numIdELi16ELi16ELi64ELi64ELi4ELi64ELi4ELi4ELi64ELc84ELc67EKS2_S3_S2_EEvlllT_PT11_llS6_llS4_PT12_llPT13_lli.has_dyn_sized_stack, 0
	.set _ZN12_GLOBAL__N_127rocblas_gemm_batched_kernelI19rocblas_complex_numIdELi16ELi16ELi64ELi64ELi4ELi64ELi4ELi4ELi64ELc84ELc67EKS2_S3_S2_EEvlllT_PT11_llS6_llS4_PT12_llPT13_lli.has_recursion, 0
	.set _ZN12_GLOBAL__N_127rocblas_gemm_batched_kernelI19rocblas_complex_numIdELi16ELi16ELi64ELi64ELi4ELi64ELi4ELi4ELi64ELc84ELc67EKS2_S3_S2_EEvlllT_PT11_llS6_llS4_PT12_llPT13_lli.has_indirect_call, 0
	.section	.AMDGPU.csdata,"",@progbits
; Kernel info:
; codeLenInByte = 7408
; TotalNumSgprs: 54
; NumVgprs: 138
; ScratchSize: 0
; MemoryBound: 0
; FloatMode: 240
; IeeeMode: 1
; LDSByteSize: 8192 bytes/workgroup (compile time only)
; SGPRBlocks: 0
; VGPRBlocks: 17
; NumSGPRsForWavesPerEU: 54
; NumVGPRsForWavesPerEU: 138
; Occupancy: 7
; WaveLimiterHint : 1
; COMPUTE_PGM_RSRC2:SCRATCH_EN: 0
; COMPUTE_PGM_RSRC2:USER_SGPR: 6
; COMPUTE_PGM_RSRC2:TRAP_HANDLER: 0
; COMPUTE_PGM_RSRC2:TGID_X_EN: 1
; COMPUTE_PGM_RSRC2:TGID_Y_EN: 1
; COMPUTE_PGM_RSRC2:TGID_Z_EN: 1
; COMPUTE_PGM_RSRC2:TIDIG_COMP_CNT: 1
	.section	.text._ZN12_GLOBAL__N_127rocblas_gemm_batched_kernelI19rocblas_complex_numIdELi16ELi16ELi32ELi32ELi8ELi32ELi8ELi8ELi32ELc78ELc78EKS2_S3_S2_EEvlllT_PT11_llS6_llS4_PT12_llPT13_lli,"axG",@progbits,_ZN12_GLOBAL__N_127rocblas_gemm_batched_kernelI19rocblas_complex_numIdELi16ELi16ELi32ELi32ELi8ELi32ELi8ELi8ELi32ELc78ELc78EKS2_S3_S2_EEvlllT_PT11_llS6_llS4_PT12_llPT13_lli,comdat
	.globl	_ZN12_GLOBAL__N_127rocblas_gemm_batched_kernelI19rocblas_complex_numIdELi16ELi16ELi32ELi32ELi8ELi32ELi8ELi8ELi32ELc78ELc78EKS2_S3_S2_EEvlllT_PT11_llS6_llS4_PT12_llPT13_lli ; -- Begin function _ZN12_GLOBAL__N_127rocblas_gemm_batched_kernelI19rocblas_complex_numIdELi16ELi16ELi32ELi32ELi8ELi32ELi8ELi8ELi32ELc78ELc78EKS2_S3_S2_EEvlllT_PT11_llS6_llS4_PT12_llPT13_lli
	.p2align	8
	.type	_ZN12_GLOBAL__N_127rocblas_gemm_batched_kernelI19rocblas_complex_numIdELi16ELi16ELi32ELi32ELi8ELi32ELi8ELi8ELi32ELc78ELc78EKS2_S3_S2_EEvlllT_PT11_llS6_llS4_PT12_llPT13_lli,@function
_ZN12_GLOBAL__N_127rocblas_gemm_batched_kernelI19rocblas_complex_numIdELi16ELi16ELi32ELi32ELi8ELi32ELi8ELi8ELi32ELc78ELc78EKS2_S3_S2_EEvlllT_PT11_llS6_llS4_PT12_llPT13_lli: ; @_ZN12_GLOBAL__N_127rocblas_gemm_batched_kernelI19rocblas_complex_numIdELi16ELi16ELi32ELi32ELi8ELi32ELi8ELi8ELi32ELc78ELc78EKS2_S3_S2_EEvlllT_PT11_llS6_llS4_PT12_llPT13_lli
; %bb.0:
	s_clause 0x1
	s_load_dwordx16 s[12:27], s[4:5], 0x10
	s_load_dwordx16 s[36:51], s[4:5], 0x50
	s_mov_b32 s2, s7
	s_ashr_i32 s7, s6, 31
	s_ashr_i32 s3, s2, 31
	s_lshl_b64 s[0:1], s[6:7], 5
	s_lshl_b64 s[2:3], s[2:3], 5
	s_waitcnt lgkmcnt(0)
	v_cmp_lt_i64_e64 s9, s[12:13], 1
	s_and_b32 vcc_lo, exec_lo, s9
	s_cbranch_vccnz .LBB127_3
; %bb.1:
	v_lshl_add_u32 v2, v1, 4, v0
	v_and_b32_e32 v3, 7, v0
	s_mul_i32 s6, s23, s8
	s_mul_hi_u32 s7, s22, s8
	v_mov_b32_e32 v12, 0
	v_lshrrev_b32_e32 v4, 5, v2
	v_lshrrev_b32_e32 v5, 3, v2
	v_lshlrev_b32_e32 v7, 4, v3
	v_and_b32_e32 v6, 31, v2
	s_add_i32 s7, s7, s6
	v_mad_u64_u32 v[2:3], null, s20, v4, s[0:1]
	v_lshl_or_b32 v9, v5, 7, v7
	v_add_co_u32 v5, s6, v5, s2
	v_lshlrev_b32_e32 v8, 4, v6
	v_add_co_ci_u32_e64 v10, null, 0, s3, s6
	v_add_nc_u32_e32 v24, 0x1000, v9
	s_mul_i32 s6, s22, s8
	v_lshl_or_b32 v23, v4, 9, v8
	v_mad_u64_u32 v[3:4], null, s21, v4, v[3:4]
	v_mul_lo_u32 v8, s27, v5
	v_mul_lo_u32 v9, s26, v10
	v_mad_u64_u32 v[4:5], null, s26, v5, 0
	v_add_co_u32 v2, vcc_lo, v2, v6
	s_lshl_b64 s[6:7], s[6:7], 4
	v_add_co_ci_u32_e64 v3, null, 0, v3, vcc_lo
	s_add_u32 s9, s18, s6
	v_add3_u32 v5, v5, v9, v8
	s_addc_u32 s10, s19, s7
	s_mul_i32 s6, s37, s8
	s_mul_hi_u32 s7, s36, s8
	v_lshlrev_b64 v[2:3], 4, v[2:3]
	v_lshlrev_b64 v[4:5], 4, v[4:5]
	s_add_i32 s7, s7, s6
	s_mul_i32 s6, s36, s8
	v_mov_b32_e32 v8, 0
	s_lshl_b64 s[6:7], s[6:7], 4
	v_mov_b32_e32 v10, 0
	v_add_co_u32 v4, vcc_lo, v4, s6
	v_add_co_ci_u32_e64 v5, null, s7, v5, vcc_lo
	v_add_co_u32 v18, vcc_lo, s9, v2
	v_add_co_ci_u32_e64 v19, null, s10, v3, vcc_lo
	;; [unrolled: 2-line block ×3, first 2 shown]
	v_mov_b32_e32 v4, 0
	v_add_co_u32 v20, vcc_lo, s24, v20
	v_mov_b32_e32 v2, 0
	v_mov_b32_e32 v6, 0
	;; [unrolled: 1-line block ×4, first 2 shown]
	v_lshlrev_b32_e32 v22, 4, v0
	v_lshl_add_u32 v25, v1, 7, 0x1000
	v_mov_b32_e32 v5, 0
	v_mov_b32_e32 v3, 0
	;; [unrolled: 1-line block ×8, first 2 shown]
	v_add_co_ci_u32_e64 v21, null, s25, v21, vcc_lo
	s_lshl_b64 s[6:7], s[20:21], 7
	s_mov_b64 s[10:11], 0
.LBB127_2:                              ; =>This Inner Loop Header: Depth=1
	global_load_dwordx4 v[26:29], v[18:19], off
	global_load_dwordx4 v[30:33], v[20:21], off
	s_add_u32 s10, s10, 8
	s_addc_u32 s11, s11, 0
	v_add_co_u32 v18, vcc_lo, v18, s6
	v_cmp_lt_i64_e64 s9, s[10:11], s[12:13]
	v_add_co_ci_u32_e64 v19, null, s7, v19, vcc_lo
	v_add_co_u32 v20, vcc_lo, 0x80, v20
	v_add_co_ci_u32_e64 v21, null, 0, v21, vcc_lo
	s_and_b32 vcc_lo, exec_lo, s9
	s_waitcnt vmcnt(1)
	ds_write2_b64 v23, v[26:27], v[28:29] offset1:1
	s_waitcnt vmcnt(0)
	ds_write2_b64 v24, v[30:31], v[32:33] offset1:1
	s_waitcnt lgkmcnt(0)
	s_barrier
	buffer_gl0_inv
	ds_read_b128 v[26:29], v22
	ds_read_b128 v[30:33], v22 offset:256
	ds_read_b128 v[34:37], v25
	ds_read_b128 v[38:41], v25 offset:16
	ds_read_b128 v[42:45], v25 offset:2048
	;; [unrolled: 1-line block ×28, first 2 shown]
	s_waitcnt lgkmcnt(28)
	v_mul_f64 v[150:151], v[36:37], v[28:29]
	v_mul_f64 v[154:155], v[36:37], v[32:33]
	;; [unrolled: 1-line block ×4, first 2 shown]
	v_fma_f64 v[150:151], v[34:35], v[26:27], -v[150:151]
	v_fma_f64 v[34:35], v[34:35], v[30:31], -v[154:155]
	s_waitcnt lgkmcnt(26)
	v_mul_f64 v[154:155], v[44:45], v[28:29]
	v_mul_f64 v[28:29], v[42:43], v[28:29]
	v_fma_f64 v[152:153], v[36:37], v[26:27], v[152:153]
	v_fma_f64 v[36:37], v[36:37], v[30:31], v[156:157]
	v_add_f64 v[14:15], v[14:15], v[150:151]
	v_add_f64 v[10:11], v[10:11], v[34:35]
	v_fma_f64 v[154:155], v[42:43], v[26:27], -v[154:155]
	v_fma_f64 v[156:157], v[44:45], v[26:27], v[28:29]
	v_mul_f64 v[26:27], v[44:45], v[32:33]
	v_mul_f64 v[28:29], v[42:43], v[32:33]
	v_add_f64 v[16:17], v[152:153], v[16:17]
	v_add_f64 v[12:13], v[36:37], v[12:13]
	s_waitcnt lgkmcnt(16)
	v_mul_f64 v[34:35], v[64:65], v[84:85]
	v_mul_f64 v[36:37], v[62:63], v[84:85]
	s_waitcnt lgkmcnt(15)
	v_mul_f64 v[150:151], v[62:63], v[88:89]
	s_waitcnt lgkmcnt(12)
	v_mul_f64 v[152:153], v[98:99], v[96:97]
	v_add_f64 v[6:7], v[6:7], v[154:155]
	v_add_f64 v[8:9], v[156:157], v[8:9]
	v_fma_f64 v[32:33], v[42:43], v[30:31], -v[26:27]
	v_fma_f64 v[30:31], v[44:45], v[30:31], v[28:29]
	v_mul_f64 v[26:27], v[40:41], v[52:53]
	v_mul_f64 v[28:29], v[38:39], v[52:53]
	;; [unrolled: 1-line block ×4, first 2 shown]
	v_fma_f64 v[34:35], v[62:63], v[82:83], -v[34:35]
	v_fma_f64 v[36:37], v[64:65], v[82:83], v[36:37]
	v_add_f64 v[2:3], v[2:3], v[32:33]
	v_add_f64 v[4:5], v[30:31], v[4:5]
	v_fma_f64 v[158:159], v[38:39], v[50:51], -v[26:27]
	v_fma_f64 v[160:161], v[40:41], v[50:51], v[28:29]
	v_mul_f64 v[26:27], v[48:49], v[52:53]
	v_mul_f64 v[28:29], v[46:47], v[52:53]
	v_fma_f64 v[38:39], v[38:39], v[54:55], -v[42:43]
	v_fma_f64 v[40:41], v[40:41], v[54:55], v[44:45]
	v_mul_f64 v[52:53], v[58:59], v[72:73]
	v_mul_f64 v[30:31], v[80:81], v[84:85]
	;; [unrolled: 1-line block ×4, first 2 shown]
	v_add_f64 v[14:15], v[14:15], v[158:159]
	v_add_f64 v[16:17], v[160:161], v[16:17]
	v_fma_f64 v[42:43], v[46:47], v[50:51], -v[26:27]
	v_fma_f64 v[44:45], v[48:49], v[50:51], v[28:29]
	v_mul_f64 v[26:27], v[48:49], v[56:57]
	v_mul_f64 v[28:29], v[46:47], v[56:57]
	;; [unrolled: 1-line block ×3, first 2 shown]
	v_fma_f64 v[52:53], v[60:61], v[70:71], v[52:53]
	v_add_f64 v[10:11], v[10:11], v[38:39]
	v_add_f64 v[12:13], v[40:41], v[12:13]
	s_waitcnt lgkmcnt(10)
	v_mul_f64 v[38:39], v[108:109], v[92:93]
	v_mul_f64 v[40:41], v[106:107], v[92:93]
	v_fma_f64 v[30:31], v[78:79], v[82:83], -v[30:31]
	v_fma_f64 v[32:33], v[80:81], v[82:83], v[32:33]
	s_waitcnt lgkmcnt(8)
	v_mul_f64 v[82:83], v[112:113], v[116:117]
	v_add_f64 v[6:7], v[6:7], v[42:43]
	v_add_f64 v[8:9], v[44:45], v[8:9]
	v_fma_f64 v[46:47], v[46:47], v[54:55], -v[26:27]
	v_fma_f64 v[48:49], v[48:49], v[54:55], v[28:29]
	v_mul_f64 v[26:27], v[60:61], v[68:69]
	v_mul_f64 v[28:29], v[58:59], v[68:69]
	v_fma_f64 v[50:51], v[58:59], v[70:71], -v[50:51]
	v_mul_f64 v[42:43], v[108:109], v[96:97]
	v_mul_f64 v[44:45], v[106:107], v[96:97]
	v_add_f64 v[12:13], v[52:53], v[12:13]
	s_waitcnt lgkmcnt(7)
	v_mul_f64 v[52:53], v[110:111], v[120:121]
	v_fma_f64 v[38:39], v[106:107], v[90:91], -v[38:39]
	v_fma_f64 v[40:41], v[108:109], v[90:91], v[40:41]
	v_add_f64 v[2:3], v[2:3], v[46:47]
	v_add_f64 v[4:5], v[48:49], v[4:5]
	v_fma_f64 v[54:55], v[58:59], v[66:67], -v[26:27]
	v_fma_f64 v[56:57], v[60:61], v[66:67], v[28:29]
	v_mul_f64 v[26:27], v[76:77], v[68:69]
	v_mul_f64 v[28:29], v[74:75], v[68:69]
	;; [unrolled: 1-line block ×3, first 2 shown]
	v_add_f64 v[10:11], v[10:11], v[50:51]
	v_mul_f64 v[46:47], v[104:105], v[116:117]
	v_mul_f64 v[48:49], v[102:103], v[116:117]
	;; [unrolled: 1-line block ×3, first 2 shown]
	v_fma_f64 v[42:43], v[106:107], v[94:95], -v[42:43]
	v_fma_f64 v[44:45], v[108:109], v[94:95], v[44:45]
	v_fma_f64 v[52:53], v[112:113], v[118:119], v[52:53]
	v_add_f64 v[14:15], v[14:15], v[54:55]
	v_add_f64 v[16:17], v[56:57], v[16:17]
	v_fma_f64 v[58:59], v[74:75], v[66:67], -v[26:27]
	v_fma_f64 v[60:61], v[76:77], v[66:67], v[28:29]
	v_mul_f64 v[66:67], v[76:77], v[72:73]
	v_mul_f64 v[72:73], v[64:65], v[88:89]
	v_fma_f64 v[68:69], v[76:77], v[70:71], v[68:69]
	v_mul_f64 v[76:77], v[100:101], v[92:93]
	v_fma_f64 v[64:65], v[64:65], v[86:87], v[150:151]
	v_mul_f64 v[92:93], v[102:103], v[120:121]
	s_waitcnt lgkmcnt(4)
	v_mul_f64 v[54:55], v[132:133], v[124:125]
	v_mul_f64 v[56:57], v[130:131], v[124:125]
	v_fma_f64 v[46:47], v[102:103], v[114:115], -v[46:47]
	v_fma_f64 v[48:49], v[104:105], v[114:115], v[48:49]
	v_fma_f64 v[50:51], v[110:111], v[118:119], -v[50:51]
	ds_read_b128 v[26:29], v22 offset:3840
	s_waitcnt lgkmcnt(0)
	s_barrier
	buffer_gl0_inv
	v_add_f64 v[14:15], v[14:15], v[34:35]
	v_add_f64 v[16:17], v[36:37], v[16:17]
	;; [unrolled: 1-line block ×4, first 2 shown]
	v_fma_f64 v[66:67], v[74:75], v[70:71], -v[66:67]
	v_mul_f64 v[70:71], v[80:81], v[88:89]
	v_mul_f64 v[74:75], v[78:79], v[88:89]
	;; [unrolled: 1-line block ×3, first 2 shown]
	v_fma_f64 v[62:63], v[62:63], v[86:87], -v[72:73]
	v_add_f64 v[4:5], v[68:69], v[4:5]
	v_mul_f64 v[72:73], v[104:105], v[120:121]
	v_mul_f64 v[96:97], v[110:111], v[116:117]
	v_fma_f64 v[68:69], v[100:101], v[90:91], v[84:85]
	v_add_f64 v[12:13], v[64:65], v[12:13]
	v_mul_f64 v[58:59], v[132:133], v[128:129]
	v_mul_f64 v[60:61], v[130:131], v[128:129]
	;; [unrolled: 1-line block ×5, first 2 shown]
	v_fma_f64 v[54:55], v[130:131], v[122:123], -v[54:55]
	v_fma_f64 v[56:57], v[132:133], v[122:123], v[56:57]
	v_add_f64 v[6:7], v[6:7], v[30:31]
	v_add_f64 v[8:9], v[32:33], v[8:9]
	;; [unrolled: 1-line block ×3, first 2 shown]
	v_fma_f64 v[70:71], v[78:79], v[86:87], -v[70:71]
	v_fma_f64 v[74:75], v[80:81], v[86:87], v[74:75]
	v_fma_f64 v[66:67], v[98:99], v[90:91], -v[76:77]
	v_fma_f64 v[76:77], v[98:99], v[94:95], -v[88:89]
	v_fma_f64 v[78:79], v[100:101], v[94:95], v[152:153]
	v_add_f64 v[10:11], v[10:11], v[62:63]
	v_mul_f64 v[30:31], v[140:141], v[124:125]
	v_mul_f64 v[32:33], v[138:139], v[124:125]
	v_fma_f64 v[80:81], v[112:113], v[114:115], v[96:97]
	v_add_f64 v[16:17], v[68:69], v[16:17]
	v_mul_f64 v[62:63], v[136:137], v[148:149]
	v_fma_f64 v[58:59], v[130:131], v[126:127], -v[58:59]
	v_fma_f64 v[60:61], v[132:133], v[126:127], v[60:61]
	v_fma_f64 v[34:35], v[138:139], v[126:127], -v[34:35]
	v_fma_f64 v[36:37], v[140:141], v[126:127], v[36:37]
	v_add_f64 v[6:7], v[6:7], v[38:39]
	v_add_f64 v[8:9], v[40:41], v[8:9]
	v_mul_f64 v[38:39], v[136:137], v[28:29]
	v_add_f64 v[2:3], v[2:3], v[70:71]
	v_add_f64 v[4:5], v[74:75], v[4:5]
	v_fma_f64 v[70:71], v[102:103], v[118:119], -v[72:73]
	v_fma_f64 v[72:73], v[104:105], v[118:119], v[92:93]
	v_fma_f64 v[74:75], v[110:111], v[114:115], -v[82:83]
	v_add_f64 v[14:15], v[14:15], v[66:67]
	v_add_f64 v[10:11], v[10:11], v[76:77]
	;; [unrolled: 1-line block ×3, first 2 shown]
	v_mul_f64 v[40:41], v[134:135], v[28:29]
	v_mul_f64 v[66:67], v[144:145], v[28:29]
	;; [unrolled: 1-line block ×3, first 2 shown]
	v_fma_f64 v[30:31], v[138:139], v[122:123], -v[30:31]
	v_fma_f64 v[32:33], v[140:141], v[122:123], v[32:33]
	v_add_f64 v[16:17], v[48:49], v[16:17]
	v_fma_f64 v[48:49], v[136:137], v[146:147], v[64:65]
	v_add_f64 v[8:9], v[80:81], v[8:9]
	v_fma_f64 v[38:39], v[134:135], v[26:27], -v[38:39]
	v_add_f64 v[2:3], v[2:3], v[42:43]
	v_add_f64 v[4:5], v[44:45], v[4:5]
	v_mul_f64 v[42:43], v[144:145], v[148:149]
	v_mul_f64 v[44:45], v[142:143], v[148:149]
	v_add_f64 v[6:7], v[6:7], v[74:75]
	v_add_f64 v[14:15], v[14:15], v[46:47]
	;; [unrolled: 1-line block ×4, first 2 shown]
	v_fma_f64 v[46:47], v[134:135], v[146:147], -v[62:63]
	v_fma_f64 v[40:41], v[136:137], v[26:27], v[40:41]
	v_add_f64 v[16:17], v[56:57], v[16:17]
	v_add_f64 v[8:9], v[32:33], v[8:9]
	;; [unrolled: 1-line block ×4, first 2 shown]
	v_fma_f64 v[42:43], v[142:143], v[146:147], -v[42:43]
	v_fma_f64 v[44:45], v[144:145], v[146:147], v[44:45]
	v_fma_f64 v[50:51], v[142:143], v[26:27], -v[66:67]
	v_fma_f64 v[26:27], v[144:145], v[26:27], v[28:29]
	v_add_f64 v[14:15], v[14:15], v[54:55]
	v_add_f64 v[10:11], v[10:11], v[58:59]
	;; [unrolled: 1-line block ×14, first 2 shown]
	s_cbranch_vccnz .LBB127_2
	s_branch .LBB127_4
.LBB127_3:
	v_mov_b32_e32 v14, 0
	v_mov_b32_e32 v16, 0
	;; [unrolled: 1-line block ×16, first 2 shown]
.LBB127_4:
	s_load_dwordx2 s[4:5], s[4:5], 0x90
	v_cmp_neq_f64_e64 s6, s[38:39], 0
	v_cmp_neq_f64_e64 s7, s[40:41], 0
	v_add_co_u32 v22, s2, s2, v1
	v_add_co_u32 v0, s0, s0, v0
	v_add_co_ci_u32_e64 v23, null, s3, 0, s2
	v_add_co_ci_u32_e64 v1, null, s1, 0, s0
	s_waitcnt lgkmcnt(0)
	s_mul_i32 s5, s5, s8
	s_mul_hi_u32 s9, s4, s8
	s_mul_i32 s4, s4, s8
	s_add_i32 s5, s9, s5
	s_lshl_b64 s[4:5], s[4:5], 4
	s_add_u32 s2, s48, s4
	s_addc_u32 s3, s49, s5
	s_or_b32 s4, s6, s7
	s_and_b32 vcc_lo, exec_lo, s4
	s_cbranch_vccnz .LBB127_6
; %bb.5:
	v_mul_f64 v[20:21], s[16:17], v[16:17]
	v_mul_f64 v[26:27], s[14:15], v[16:17]
	;; [unrolled: 1-line block ×4, first 2 shown]
	v_mul_lo_u32 v24, v23, s50
	v_mul_lo_u32 v25, v22, s51
	v_mad_u64_u32 v[18:19], null, v22, s50, 0
	v_mul_f64 v[28:29], s[16:17], v[12:13]
	v_mul_f64 v[30:31], s[14:15], v[12:13]
	;; [unrolled: 1-line block ×4, first 2 shown]
	s_lshl_b64 s[0:1], s[50:51], 8
	v_lshlrev_b64 v[40:41], 4, v[0:1]
	v_add3_u32 v19, v19, v25, v24
	v_lshlrev_b64 v[18:19], 4, v[18:19]
	v_fma_f64 v[24:25], s[14:15], v[14:15], -v[20:21]
	v_fma_f64 v[26:27], s[16:17], v[14:15], v[26:27]
	v_fma_f64 v[36:37], s[14:15], v[2:3], -v[36:37]
	v_add_co_u32 v42, vcc_lo, s2, v18
	v_add_co_ci_u32_e64 v43, null, s3, v19, vcc_lo
	v_fma_f64 v[18:19], s[16:17], v[2:3], v[38:39]
	v_fma_f64 v[28:29], s[14:15], v[10:11], -v[28:29]
	v_fma_f64 v[30:31], s[16:17], v[10:11], v[30:31]
	v_fma_f64 v[32:33], s[14:15], v[6:7], -v[32:33]
	v_fma_f64 v[34:35], s[16:17], v[6:7], v[34:35]
	v_add_co_u32 v20, vcc_lo, v42, s0
	v_add_co_ci_u32_e64 v21, null, s1, v43, vcc_lo
	v_add_co_u32 v38, vcc_lo, v20, v40
	v_add_co_ci_u32_e64 v39, null, v21, v41, vcc_lo
	v_add_co_u32 v40, vcc_lo, v42, v40
	v_add_co_ci_u32_e64 v41, null, v43, v41, vcc_lo
	v_add_co_u32 v20, vcc_lo, 0x100, v38
	v_add_co_ci_u32_e64 v21, null, 0, v39, vcc_lo
	global_store_dwordx4 v[40:41], v[24:27], off
	global_store_dwordx4 v[40:41], v[28:31], off offset:256
	global_store_dwordx4 v[38:39], v[32:35], off
	global_store_dwordx2 v[38:39], v[36:37], off offset:256
	s_cbranch_execz .LBB127_7
	s_branch .LBB127_8
.LBB127_6:
                                        ; implicit-def: $vgpr18_vgpr19
                                        ; implicit-def: $vgpr20_vgpr21
.LBB127_7:
	v_mul_lo_u32 v20, v23, s44
	v_mul_lo_u32 v21, v22, s45
	v_mad_u64_u32 v[18:19], null, v22, s44, 0
	s_mul_i32 s1, s47, s8
	s_mul_hi_u32 s4, s46, s8
	s_mul_i32 s0, s46, s8
	s_add_i32 s1, s4, s1
	v_lshlrev_b64 v[0:1], 4, v[0:1]
	s_lshl_b64 s[0:1], s[0:1], 4
	v_add3_u32 v19, v19, v21, v20
	s_add_u32 s0, s42, s0
	s_addc_u32 s1, s43, s1
	v_mul_f64 v[26:27], s[16:17], v[16:17]
	v_mul_f64 v[16:17], s[14:15], v[16:17]
	v_lshlrev_b64 v[18:19], 4, v[18:19]
	v_mul_lo_u32 v23, v23, s50
	v_add_co_u32 v30, vcc_lo, s0, v18
	v_add_co_ci_u32_e64 v31, null, s1, v19, vcc_lo
	s_lshl_b64 s[0:1], s[44:45], 8
	v_add_co_u32 v24, vcc_lo, v30, v0
	v_add_co_ci_u32_e64 v25, null, v31, v1, vcc_lo
	global_load_dwordx4 v[18:21], v[24:25], off
	v_fma_f64 v[26:27], s[14:15], v[14:15], -v[26:27]
	v_fma_f64 v[16:17], s[16:17], v[14:15], v[16:17]
	s_waitcnt vmcnt(0)
	v_mul_f64 v[28:29], s[40:41], v[20:21]
	v_mul_f64 v[20:21], s[38:39], v[20:21]
	v_fma_f64 v[14:15], s[38:39], v[18:19], -v[28:29]
	v_fma_f64 v[18:19], s[40:41], v[18:19], v[20:21]
	v_mul_lo_u32 v28, v22, s51
	v_mad_u64_u32 v[20:21], null, v22, s50, 0
	v_add3_u32 v21, v21, v28, v23
	v_add_f64 v[14:15], v[26:27], v[14:15]
	v_add_f64 v[16:17], v[16:17], v[18:19]
	v_lshlrev_b64 v[18:19], 4, v[20:21]
	v_mul_f64 v[20:21], s[16:17], v[12:13]
	v_mul_f64 v[12:13], s[14:15], v[12:13]
	v_add_co_u32 v26, vcc_lo, s2, v18
	v_add_co_ci_u32_e64 v27, null, s3, v19, vcc_lo
	v_add_co_u32 v18, vcc_lo, v26, v0
	v_add_co_ci_u32_e64 v19, null, v27, v1, vcc_lo
	global_store_dwordx4 v[18:19], v[14:17], off
	global_load_dwordx4 v[14:17], v[24:25], off offset:256
	v_fma_f64 v[20:21], s[14:15], v[10:11], -v[20:21]
	v_fma_f64 v[12:13], s[16:17], v[10:11], v[12:13]
	s_waitcnt vmcnt(0)
	v_mul_f64 v[22:23], s[40:41], v[16:17]
	v_mul_f64 v[16:17], s[38:39], v[16:17]
	v_fma_f64 v[10:11], s[38:39], v[14:15], -v[22:23]
	v_fma_f64 v[14:15], s[40:41], v[14:15], v[16:17]
	v_mul_f64 v[16:17], s[16:17], v[8:9]
	v_mul_f64 v[8:9], s[14:15], v[8:9]
	v_add_f64 v[10:11], v[20:21], v[10:11]
	v_add_f64 v[12:13], v[12:13], v[14:15]
	v_add_co_u32 v14, vcc_lo, v30, s0
	v_add_co_ci_u32_e64 v15, null, s1, v31, vcc_lo
	v_fma_f64 v[16:17], s[14:15], v[6:7], -v[16:17]
	v_add_co_u32 v14, vcc_lo, v14, v0
	v_add_co_ci_u32_e64 v15, null, v15, v1, vcc_lo
	v_fma_f64 v[8:9], s[16:17], v[6:7], v[8:9]
	s_lshl_b64 s[0:1], s[50:51], 8
	global_store_dwordx4 v[18:19], v[10:13], off offset:256
	global_load_dwordx4 v[10:13], v[14:15], off
	s_waitcnt vmcnt(0)
	v_mul_f64 v[18:19], s[40:41], v[12:13]
	v_mul_f64 v[12:13], s[38:39], v[12:13]
	v_fma_f64 v[6:7], s[38:39], v[10:11], -v[18:19]
	v_fma_f64 v[10:11], s[40:41], v[10:11], v[12:13]
	v_add_f64 v[6:7], v[16:17], v[6:7]
	v_add_f64 v[8:9], v[8:9], v[10:11]
	v_add_co_u32 v10, vcc_lo, v26, s0
	v_add_co_ci_u32_e64 v11, null, s1, v27, vcc_lo
	v_add_co_u32 v0, vcc_lo, v10, v0
	v_add_co_ci_u32_e64 v1, null, v11, v1, vcc_lo
	v_mul_f64 v[10:11], s[16:17], v[4:5]
	v_mul_f64 v[4:5], s[14:15], v[4:5]
	v_add_co_u32 v20, vcc_lo, 0x100, v0
	v_add_co_ci_u32_e64 v21, null, 0, v1, vcc_lo
	global_store_dwordx4 v[0:1], v[6:9], off
	global_load_dwordx4 v[6:9], v[14:15], off offset:256
	v_fma_f64 v[10:11], s[14:15], v[2:3], -v[10:11]
	v_fma_f64 v[2:3], s[16:17], v[2:3], v[4:5]
	s_waitcnt vmcnt(0)
	v_mul_f64 v[12:13], s[40:41], v[8:9]
	v_mul_f64 v[8:9], s[38:39], v[8:9]
	v_fma_f64 v[4:5], s[38:39], v[6:7], -v[12:13]
	v_fma_f64 v[6:7], s[40:41], v[6:7], v[8:9]
	v_add_f64 v[4:5], v[10:11], v[4:5]
	v_add_f64 v[18:19], v[2:3], v[6:7]
	global_store_dwordx2 v[0:1], v[4:5], off offset:256
.LBB127_8:
	global_store_dwordx2 v[20:21], v[18:19], off offset:8
	s_endpgm
	.section	.rodata,"a",@progbits
	.p2align	6, 0x0
	.amdhsa_kernel _ZN12_GLOBAL__N_127rocblas_gemm_batched_kernelI19rocblas_complex_numIdELi16ELi16ELi32ELi32ELi8ELi32ELi8ELi8ELi32ELc78ELc78EKS2_S3_S2_EEvlllT_PT11_llS6_llS4_PT12_llPT13_lli
		.amdhsa_group_segment_fixed_size 8192
		.amdhsa_private_segment_fixed_size 0
		.amdhsa_kernarg_size 156
		.amdhsa_user_sgpr_count 6
		.amdhsa_user_sgpr_private_segment_buffer 1
		.amdhsa_user_sgpr_dispatch_ptr 0
		.amdhsa_user_sgpr_queue_ptr 0
		.amdhsa_user_sgpr_kernarg_segment_ptr 1
		.amdhsa_user_sgpr_dispatch_id 0
		.amdhsa_user_sgpr_flat_scratch_init 0
		.amdhsa_user_sgpr_private_segment_size 0
		.amdhsa_wavefront_size32 1
		.amdhsa_uses_dynamic_stack 0
		.amdhsa_system_sgpr_private_segment_wavefront_offset 0
		.amdhsa_system_sgpr_workgroup_id_x 1
		.amdhsa_system_sgpr_workgroup_id_y 1
		.amdhsa_system_sgpr_workgroup_id_z 1
		.amdhsa_system_sgpr_workgroup_info 0
		.amdhsa_system_vgpr_workitem_id 1
		.amdhsa_next_free_vgpr 162
		.amdhsa_next_free_sgpr 52
		.amdhsa_reserve_vcc 1
		.amdhsa_reserve_flat_scratch 0
		.amdhsa_float_round_mode_32 0
		.amdhsa_float_round_mode_16_64 0
		.amdhsa_float_denorm_mode_32 3
		.amdhsa_float_denorm_mode_16_64 3
		.amdhsa_dx10_clamp 1
		.amdhsa_ieee_mode 1
		.amdhsa_fp16_overflow 0
		.amdhsa_workgroup_processor_mode 1
		.amdhsa_memory_ordered 1
		.amdhsa_forward_progress 1
		.amdhsa_shared_vgpr_count 0
		.amdhsa_exception_fp_ieee_invalid_op 0
		.amdhsa_exception_fp_denorm_src 0
		.amdhsa_exception_fp_ieee_div_zero 0
		.amdhsa_exception_fp_ieee_overflow 0
		.amdhsa_exception_fp_ieee_underflow 0
		.amdhsa_exception_fp_ieee_inexact 0
		.amdhsa_exception_int_div_zero 0
	.end_amdhsa_kernel
	.section	.text._ZN12_GLOBAL__N_127rocblas_gemm_batched_kernelI19rocblas_complex_numIdELi16ELi16ELi32ELi32ELi8ELi32ELi8ELi8ELi32ELc78ELc78EKS2_S3_S2_EEvlllT_PT11_llS6_llS4_PT12_llPT13_lli,"axG",@progbits,_ZN12_GLOBAL__N_127rocblas_gemm_batched_kernelI19rocblas_complex_numIdELi16ELi16ELi32ELi32ELi8ELi32ELi8ELi8ELi32ELc78ELc78EKS2_S3_S2_EEvlllT_PT11_llS6_llS4_PT12_llPT13_lli,comdat
.Lfunc_end127:
	.size	_ZN12_GLOBAL__N_127rocblas_gemm_batched_kernelI19rocblas_complex_numIdELi16ELi16ELi32ELi32ELi8ELi32ELi8ELi8ELi32ELc78ELc78EKS2_S3_S2_EEvlllT_PT11_llS6_llS4_PT12_llPT13_lli, .Lfunc_end127-_ZN12_GLOBAL__N_127rocblas_gemm_batched_kernelI19rocblas_complex_numIdELi16ELi16ELi32ELi32ELi8ELi32ELi8ELi8ELi32ELc78ELc78EKS2_S3_S2_EEvlllT_PT11_llS6_llS4_PT12_llPT13_lli
                                        ; -- End function
	.set _ZN12_GLOBAL__N_127rocblas_gemm_batched_kernelI19rocblas_complex_numIdELi16ELi16ELi32ELi32ELi8ELi32ELi8ELi8ELi32ELc78ELc78EKS2_S3_S2_EEvlllT_PT11_llS6_llS4_PT12_llPT13_lli.num_vgpr, 162
	.set _ZN12_GLOBAL__N_127rocblas_gemm_batched_kernelI19rocblas_complex_numIdELi16ELi16ELi32ELi32ELi8ELi32ELi8ELi8ELi32ELc78ELc78EKS2_S3_S2_EEvlllT_PT11_llS6_llS4_PT12_llPT13_lli.num_agpr, 0
	.set _ZN12_GLOBAL__N_127rocblas_gemm_batched_kernelI19rocblas_complex_numIdELi16ELi16ELi32ELi32ELi8ELi32ELi8ELi8ELi32ELc78ELc78EKS2_S3_S2_EEvlllT_PT11_llS6_llS4_PT12_llPT13_lli.numbered_sgpr, 52
	.set _ZN12_GLOBAL__N_127rocblas_gemm_batched_kernelI19rocblas_complex_numIdELi16ELi16ELi32ELi32ELi8ELi32ELi8ELi8ELi32ELc78ELc78EKS2_S3_S2_EEvlllT_PT11_llS6_llS4_PT12_llPT13_lli.num_named_barrier, 0
	.set _ZN12_GLOBAL__N_127rocblas_gemm_batched_kernelI19rocblas_complex_numIdELi16ELi16ELi32ELi32ELi8ELi32ELi8ELi8ELi32ELc78ELc78EKS2_S3_S2_EEvlllT_PT11_llS6_llS4_PT12_llPT13_lli.private_seg_size, 0
	.set _ZN12_GLOBAL__N_127rocblas_gemm_batched_kernelI19rocblas_complex_numIdELi16ELi16ELi32ELi32ELi8ELi32ELi8ELi8ELi32ELc78ELc78EKS2_S3_S2_EEvlllT_PT11_llS6_llS4_PT12_llPT13_lli.uses_vcc, 1
	.set _ZN12_GLOBAL__N_127rocblas_gemm_batched_kernelI19rocblas_complex_numIdELi16ELi16ELi32ELi32ELi8ELi32ELi8ELi8ELi32ELc78ELc78EKS2_S3_S2_EEvlllT_PT11_llS6_llS4_PT12_llPT13_lli.uses_flat_scratch, 0
	.set _ZN12_GLOBAL__N_127rocblas_gemm_batched_kernelI19rocblas_complex_numIdELi16ELi16ELi32ELi32ELi8ELi32ELi8ELi8ELi32ELc78ELc78EKS2_S3_S2_EEvlllT_PT11_llS6_llS4_PT12_llPT13_lli.has_dyn_sized_stack, 0
	.set _ZN12_GLOBAL__N_127rocblas_gemm_batched_kernelI19rocblas_complex_numIdELi16ELi16ELi32ELi32ELi8ELi32ELi8ELi8ELi32ELc78ELc78EKS2_S3_S2_EEvlllT_PT11_llS6_llS4_PT12_llPT13_lli.has_recursion, 0
	.set _ZN12_GLOBAL__N_127rocblas_gemm_batched_kernelI19rocblas_complex_numIdELi16ELi16ELi32ELi32ELi8ELi32ELi8ELi8ELi32ELc78ELc78EKS2_S3_S2_EEvlllT_PT11_llS6_llS4_PT12_llPT13_lli.has_indirect_call, 0
	.section	.AMDGPU.csdata,"",@progbits
; Kernel info:
; codeLenInByte = 3528
; TotalNumSgprs: 54
; NumVgprs: 162
; ScratchSize: 0
; MemoryBound: 0
; FloatMode: 240
; IeeeMode: 1
; LDSByteSize: 8192 bytes/workgroup (compile time only)
; SGPRBlocks: 0
; VGPRBlocks: 20
; NumSGPRsForWavesPerEU: 54
; NumVGPRsForWavesPerEU: 162
; Occupancy: 5
; WaveLimiterHint : 1
; COMPUTE_PGM_RSRC2:SCRATCH_EN: 0
; COMPUTE_PGM_RSRC2:USER_SGPR: 6
; COMPUTE_PGM_RSRC2:TRAP_HANDLER: 0
; COMPUTE_PGM_RSRC2:TGID_X_EN: 1
; COMPUTE_PGM_RSRC2:TGID_Y_EN: 1
; COMPUTE_PGM_RSRC2:TGID_Z_EN: 1
; COMPUTE_PGM_RSRC2:TIDIG_COMP_CNT: 1
	.section	.text._ZN12_GLOBAL__N_127rocblas_gemm_batched_kernelI19rocblas_complex_numIdELi16ELi16ELi32ELi32ELi8ELi32ELi8ELi8ELi32ELc84ELc78EKS2_S3_S2_EEvlllT_PT11_llS6_llS4_PT12_llPT13_lli,"axG",@progbits,_ZN12_GLOBAL__N_127rocblas_gemm_batched_kernelI19rocblas_complex_numIdELi16ELi16ELi32ELi32ELi8ELi32ELi8ELi8ELi32ELc84ELc78EKS2_S3_S2_EEvlllT_PT11_llS6_llS4_PT12_llPT13_lli,comdat
	.globl	_ZN12_GLOBAL__N_127rocblas_gemm_batched_kernelI19rocblas_complex_numIdELi16ELi16ELi32ELi32ELi8ELi32ELi8ELi8ELi32ELc84ELc78EKS2_S3_S2_EEvlllT_PT11_llS6_llS4_PT12_llPT13_lli ; -- Begin function _ZN12_GLOBAL__N_127rocblas_gemm_batched_kernelI19rocblas_complex_numIdELi16ELi16ELi32ELi32ELi8ELi32ELi8ELi8ELi32ELc84ELc78EKS2_S3_S2_EEvlllT_PT11_llS6_llS4_PT12_llPT13_lli
	.p2align	8
	.type	_ZN12_GLOBAL__N_127rocblas_gemm_batched_kernelI19rocblas_complex_numIdELi16ELi16ELi32ELi32ELi8ELi32ELi8ELi8ELi32ELc84ELc78EKS2_S3_S2_EEvlllT_PT11_llS6_llS4_PT12_llPT13_lli,@function
_ZN12_GLOBAL__N_127rocblas_gemm_batched_kernelI19rocblas_complex_numIdELi16ELi16ELi32ELi32ELi8ELi32ELi8ELi8ELi32ELc84ELc78EKS2_S3_S2_EEvlllT_PT11_llS6_llS4_PT12_llPT13_lli: ; @_ZN12_GLOBAL__N_127rocblas_gemm_batched_kernelI19rocblas_complex_numIdELi16ELi16ELi32ELi32ELi8ELi32ELi8ELi8ELi32ELc84ELc78EKS2_S3_S2_EEvlllT_PT11_llS6_llS4_PT12_llPT13_lli
; %bb.0:
	s_clause 0x1
	s_load_dwordx16 s[12:27], s[4:5], 0x10
	s_load_dwordx16 s[36:51], s[4:5], 0x50
	s_mov_b32 s2, s7
	s_ashr_i32 s7, s6, 31
	s_ashr_i32 s3, s2, 31
	s_lshl_b64 s[0:1], s[6:7], 5
	s_lshl_b64 s[2:3], s[2:3], 5
	s_waitcnt lgkmcnt(0)
	v_cmp_lt_i64_e64 s9, s[12:13], 1
	s_and_b32 vcc_lo, exec_lo, s9
	s_cbranch_vccnz .LBB128_3
; %bb.1:
	v_lshl_add_u32 v2, v1, 4, v0
	v_and_b32_e32 v4, 7, v0
	s_mul_hi_u32 s7, s22, s8
	v_mov_b32_e32 v12, 0
	v_mov_b32_e32 v16, 0
	v_and_b32_e32 v3, 31, v2
	v_lshrrev_b32_e32 v5, 3, v2
	v_lshlrev_b32_e32 v9, 4, v4
	v_lshrrev_b32_e32 v8, 5, v2
	v_mov_b32_e32 v14, 0
	v_add_co_u32 v6, s6, s0, v3
	v_add_co_ci_u32_e64 v7, null, s1, 0, s6
	v_lshlrev_b32_e32 v4, 4, v3
	v_mul_lo_u32 v10, s21, v6
	v_mad_u64_u32 v[2:3], null, s20, v6, 0
	v_mul_lo_u32 v7, s20, v7
	v_lshl_or_b32 v6, v5, 7, v9
	v_add_co_u32 v5, s6, v5, s2
	v_add_co_ci_u32_e64 v11, null, 0, s3, s6
	v_lshl_or_b32 v23, v8, 9, v4
	v_add_nc_u32_e32 v24, 0x1000, v6
	v_add3_u32 v3, v3, v7, v10
	v_mul_lo_u32 v6, s27, v5
	v_mul_lo_u32 v7, s26, v11
	v_mad_u64_u32 v[4:5], null, s26, v5, 0
	s_mul_i32 s6, s23, s8
	v_lshlrev_b64 v[2:3], 4, v[2:3]
	s_add_i32 s7, s7, s6
	s_mul_i32 s6, s22, s8
	v_lshlrev_b32_e32 v8, 4, v8
	s_lshl_b64 s[6:7], s[6:7], 4
	v_add3_u32 v5, v5, v7, v6
	v_add_co_u32 v6, vcc_lo, v2, s6
	v_add_co_ci_u32_e64 v7, null, s7, v3, vcc_lo
	s_mul_i32 s6, s37, s8
	s_mul_hi_u32 s7, s36, s8
	v_lshlrev_b64 v[2:3], 4, v[4:5]
	s_add_i32 s7, s7, s6
	s_mul_i32 s6, s36, s8
	v_add_co_u32 v4, vcc_lo, v6, v8
	s_lshl_b64 s[6:7], s[6:7], 4
	v_add_co_ci_u32_e64 v5, null, 0, v7, vcc_lo
	v_add_co_u32 v2, vcc_lo, v2, s6
	v_add_co_ci_u32_e64 v3, null, s7, v3, vcc_lo
	v_add_co_u32 v18, vcc_lo, s18, v4
	v_add_co_ci_u32_e64 v19, null, s19, v5, vcc_lo
	v_add_co_u32 v20, vcc_lo, v2, v9
	v_add_co_ci_u32_e64 v21, null, 0, v3, vcc_lo
	v_mov_b32_e32 v4, 0
	v_add_co_u32 v20, vcc_lo, s24, v20
	v_mov_b32_e32 v2, 0
	v_mov_b32_e32 v8, 0
	;; [unrolled: 1-line block ×4, first 2 shown]
	v_lshlrev_b32_e32 v22, 4, v0
	v_lshl_add_u32 v25, v1, 7, 0x1000
	v_mov_b32_e32 v5, 0
	v_mov_b32_e32 v3, 0
	;; [unrolled: 1-line block ×8, first 2 shown]
	v_add_co_ci_u32_e64 v21, null, s25, v21, vcc_lo
	s_mov_b64 s[6:7], 0
.LBB128_2:                              ; =>This Inner Loop Header: Depth=1
	global_load_dwordx4 v[26:29], v[18:19], off
	global_load_dwordx4 v[30:33], v[20:21], off
	s_add_u32 s6, s6, 8
	s_addc_u32 s7, s7, 0
	v_add_co_u32 v18, vcc_lo, 0x80, v18
	v_cmp_lt_i64_e64 s9, s[6:7], s[12:13]
	v_add_co_ci_u32_e64 v19, null, 0, v19, vcc_lo
	v_add_co_u32 v20, vcc_lo, 0x80, v20
	v_add_co_ci_u32_e64 v21, null, 0, v21, vcc_lo
	s_and_b32 vcc_lo, exec_lo, s9
	s_waitcnt vmcnt(1)
	ds_write2_b64 v23, v[26:27], v[28:29] offset1:1
	s_waitcnt vmcnt(0)
	ds_write2_b64 v24, v[30:31], v[32:33] offset1:1
	s_waitcnt lgkmcnt(0)
	s_barrier
	buffer_gl0_inv
	ds_read_b128 v[26:29], v22
	ds_read_b128 v[30:33], v22 offset:256
	ds_read_b128 v[34:37], v25
	ds_read_b128 v[38:41], v25 offset:16
	ds_read_b128 v[42:45], v25 offset:2048
	;; [unrolled: 1-line block ×28, first 2 shown]
	s_waitcnt lgkmcnt(28)
	v_mul_f64 v[150:151], v[36:37], v[28:29]
	v_mul_f64 v[154:155], v[36:37], v[32:33]
	;; [unrolled: 1-line block ×4, first 2 shown]
	v_fma_f64 v[150:151], v[34:35], v[26:27], -v[150:151]
	v_fma_f64 v[34:35], v[34:35], v[30:31], -v[154:155]
	s_waitcnt lgkmcnt(26)
	v_mul_f64 v[154:155], v[44:45], v[28:29]
	v_mul_f64 v[28:29], v[42:43], v[28:29]
	v_fma_f64 v[152:153], v[36:37], v[26:27], v[152:153]
	v_fma_f64 v[36:37], v[36:37], v[30:31], v[156:157]
	v_add_f64 v[14:15], v[14:15], v[150:151]
	v_add_f64 v[10:11], v[10:11], v[34:35]
	v_fma_f64 v[154:155], v[42:43], v[26:27], -v[154:155]
	v_fma_f64 v[156:157], v[44:45], v[26:27], v[28:29]
	v_mul_f64 v[26:27], v[44:45], v[32:33]
	v_mul_f64 v[28:29], v[42:43], v[32:33]
	v_add_f64 v[16:17], v[152:153], v[16:17]
	v_add_f64 v[12:13], v[36:37], v[12:13]
	s_waitcnt lgkmcnt(16)
	v_mul_f64 v[34:35], v[64:65], v[84:85]
	v_mul_f64 v[36:37], v[62:63], v[84:85]
	s_waitcnt lgkmcnt(15)
	v_mul_f64 v[150:151], v[62:63], v[88:89]
	s_waitcnt lgkmcnt(12)
	v_mul_f64 v[152:153], v[98:99], v[96:97]
	v_add_f64 v[6:7], v[6:7], v[154:155]
	v_add_f64 v[8:9], v[156:157], v[8:9]
	v_fma_f64 v[32:33], v[42:43], v[30:31], -v[26:27]
	v_fma_f64 v[30:31], v[44:45], v[30:31], v[28:29]
	v_mul_f64 v[26:27], v[40:41], v[52:53]
	v_mul_f64 v[28:29], v[38:39], v[52:53]
	;; [unrolled: 1-line block ×4, first 2 shown]
	v_fma_f64 v[34:35], v[62:63], v[82:83], -v[34:35]
	v_fma_f64 v[36:37], v[64:65], v[82:83], v[36:37]
	v_add_f64 v[2:3], v[2:3], v[32:33]
	v_add_f64 v[4:5], v[30:31], v[4:5]
	v_fma_f64 v[158:159], v[38:39], v[50:51], -v[26:27]
	v_fma_f64 v[160:161], v[40:41], v[50:51], v[28:29]
	v_mul_f64 v[26:27], v[48:49], v[52:53]
	v_mul_f64 v[28:29], v[46:47], v[52:53]
	v_fma_f64 v[38:39], v[38:39], v[54:55], -v[42:43]
	v_fma_f64 v[40:41], v[40:41], v[54:55], v[44:45]
	v_mul_f64 v[52:53], v[58:59], v[72:73]
	v_mul_f64 v[30:31], v[80:81], v[84:85]
	;; [unrolled: 1-line block ×4, first 2 shown]
	v_add_f64 v[14:15], v[14:15], v[158:159]
	v_add_f64 v[16:17], v[160:161], v[16:17]
	v_fma_f64 v[42:43], v[46:47], v[50:51], -v[26:27]
	v_fma_f64 v[44:45], v[48:49], v[50:51], v[28:29]
	v_mul_f64 v[26:27], v[48:49], v[56:57]
	v_mul_f64 v[28:29], v[46:47], v[56:57]
	;; [unrolled: 1-line block ×3, first 2 shown]
	v_fma_f64 v[52:53], v[60:61], v[70:71], v[52:53]
	v_add_f64 v[10:11], v[10:11], v[38:39]
	v_add_f64 v[12:13], v[40:41], v[12:13]
	s_waitcnt lgkmcnt(10)
	v_mul_f64 v[38:39], v[108:109], v[92:93]
	v_mul_f64 v[40:41], v[106:107], v[92:93]
	v_fma_f64 v[30:31], v[78:79], v[82:83], -v[30:31]
	v_fma_f64 v[32:33], v[80:81], v[82:83], v[32:33]
	s_waitcnt lgkmcnt(8)
	v_mul_f64 v[82:83], v[112:113], v[116:117]
	v_add_f64 v[6:7], v[6:7], v[42:43]
	v_add_f64 v[8:9], v[44:45], v[8:9]
	v_fma_f64 v[46:47], v[46:47], v[54:55], -v[26:27]
	v_fma_f64 v[48:49], v[48:49], v[54:55], v[28:29]
	v_mul_f64 v[26:27], v[60:61], v[68:69]
	v_mul_f64 v[28:29], v[58:59], v[68:69]
	v_fma_f64 v[50:51], v[58:59], v[70:71], -v[50:51]
	v_mul_f64 v[42:43], v[108:109], v[96:97]
	v_mul_f64 v[44:45], v[106:107], v[96:97]
	v_add_f64 v[12:13], v[52:53], v[12:13]
	s_waitcnt lgkmcnt(7)
	v_mul_f64 v[52:53], v[110:111], v[120:121]
	v_fma_f64 v[38:39], v[106:107], v[90:91], -v[38:39]
	v_fma_f64 v[40:41], v[108:109], v[90:91], v[40:41]
	v_add_f64 v[2:3], v[2:3], v[46:47]
	v_add_f64 v[4:5], v[48:49], v[4:5]
	v_fma_f64 v[54:55], v[58:59], v[66:67], -v[26:27]
	v_fma_f64 v[56:57], v[60:61], v[66:67], v[28:29]
	v_mul_f64 v[26:27], v[76:77], v[68:69]
	v_mul_f64 v[28:29], v[74:75], v[68:69]
	;; [unrolled: 1-line block ×3, first 2 shown]
	v_add_f64 v[10:11], v[10:11], v[50:51]
	v_mul_f64 v[46:47], v[104:105], v[116:117]
	v_mul_f64 v[48:49], v[102:103], v[116:117]
	;; [unrolled: 1-line block ×3, first 2 shown]
	v_fma_f64 v[42:43], v[106:107], v[94:95], -v[42:43]
	v_fma_f64 v[44:45], v[108:109], v[94:95], v[44:45]
	v_fma_f64 v[52:53], v[112:113], v[118:119], v[52:53]
	v_add_f64 v[14:15], v[14:15], v[54:55]
	v_add_f64 v[16:17], v[56:57], v[16:17]
	v_fma_f64 v[58:59], v[74:75], v[66:67], -v[26:27]
	v_fma_f64 v[60:61], v[76:77], v[66:67], v[28:29]
	v_mul_f64 v[66:67], v[76:77], v[72:73]
	v_mul_f64 v[72:73], v[64:65], v[88:89]
	v_fma_f64 v[68:69], v[76:77], v[70:71], v[68:69]
	v_mul_f64 v[76:77], v[100:101], v[92:93]
	v_fma_f64 v[64:65], v[64:65], v[86:87], v[150:151]
	v_mul_f64 v[92:93], v[102:103], v[120:121]
	s_waitcnt lgkmcnt(4)
	v_mul_f64 v[54:55], v[132:133], v[124:125]
	v_mul_f64 v[56:57], v[130:131], v[124:125]
	v_fma_f64 v[46:47], v[102:103], v[114:115], -v[46:47]
	v_fma_f64 v[48:49], v[104:105], v[114:115], v[48:49]
	v_fma_f64 v[50:51], v[110:111], v[118:119], -v[50:51]
	ds_read_b128 v[26:29], v22 offset:3840
	s_waitcnt lgkmcnt(0)
	s_barrier
	buffer_gl0_inv
	v_add_f64 v[14:15], v[14:15], v[34:35]
	v_add_f64 v[16:17], v[36:37], v[16:17]
	v_add_f64 v[6:7], v[6:7], v[58:59]
	v_add_f64 v[8:9], v[60:61], v[8:9]
	v_fma_f64 v[66:67], v[74:75], v[70:71], -v[66:67]
	v_mul_f64 v[70:71], v[80:81], v[88:89]
	v_mul_f64 v[74:75], v[78:79], v[88:89]
	;; [unrolled: 1-line block ×3, first 2 shown]
	v_fma_f64 v[62:63], v[62:63], v[86:87], -v[72:73]
	v_add_f64 v[4:5], v[68:69], v[4:5]
	v_mul_f64 v[72:73], v[104:105], v[120:121]
	v_mul_f64 v[96:97], v[110:111], v[116:117]
	v_fma_f64 v[68:69], v[100:101], v[90:91], v[84:85]
	v_add_f64 v[12:13], v[64:65], v[12:13]
	v_mul_f64 v[58:59], v[132:133], v[128:129]
	v_mul_f64 v[60:61], v[130:131], v[128:129]
	;; [unrolled: 1-line block ×5, first 2 shown]
	v_fma_f64 v[54:55], v[130:131], v[122:123], -v[54:55]
	v_fma_f64 v[56:57], v[132:133], v[122:123], v[56:57]
	v_add_f64 v[6:7], v[6:7], v[30:31]
	v_add_f64 v[8:9], v[32:33], v[8:9]
	v_add_f64 v[2:3], v[2:3], v[66:67]
	v_fma_f64 v[70:71], v[78:79], v[86:87], -v[70:71]
	v_fma_f64 v[74:75], v[80:81], v[86:87], v[74:75]
	v_fma_f64 v[66:67], v[98:99], v[90:91], -v[76:77]
	v_fma_f64 v[76:77], v[98:99], v[94:95], -v[88:89]
	v_fma_f64 v[78:79], v[100:101], v[94:95], v[152:153]
	v_add_f64 v[10:11], v[10:11], v[62:63]
	v_mul_f64 v[30:31], v[140:141], v[124:125]
	v_mul_f64 v[32:33], v[138:139], v[124:125]
	v_fma_f64 v[80:81], v[112:113], v[114:115], v[96:97]
	v_add_f64 v[16:17], v[68:69], v[16:17]
	v_mul_f64 v[62:63], v[136:137], v[148:149]
	v_fma_f64 v[58:59], v[130:131], v[126:127], -v[58:59]
	v_fma_f64 v[60:61], v[132:133], v[126:127], v[60:61]
	v_fma_f64 v[34:35], v[138:139], v[126:127], -v[34:35]
	v_fma_f64 v[36:37], v[140:141], v[126:127], v[36:37]
	v_add_f64 v[6:7], v[6:7], v[38:39]
	v_add_f64 v[8:9], v[40:41], v[8:9]
	v_mul_f64 v[38:39], v[136:137], v[28:29]
	v_add_f64 v[2:3], v[2:3], v[70:71]
	v_add_f64 v[4:5], v[74:75], v[4:5]
	v_fma_f64 v[70:71], v[102:103], v[118:119], -v[72:73]
	v_fma_f64 v[72:73], v[104:105], v[118:119], v[92:93]
	v_fma_f64 v[74:75], v[110:111], v[114:115], -v[82:83]
	v_add_f64 v[14:15], v[14:15], v[66:67]
	v_add_f64 v[10:11], v[10:11], v[76:77]
	v_add_f64 v[12:13], v[78:79], v[12:13]
	v_mul_f64 v[40:41], v[134:135], v[28:29]
	v_mul_f64 v[66:67], v[144:145], v[28:29]
	v_mul_f64 v[28:29], v[142:143], v[28:29]
	v_fma_f64 v[30:31], v[138:139], v[122:123], -v[30:31]
	v_fma_f64 v[32:33], v[140:141], v[122:123], v[32:33]
	v_add_f64 v[16:17], v[48:49], v[16:17]
	v_fma_f64 v[48:49], v[136:137], v[146:147], v[64:65]
	v_add_f64 v[8:9], v[80:81], v[8:9]
	v_fma_f64 v[38:39], v[134:135], v[26:27], -v[38:39]
	v_add_f64 v[2:3], v[2:3], v[42:43]
	v_add_f64 v[4:5], v[44:45], v[4:5]
	v_mul_f64 v[42:43], v[144:145], v[148:149]
	v_mul_f64 v[44:45], v[142:143], v[148:149]
	v_add_f64 v[6:7], v[6:7], v[74:75]
	v_add_f64 v[14:15], v[14:15], v[46:47]
	v_add_f64 v[10:11], v[10:11], v[70:71]
	v_add_f64 v[12:13], v[72:73], v[12:13]
	v_fma_f64 v[46:47], v[134:135], v[146:147], -v[62:63]
	v_fma_f64 v[40:41], v[136:137], v[26:27], v[40:41]
	v_add_f64 v[16:17], v[56:57], v[16:17]
	v_add_f64 v[8:9], v[32:33], v[8:9]
	;; [unrolled: 1-line block ×4, first 2 shown]
	v_fma_f64 v[42:43], v[142:143], v[146:147], -v[42:43]
	v_fma_f64 v[44:45], v[144:145], v[146:147], v[44:45]
	v_fma_f64 v[50:51], v[142:143], v[26:27], -v[66:67]
	v_fma_f64 v[26:27], v[144:145], v[26:27], v[28:29]
	v_add_f64 v[14:15], v[14:15], v[54:55]
	v_add_f64 v[10:11], v[10:11], v[58:59]
	;; [unrolled: 1-line block ×14, first 2 shown]
	s_cbranch_vccnz .LBB128_2
	s_branch .LBB128_4
.LBB128_3:
	v_mov_b32_e32 v14, 0
	v_mov_b32_e32 v16, 0
	;; [unrolled: 1-line block ×16, first 2 shown]
.LBB128_4:
	s_load_dwordx2 s[4:5], s[4:5], 0x90
	v_cmp_neq_f64_e64 s6, s[38:39], 0
	v_cmp_neq_f64_e64 s7, s[40:41], 0
	v_add_co_u32 v22, s2, s2, v1
	v_add_co_u32 v0, s0, s0, v0
	v_add_co_ci_u32_e64 v23, null, s3, 0, s2
	v_add_co_ci_u32_e64 v1, null, s1, 0, s0
	s_waitcnt lgkmcnt(0)
	s_mul_i32 s5, s5, s8
	s_mul_hi_u32 s9, s4, s8
	s_mul_i32 s4, s4, s8
	s_add_i32 s5, s9, s5
	s_lshl_b64 s[4:5], s[4:5], 4
	s_add_u32 s2, s48, s4
	s_addc_u32 s3, s49, s5
	s_or_b32 s4, s6, s7
	s_and_b32 vcc_lo, exec_lo, s4
	s_cbranch_vccnz .LBB128_6
; %bb.5:
	v_mul_f64 v[20:21], s[16:17], v[16:17]
	v_mul_f64 v[26:27], s[14:15], v[16:17]
	;; [unrolled: 1-line block ×4, first 2 shown]
	v_mul_lo_u32 v24, v23, s50
	v_mul_lo_u32 v25, v22, s51
	v_mad_u64_u32 v[18:19], null, v22, s50, 0
	v_mul_f64 v[28:29], s[16:17], v[12:13]
	v_mul_f64 v[30:31], s[14:15], v[12:13]
	;; [unrolled: 1-line block ×4, first 2 shown]
	s_lshl_b64 s[0:1], s[50:51], 8
	v_lshlrev_b64 v[40:41], 4, v[0:1]
	v_add3_u32 v19, v19, v25, v24
	v_lshlrev_b64 v[18:19], 4, v[18:19]
	v_fma_f64 v[24:25], s[14:15], v[14:15], -v[20:21]
	v_fma_f64 v[26:27], s[16:17], v[14:15], v[26:27]
	v_fma_f64 v[36:37], s[14:15], v[2:3], -v[36:37]
	v_add_co_u32 v42, vcc_lo, s2, v18
	v_add_co_ci_u32_e64 v43, null, s3, v19, vcc_lo
	v_fma_f64 v[18:19], s[16:17], v[2:3], v[38:39]
	v_fma_f64 v[28:29], s[14:15], v[10:11], -v[28:29]
	v_fma_f64 v[30:31], s[16:17], v[10:11], v[30:31]
	v_fma_f64 v[32:33], s[14:15], v[6:7], -v[32:33]
	v_fma_f64 v[34:35], s[16:17], v[6:7], v[34:35]
	v_add_co_u32 v20, vcc_lo, v42, s0
	v_add_co_ci_u32_e64 v21, null, s1, v43, vcc_lo
	v_add_co_u32 v38, vcc_lo, v20, v40
	v_add_co_ci_u32_e64 v39, null, v21, v41, vcc_lo
	;; [unrolled: 2-line block ×4, first 2 shown]
	global_store_dwordx4 v[40:41], v[24:27], off
	global_store_dwordx4 v[40:41], v[28:31], off offset:256
	global_store_dwordx4 v[38:39], v[32:35], off
	global_store_dwordx2 v[38:39], v[36:37], off offset:256
	s_cbranch_execz .LBB128_7
	s_branch .LBB128_8
.LBB128_6:
                                        ; implicit-def: $vgpr18_vgpr19
                                        ; implicit-def: $vgpr20_vgpr21
.LBB128_7:
	v_mul_lo_u32 v20, v23, s44
	v_mul_lo_u32 v21, v22, s45
	v_mad_u64_u32 v[18:19], null, v22, s44, 0
	s_mul_i32 s1, s47, s8
	s_mul_hi_u32 s4, s46, s8
	s_mul_i32 s0, s46, s8
	s_add_i32 s1, s4, s1
	v_lshlrev_b64 v[0:1], 4, v[0:1]
	s_lshl_b64 s[0:1], s[0:1], 4
	v_add3_u32 v19, v19, v21, v20
	s_add_u32 s0, s42, s0
	s_addc_u32 s1, s43, s1
	v_mul_f64 v[26:27], s[16:17], v[16:17]
	v_mul_f64 v[16:17], s[14:15], v[16:17]
	v_lshlrev_b64 v[18:19], 4, v[18:19]
	v_mul_lo_u32 v23, v23, s50
	v_add_co_u32 v30, vcc_lo, s0, v18
	v_add_co_ci_u32_e64 v31, null, s1, v19, vcc_lo
	s_lshl_b64 s[0:1], s[44:45], 8
	v_add_co_u32 v24, vcc_lo, v30, v0
	v_add_co_ci_u32_e64 v25, null, v31, v1, vcc_lo
	global_load_dwordx4 v[18:21], v[24:25], off
	v_fma_f64 v[26:27], s[14:15], v[14:15], -v[26:27]
	v_fma_f64 v[16:17], s[16:17], v[14:15], v[16:17]
	s_waitcnt vmcnt(0)
	v_mul_f64 v[28:29], s[40:41], v[20:21]
	v_mul_f64 v[20:21], s[38:39], v[20:21]
	v_fma_f64 v[14:15], s[38:39], v[18:19], -v[28:29]
	v_fma_f64 v[18:19], s[40:41], v[18:19], v[20:21]
	v_mul_lo_u32 v28, v22, s51
	v_mad_u64_u32 v[20:21], null, v22, s50, 0
	v_add3_u32 v21, v21, v28, v23
	v_add_f64 v[14:15], v[26:27], v[14:15]
	v_add_f64 v[16:17], v[16:17], v[18:19]
	v_lshlrev_b64 v[18:19], 4, v[20:21]
	v_mul_f64 v[20:21], s[16:17], v[12:13]
	v_mul_f64 v[12:13], s[14:15], v[12:13]
	v_add_co_u32 v26, vcc_lo, s2, v18
	v_add_co_ci_u32_e64 v27, null, s3, v19, vcc_lo
	v_add_co_u32 v18, vcc_lo, v26, v0
	v_add_co_ci_u32_e64 v19, null, v27, v1, vcc_lo
	global_store_dwordx4 v[18:19], v[14:17], off
	global_load_dwordx4 v[14:17], v[24:25], off offset:256
	v_fma_f64 v[20:21], s[14:15], v[10:11], -v[20:21]
	v_fma_f64 v[12:13], s[16:17], v[10:11], v[12:13]
	s_waitcnt vmcnt(0)
	v_mul_f64 v[22:23], s[40:41], v[16:17]
	v_mul_f64 v[16:17], s[38:39], v[16:17]
	v_fma_f64 v[10:11], s[38:39], v[14:15], -v[22:23]
	v_fma_f64 v[14:15], s[40:41], v[14:15], v[16:17]
	v_mul_f64 v[16:17], s[16:17], v[8:9]
	v_mul_f64 v[8:9], s[14:15], v[8:9]
	v_add_f64 v[10:11], v[20:21], v[10:11]
	v_add_f64 v[12:13], v[12:13], v[14:15]
	v_add_co_u32 v14, vcc_lo, v30, s0
	v_add_co_ci_u32_e64 v15, null, s1, v31, vcc_lo
	v_fma_f64 v[16:17], s[14:15], v[6:7], -v[16:17]
	v_add_co_u32 v14, vcc_lo, v14, v0
	v_add_co_ci_u32_e64 v15, null, v15, v1, vcc_lo
	v_fma_f64 v[8:9], s[16:17], v[6:7], v[8:9]
	s_lshl_b64 s[0:1], s[50:51], 8
	global_store_dwordx4 v[18:19], v[10:13], off offset:256
	global_load_dwordx4 v[10:13], v[14:15], off
	s_waitcnt vmcnt(0)
	v_mul_f64 v[18:19], s[40:41], v[12:13]
	v_mul_f64 v[12:13], s[38:39], v[12:13]
	v_fma_f64 v[6:7], s[38:39], v[10:11], -v[18:19]
	v_fma_f64 v[10:11], s[40:41], v[10:11], v[12:13]
	v_add_f64 v[6:7], v[16:17], v[6:7]
	v_add_f64 v[8:9], v[8:9], v[10:11]
	v_add_co_u32 v10, vcc_lo, v26, s0
	v_add_co_ci_u32_e64 v11, null, s1, v27, vcc_lo
	v_add_co_u32 v0, vcc_lo, v10, v0
	v_add_co_ci_u32_e64 v1, null, v11, v1, vcc_lo
	v_mul_f64 v[10:11], s[16:17], v[4:5]
	v_mul_f64 v[4:5], s[14:15], v[4:5]
	v_add_co_u32 v20, vcc_lo, 0x100, v0
	v_add_co_ci_u32_e64 v21, null, 0, v1, vcc_lo
	global_store_dwordx4 v[0:1], v[6:9], off
	global_load_dwordx4 v[6:9], v[14:15], off offset:256
	v_fma_f64 v[10:11], s[14:15], v[2:3], -v[10:11]
	v_fma_f64 v[2:3], s[16:17], v[2:3], v[4:5]
	s_waitcnt vmcnt(0)
	v_mul_f64 v[12:13], s[40:41], v[8:9]
	v_mul_f64 v[8:9], s[38:39], v[8:9]
	v_fma_f64 v[4:5], s[38:39], v[6:7], -v[12:13]
	v_fma_f64 v[6:7], s[40:41], v[6:7], v[8:9]
	v_add_f64 v[4:5], v[10:11], v[4:5]
	v_add_f64 v[18:19], v[2:3], v[6:7]
	global_store_dwordx2 v[0:1], v[4:5], off offset:256
.LBB128_8:
	global_store_dwordx2 v[20:21], v[18:19], off offset:8
	s_endpgm
	.section	.rodata,"a",@progbits
	.p2align	6, 0x0
	.amdhsa_kernel _ZN12_GLOBAL__N_127rocblas_gemm_batched_kernelI19rocblas_complex_numIdELi16ELi16ELi32ELi32ELi8ELi32ELi8ELi8ELi32ELc84ELc78EKS2_S3_S2_EEvlllT_PT11_llS6_llS4_PT12_llPT13_lli
		.amdhsa_group_segment_fixed_size 8192
		.amdhsa_private_segment_fixed_size 0
		.amdhsa_kernarg_size 156
		.amdhsa_user_sgpr_count 6
		.amdhsa_user_sgpr_private_segment_buffer 1
		.amdhsa_user_sgpr_dispatch_ptr 0
		.amdhsa_user_sgpr_queue_ptr 0
		.amdhsa_user_sgpr_kernarg_segment_ptr 1
		.amdhsa_user_sgpr_dispatch_id 0
		.amdhsa_user_sgpr_flat_scratch_init 0
		.amdhsa_user_sgpr_private_segment_size 0
		.amdhsa_wavefront_size32 1
		.amdhsa_uses_dynamic_stack 0
		.amdhsa_system_sgpr_private_segment_wavefront_offset 0
		.amdhsa_system_sgpr_workgroup_id_x 1
		.amdhsa_system_sgpr_workgroup_id_y 1
		.amdhsa_system_sgpr_workgroup_id_z 1
		.amdhsa_system_sgpr_workgroup_info 0
		.amdhsa_system_vgpr_workitem_id 1
		.amdhsa_next_free_vgpr 162
		.amdhsa_next_free_sgpr 52
		.amdhsa_reserve_vcc 1
		.amdhsa_reserve_flat_scratch 0
		.amdhsa_float_round_mode_32 0
		.amdhsa_float_round_mode_16_64 0
		.amdhsa_float_denorm_mode_32 3
		.amdhsa_float_denorm_mode_16_64 3
		.amdhsa_dx10_clamp 1
		.amdhsa_ieee_mode 1
		.amdhsa_fp16_overflow 0
		.amdhsa_workgroup_processor_mode 1
		.amdhsa_memory_ordered 1
		.amdhsa_forward_progress 1
		.amdhsa_shared_vgpr_count 0
		.amdhsa_exception_fp_ieee_invalid_op 0
		.amdhsa_exception_fp_denorm_src 0
		.amdhsa_exception_fp_ieee_div_zero 0
		.amdhsa_exception_fp_ieee_overflow 0
		.amdhsa_exception_fp_ieee_underflow 0
		.amdhsa_exception_fp_ieee_inexact 0
		.amdhsa_exception_int_div_zero 0
	.end_amdhsa_kernel
	.section	.text._ZN12_GLOBAL__N_127rocblas_gemm_batched_kernelI19rocblas_complex_numIdELi16ELi16ELi32ELi32ELi8ELi32ELi8ELi8ELi32ELc84ELc78EKS2_S3_S2_EEvlllT_PT11_llS6_llS4_PT12_llPT13_lli,"axG",@progbits,_ZN12_GLOBAL__N_127rocblas_gemm_batched_kernelI19rocblas_complex_numIdELi16ELi16ELi32ELi32ELi8ELi32ELi8ELi8ELi32ELc84ELc78EKS2_S3_S2_EEvlllT_PT11_llS6_llS4_PT12_llPT13_lli,comdat
.Lfunc_end128:
	.size	_ZN12_GLOBAL__N_127rocblas_gemm_batched_kernelI19rocblas_complex_numIdELi16ELi16ELi32ELi32ELi8ELi32ELi8ELi8ELi32ELc84ELc78EKS2_S3_S2_EEvlllT_PT11_llS6_llS4_PT12_llPT13_lli, .Lfunc_end128-_ZN12_GLOBAL__N_127rocblas_gemm_batched_kernelI19rocblas_complex_numIdELi16ELi16ELi32ELi32ELi8ELi32ELi8ELi8ELi32ELc84ELc78EKS2_S3_S2_EEvlllT_PT11_llS6_llS4_PT12_llPT13_lli
                                        ; -- End function
	.set _ZN12_GLOBAL__N_127rocblas_gemm_batched_kernelI19rocblas_complex_numIdELi16ELi16ELi32ELi32ELi8ELi32ELi8ELi8ELi32ELc84ELc78EKS2_S3_S2_EEvlllT_PT11_llS6_llS4_PT12_llPT13_lli.num_vgpr, 162
	.set _ZN12_GLOBAL__N_127rocblas_gemm_batched_kernelI19rocblas_complex_numIdELi16ELi16ELi32ELi32ELi8ELi32ELi8ELi8ELi32ELc84ELc78EKS2_S3_S2_EEvlllT_PT11_llS6_llS4_PT12_llPT13_lli.num_agpr, 0
	.set _ZN12_GLOBAL__N_127rocblas_gemm_batched_kernelI19rocblas_complex_numIdELi16ELi16ELi32ELi32ELi8ELi32ELi8ELi8ELi32ELc84ELc78EKS2_S3_S2_EEvlllT_PT11_llS6_llS4_PT12_llPT13_lli.numbered_sgpr, 52
	.set _ZN12_GLOBAL__N_127rocblas_gemm_batched_kernelI19rocblas_complex_numIdELi16ELi16ELi32ELi32ELi8ELi32ELi8ELi8ELi32ELc84ELc78EKS2_S3_S2_EEvlllT_PT11_llS6_llS4_PT12_llPT13_lli.num_named_barrier, 0
	.set _ZN12_GLOBAL__N_127rocblas_gemm_batched_kernelI19rocblas_complex_numIdELi16ELi16ELi32ELi32ELi8ELi32ELi8ELi8ELi32ELc84ELc78EKS2_S3_S2_EEvlllT_PT11_llS6_llS4_PT12_llPT13_lli.private_seg_size, 0
	.set _ZN12_GLOBAL__N_127rocblas_gemm_batched_kernelI19rocblas_complex_numIdELi16ELi16ELi32ELi32ELi8ELi32ELi8ELi8ELi32ELc84ELc78EKS2_S3_S2_EEvlllT_PT11_llS6_llS4_PT12_llPT13_lli.uses_vcc, 1
	.set _ZN12_GLOBAL__N_127rocblas_gemm_batched_kernelI19rocblas_complex_numIdELi16ELi16ELi32ELi32ELi8ELi32ELi8ELi8ELi32ELc84ELc78EKS2_S3_S2_EEvlllT_PT11_llS6_llS4_PT12_llPT13_lli.uses_flat_scratch, 0
	.set _ZN12_GLOBAL__N_127rocblas_gemm_batched_kernelI19rocblas_complex_numIdELi16ELi16ELi32ELi32ELi8ELi32ELi8ELi8ELi32ELc84ELc78EKS2_S3_S2_EEvlllT_PT11_llS6_llS4_PT12_llPT13_lli.has_dyn_sized_stack, 0
	.set _ZN12_GLOBAL__N_127rocblas_gemm_batched_kernelI19rocblas_complex_numIdELi16ELi16ELi32ELi32ELi8ELi32ELi8ELi8ELi32ELc84ELc78EKS2_S3_S2_EEvlllT_PT11_llS6_llS4_PT12_llPT13_lli.has_recursion, 0
	.set _ZN12_GLOBAL__N_127rocblas_gemm_batched_kernelI19rocblas_complex_numIdELi16ELi16ELi32ELi32ELi8ELi32ELi8ELi8ELi32ELc84ELc78EKS2_S3_S2_EEvlllT_PT11_llS6_llS4_PT12_llPT13_lli.has_indirect_call, 0
	.section	.AMDGPU.csdata,"",@progbits
; Kernel info:
; codeLenInByte = 3572
; TotalNumSgprs: 54
; NumVgprs: 162
; ScratchSize: 0
; MemoryBound: 0
; FloatMode: 240
; IeeeMode: 1
; LDSByteSize: 8192 bytes/workgroup (compile time only)
; SGPRBlocks: 0
; VGPRBlocks: 20
; NumSGPRsForWavesPerEU: 54
; NumVGPRsForWavesPerEU: 162
; Occupancy: 5
; WaveLimiterHint : 1
; COMPUTE_PGM_RSRC2:SCRATCH_EN: 0
; COMPUTE_PGM_RSRC2:USER_SGPR: 6
; COMPUTE_PGM_RSRC2:TRAP_HANDLER: 0
; COMPUTE_PGM_RSRC2:TGID_X_EN: 1
; COMPUTE_PGM_RSRC2:TGID_Y_EN: 1
; COMPUTE_PGM_RSRC2:TGID_Z_EN: 1
; COMPUTE_PGM_RSRC2:TIDIG_COMP_CNT: 1
	.section	.text._ZN12_GLOBAL__N_127rocblas_gemm_batched_kernelI19rocblas_complex_numIdELi16ELi16ELi32ELi32ELi8ELi32ELi8ELi8ELi32ELc78ELc84EKS2_S3_S2_EEvlllT_PT11_llS6_llS4_PT12_llPT13_lli,"axG",@progbits,_ZN12_GLOBAL__N_127rocblas_gemm_batched_kernelI19rocblas_complex_numIdELi16ELi16ELi32ELi32ELi8ELi32ELi8ELi8ELi32ELc78ELc84EKS2_S3_S2_EEvlllT_PT11_llS6_llS4_PT12_llPT13_lli,comdat
	.globl	_ZN12_GLOBAL__N_127rocblas_gemm_batched_kernelI19rocblas_complex_numIdELi16ELi16ELi32ELi32ELi8ELi32ELi8ELi8ELi32ELc78ELc84EKS2_S3_S2_EEvlllT_PT11_llS6_llS4_PT12_llPT13_lli ; -- Begin function _ZN12_GLOBAL__N_127rocblas_gemm_batched_kernelI19rocblas_complex_numIdELi16ELi16ELi32ELi32ELi8ELi32ELi8ELi8ELi32ELc78ELc84EKS2_S3_S2_EEvlllT_PT11_llS6_llS4_PT12_llPT13_lli
	.p2align	8
	.type	_ZN12_GLOBAL__N_127rocblas_gemm_batched_kernelI19rocblas_complex_numIdELi16ELi16ELi32ELi32ELi8ELi32ELi8ELi8ELi32ELc78ELc84EKS2_S3_S2_EEvlllT_PT11_llS6_llS4_PT12_llPT13_lli,@function
_ZN12_GLOBAL__N_127rocblas_gemm_batched_kernelI19rocblas_complex_numIdELi16ELi16ELi32ELi32ELi8ELi32ELi8ELi8ELi32ELc78ELc84EKS2_S3_S2_EEvlllT_PT11_llS6_llS4_PT12_llPT13_lli: ; @_ZN12_GLOBAL__N_127rocblas_gemm_batched_kernelI19rocblas_complex_numIdELi16ELi16ELi32ELi32ELi8ELi32ELi8ELi8ELi32ELc78ELc84EKS2_S3_S2_EEvlllT_PT11_llS6_llS4_PT12_llPT13_lli
; %bb.0:
	s_clause 0x1
	s_load_dwordx16 s[12:27], s[4:5], 0x10
	s_load_dwordx16 s[36:51], s[4:5], 0x50
	s_mov_b32 s2, s7
	s_ashr_i32 s7, s6, 31
	s_ashr_i32 s3, s2, 31
	s_lshl_b64 s[0:1], s[6:7], 5
	s_lshl_b64 s[2:3], s[2:3], 5
	s_waitcnt lgkmcnt(0)
	v_cmp_lt_i64_e64 s9, s[12:13], 1
	s_and_b32 vcc_lo, exec_lo, s9
	s_cbranch_vccnz .LBB129_3
; %bb.1:
	v_lshl_add_u32 v8, v1, 4, v0
	v_and_b32_e32 v9, 7, v0
	s_mul_i32 s7, s23, s8
	s_mul_hi_u32 s9, s22, s8
	s_mul_i32 s10, s37, s8
	v_lshrrev_b32_e32 v11, 3, v8
	v_lshrrev_b32_e32 v10, 5, v8
	s_add_i32 s7, s9, s7
	s_mul_hi_u32 s11, s36, s8
	v_mov_b32_e32 v12, 0
	v_add_co_u32 v4, s6, v11, s2
	v_add_co_ci_u32_e64 v5, null, 0, s3, s6
	v_mad_u64_u32 v[2:3], null, s20, v10, s[0:1]
	s_mul_i32 s6, s22, s8
	v_mad_u64_u32 v[4:5], null, s26, v9, v[4:5]
	s_lshl_b64 s[6:7], s[6:7], 4
	v_mov_b32_e32 v16, 0
	s_add_u32 s6, s18, s6
	s_addc_u32 s7, s19, s7
	s_add_i32 s11, s11, s10
	s_mul_i32 s10, s36, s8
	v_mad_u64_u32 v[6:7], null, s21, v10, v[3:4]
	v_and_b32_e32 v7, 31, v8
	v_mov_b32_e32 v3, v5
	v_lshlrev_b32_e32 v8, 4, v9
	s_lshl_b64 s[10:11], s[10:11], 4
	v_mov_b32_e32 v14, 0
	v_add_co_u32 v5, vcc_lo, v2, v7
	v_mad_u64_u32 v[2:3], null, s27, v9, v[3:4]
	v_add_co_ci_u32_e64 v6, null, 0, v6, vcc_lo
	v_lshlrev_b32_e32 v3, 4, v7
	v_lshl_or_b32 v8, v11, 7, v8
	v_lshlrev_b32_e32 v22, 4, v0
	v_lshlrev_b64 v[6:7], 4, v[5:6]
	v_mov_b32_e32 v5, v2
	v_lshl_or_b32 v24, v10, 9, v3
	v_add_nc_u32_e32 v25, 0x1000, v8
	v_mov_b32_e32 v2, 0
	v_mov_b32_e32 v8, 0
	v_lshlrev_b64 v[20:21], 4, v[4:5]
	v_add_co_u32 v18, vcc_lo, s6, v6
	v_add_co_ci_u32_e64 v19, null, s7, v7, vcc_lo
	s_lshl_b64 s[6:7], s[20:21], 7
	s_add_u32 s9, s24, s10
	s_addc_u32 s10, s25, s11
	v_add_co_u32 v20, vcc_lo, s9, v20
	v_mov_b32_e32 v4, 0
	v_mov_b32_e32 v6, 0
	;; [unrolled: 1-line block ×3, first 2 shown]
	v_lshl_add_u32 v23, v1, 7, 0x1000
	v_mov_b32_e32 v5, 0
	v_mov_b32_e32 v3, 0
	;; [unrolled: 1-line block ×8, first 2 shown]
	v_add_co_ci_u32_e64 v21, null, s10, v21, vcc_lo
	s_lshl_b64 s[10:11], s[26:27], 7
	s_mov_b64 s[18:19], 0
.LBB129_2:                              ; =>This Inner Loop Header: Depth=1
	global_load_dwordx4 v[26:29], v[18:19], off
	global_load_dwordx4 v[30:33], v[20:21], off
	s_add_u32 s18, s18, 8
	s_addc_u32 s19, s19, 0
	v_add_co_u32 v18, vcc_lo, v18, s6
	v_cmp_lt_i64_e64 s9, s[18:19], s[12:13]
	v_add_co_ci_u32_e64 v19, null, s7, v19, vcc_lo
	v_add_co_u32 v20, vcc_lo, v20, s10
	v_add_co_ci_u32_e64 v21, null, s11, v21, vcc_lo
	s_and_b32 vcc_lo, exec_lo, s9
	s_waitcnt vmcnt(1)
	ds_write2_b64 v24, v[26:27], v[28:29] offset1:1
	s_waitcnt vmcnt(0)
	ds_write2_b64 v25, v[30:31], v[32:33] offset1:1
	s_waitcnt lgkmcnt(0)
	s_barrier
	buffer_gl0_inv
	ds_read_b128 v[26:29], v22
	ds_read_b128 v[30:33], v22 offset:256
	ds_read_b128 v[34:37], v23
	ds_read_b128 v[38:41], v23 offset:16
	ds_read_b128 v[42:45], v23 offset:2048
	;; [unrolled: 1-line block ×28, first 2 shown]
	s_waitcnt lgkmcnt(28)
	v_mul_f64 v[150:151], v[36:37], v[28:29]
	v_mul_f64 v[154:155], v[36:37], v[32:33]
	;; [unrolled: 1-line block ×4, first 2 shown]
	v_fma_f64 v[150:151], v[34:35], v[26:27], -v[150:151]
	v_fma_f64 v[34:35], v[34:35], v[30:31], -v[154:155]
	s_waitcnt lgkmcnt(26)
	v_mul_f64 v[154:155], v[44:45], v[28:29]
	v_mul_f64 v[28:29], v[42:43], v[28:29]
	v_fma_f64 v[152:153], v[36:37], v[26:27], v[152:153]
	v_fma_f64 v[36:37], v[36:37], v[30:31], v[156:157]
	v_add_f64 v[14:15], v[14:15], v[150:151]
	v_add_f64 v[10:11], v[10:11], v[34:35]
	v_fma_f64 v[154:155], v[42:43], v[26:27], -v[154:155]
	v_fma_f64 v[156:157], v[44:45], v[26:27], v[28:29]
	v_mul_f64 v[26:27], v[44:45], v[32:33]
	v_mul_f64 v[28:29], v[42:43], v[32:33]
	v_add_f64 v[16:17], v[152:153], v[16:17]
	v_add_f64 v[12:13], v[36:37], v[12:13]
	s_waitcnt lgkmcnt(16)
	v_mul_f64 v[34:35], v[64:65], v[84:85]
	v_mul_f64 v[36:37], v[62:63], v[84:85]
	s_waitcnt lgkmcnt(15)
	v_mul_f64 v[150:151], v[62:63], v[88:89]
	s_waitcnt lgkmcnt(12)
	v_mul_f64 v[152:153], v[98:99], v[96:97]
	v_add_f64 v[6:7], v[6:7], v[154:155]
	v_add_f64 v[8:9], v[156:157], v[8:9]
	v_fma_f64 v[32:33], v[42:43], v[30:31], -v[26:27]
	v_fma_f64 v[30:31], v[44:45], v[30:31], v[28:29]
	v_mul_f64 v[26:27], v[40:41], v[52:53]
	v_mul_f64 v[28:29], v[38:39], v[52:53]
	;; [unrolled: 1-line block ×4, first 2 shown]
	v_fma_f64 v[34:35], v[62:63], v[82:83], -v[34:35]
	v_fma_f64 v[36:37], v[64:65], v[82:83], v[36:37]
	v_add_f64 v[2:3], v[2:3], v[32:33]
	v_add_f64 v[4:5], v[30:31], v[4:5]
	v_fma_f64 v[158:159], v[38:39], v[50:51], -v[26:27]
	v_fma_f64 v[160:161], v[40:41], v[50:51], v[28:29]
	v_mul_f64 v[26:27], v[48:49], v[52:53]
	v_mul_f64 v[28:29], v[46:47], v[52:53]
	v_fma_f64 v[38:39], v[38:39], v[54:55], -v[42:43]
	v_fma_f64 v[40:41], v[40:41], v[54:55], v[44:45]
	v_mul_f64 v[52:53], v[58:59], v[72:73]
	v_mul_f64 v[30:31], v[80:81], v[84:85]
	;; [unrolled: 1-line block ×4, first 2 shown]
	v_add_f64 v[14:15], v[14:15], v[158:159]
	v_add_f64 v[16:17], v[160:161], v[16:17]
	v_fma_f64 v[42:43], v[46:47], v[50:51], -v[26:27]
	v_fma_f64 v[44:45], v[48:49], v[50:51], v[28:29]
	v_mul_f64 v[26:27], v[48:49], v[56:57]
	v_mul_f64 v[28:29], v[46:47], v[56:57]
	;; [unrolled: 1-line block ×3, first 2 shown]
	v_fma_f64 v[52:53], v[60:61], v[70:71], v[52:53]
	v_add_f64 v[10:11], v[10:11], v[38:39]
	v_add_f64 v[12:13], v[40:41], v[12:13]
	s_waitcnt lgkmcnt(10)
	v_mul_f64 v[38:39], v[108:109], v[92:93]
	v_mul_f64 v[40:41], v[106:107], v[92:93]
	v_fma_f64 v[30:31], v[78:79], v[82:83], -v[30:31]
	v_fma_f64 v[32:33], v[80:81], v[82:83], v[32:33]
	s_waitcnt lgkmcnt(8)
	v_mul_f64 v[82:83], v[112:113], v[116:117]
	v_add_f64 v[6:7], v[6:7], v[42:43]
	v_add_f64 v[8:9], v[44:45], v[8:9]
	v_fma_f64 v[46:47], v[46:47], v[54:55], -v[26:27]
	v_fma_f64 v[48:49], v[48:49], v[54:55], v[28:29]
	v_mul_f64 v[26:27], v[60:61], v[68:69]
	v_mul_f64 v[28:29], v[58:59], v[68:69]
	v_fma_f64 v[50:51], v[58:59], v[70:71], -v[50:51]
	v_mul_f64 v[42:43], v[108:109], v[96:97]
	v_mul_f64 v[44:45], v[106:107], v[96:97]
	v_add_f64 v[12:13], v[52:53], v[12:13]
	s_waitcnt lgkmcnt(7)
	v_mul_f64 v[52:53], v[110:111], v[120:121]
	v_fma_f64 v[38:39], v[106:107], v[90:91], -v[38:39]
	v_fma_f64 v[40:41], v[108:109], v[90:91], v[40:41]
	v_add_f64 v[2:3], v[2:3], v[46:47]
	v_add_f64 v[4:5], v[48:49], v[4:5]
	v_fma_f64 v[54:55], v[58:59], v[66:67], -v[26:27]
	v_fma_f64 v[56:57], v[60:61], v[66:67], v[28:29]
	v_mul_f64 v[26:27], v[76:77], v[68:69]
	v_mul_f64 v[28:29], v[74:75], v[68:69]
	;; [unrolled: 1-line block ×3, first 2 shown]
	v_add_f64 v[10:11], v[10:11], v[50:51]
	v_mul_f64 v[46:47], v[104:105], v[116:117]
	v_mul_f64 v[48:49], v[102:103], v[116:117]
	;; [unrolled: 1-line block ×3, first 2 shown]
	v_fma_f64 v[42:43], v[106:107], v[94:95], -v[42:43]
	v_fma_f64 v[44:45], v[108:109], v[94:95], v[44:45]
	v_fma_f64 v[52:53], v[112:113], v[118:119], v[52:53]
	v_add_f64 v[14:15], v[14:15], v[54:55]
	v_add_f64 v[16:17], v[56:57], v[16:17]
	v_fma_f64 v[58:59], v[74:75], v[66:67], -v[26:27]
	v_fma_f64 v[60:61], v[76:77], v[66:67], v[28:29]
	v_mul_f64 v[66:67], v[76:77], v[72:73]
	v_mul_f64 v[72:73], v[64:65], v[88:89]
	v_fma_f64 v[68:69], v[76:77], v[70:71], v[68:69]
	v_mul_f64 v[76:77], v[100:101], v[92:93]
	v_fma_f64 v[64:65], v[64:65], v[86:87], v[150:151]
	v_mul_f64 v[92:93], v[102:103], v[120:121]
	s_waitcnt lgkmcnt(4)
	v_mul_f64 v[54:55], v[132:133], v[124:125]
	v_mul_f64 v[56:57], v[130:131], v[124:125]
	v_fma_f64 v[46:47], v[102:103], v[114:115], -v[46:47]
	v_fma_f64 v[48:49], v[104:105], v[114:115], v[48:49]
	v_fma_f64 v[50:51], v[110:111], v[118:119], -v[50:51]
	ds_read_b128 v[26:29], v22 offset:3840
	s_waitcnt lgkmcnt(0)
	s_barrier
	buffer_gl0_inv
	v_add_f64 v[14:15], v[14:15], v[34:35]
	v_add_f64 v[16:17], v[36:37], v[16:17]
	;; [unrolled: 1-line block ×4, first 2 shown]
	v_fma_f64 v[66:67], v[74:75], v[70:71], -v[66:67]
	v_mul_f64 v[70:71], v[80:81], v[88:89]
	v_mul_f64 v[74:75], v[78:79], v[88:89]
	;; [unrolled: 1-line block ×3, first 2 shown]
	v_fma_f64 v[62:63], v[62:63], v[86:87], -v[72:73]
	v_add_f64 v[4:5], v[68:69], v[4:5]
	v_mul_f64 v[72:73], v[104:105], v[120:121]
	v_mul_f64 v[96:97], v[110:111], v[116:117]
	v_fma_f64 v[68:69], v[100:101], v[90:91], v[84:85]
	v_add_f64 v[12:13], v[64:65], v[12:13]
	v_mul_f64 v[58:59], v[132:133], v[128:129]
	v_mul_f64 v[60:61], v[130:131], v[128:129]
	;; [unrolled: 1-line block ×5, first 2 shown]
	v_fma_f64 v[54:55], v[130:131], v[122:123], -v[54:55]
	v_fma_f64 v[56:57], v[132:133], v[122:123], v[56:57]
	v_add_f64 v[6:7], v[6:7], v[30:31]
	v_add_f64 v[8:9], v[32:33], v[8:9]
	;; [unrolled: 1-line block ×3, first 2 shown]
	v_fma_f64 v[70:71], v[78:79], v[86:87], -v[70:71]
	v_fma_f64 v[74:75], v[80:81], v[86:87], v[74:75]
	v_fma_f64 v[66:67], v[98:99], v[90:91], -v[76:77]
	v_fma_f64 v[76:77], v[98:99], v[94:95], -v[88:89]
	v_fma_f64 v[78:79], v[100:101], v[94:95], v[152:153]
	v_add_f64 v[10:11], v[10:11], v[62:63]
	v_mul_f64 v[30:31], v[140:141], v[124:125]
	v_mul_f64 v[32:33], v[138:139], v[124:125]
	v_fma_f64 v[80:81], v[112:113], v[114:115], v[96:97]
	v_add_f64 v[16:17], v[68:69], v[16:17]
	v_mul_f64 v[62:63], v[136:137], v[148:149]
	v_fma_f64 v[58:59], v[130:131], v[126:127], -v[58:59]
	v_fma_f64 v[60:61], v[132:133], v[126:127], v[60:61]
	v_fma_f64 v[34:35], v[138:139], v[126:127], -v[34:35]
	v_fma_f64 v[36:37], v[140:141], v[126:127], v[36:37]
	v_add_f64 v[6:7], v[6:7], v[38:39]
	v_add_f64 v[8:9], v[40:41], v[8:9]
	v_mul_f64 v[38:39], v[136:137], v[28:29]
	v_add_f64 v[2:3], v[2:3], v[70:71]
	v_add_f64 v[4:5], v[74:75], v[4:5]
	v_fma_f64 v[70:71], v[102:103], v[118:119], -v[72:73]
	v_fma_f64 v[72:73], v[104:105], v[118:119], v[92:93]
	v_fma_f64 v[74:75], v[110:111], v[114:115], -v[82:83]
	v_add_f64 v[14:15], v[14:15], v[66:67]
	v_add_f64 v[10:11], v[10:11], v[76:77]
	;; [unrolled: 1-line block ×3, first 2 shown]
	v_mul_f64 v[40:41], v[134:135], v[28:29]
	v_mul_f64 v[66:67], v[144:145], v[28:29]
	;; [unrolled: 1-line block ×3, first 2 shown]
	v_fma_f64 v[30:31], v[138:139], v[122:123], -v[30:31]
	v_fma_f64 v[32:33], v[140:141], v[122:123], v[32:33]
	v_add_f64 v[16:17], v[48:49], v[16:17]
	v_fma_f64 v[48:49], v[136:137], v[146:147], v[64:65]
	v_add_f64 v[8:9], v[80:81], v[8:9]
	v_fma_f64 v[38:39], v[134:135], v[26:27], -v[38:39]
	v_add_f64 v[2:3], v[2:3], v[42:43]
	v_add_f64 v[4:5], v[44:45], v[4:5]
	v_mul_f64 v[42:43], v[144:145], v[148:149]
	v_mul_f64 v[44:45], v[142:143], v[148:149]
	v_add_f64 v[6:7], v[6:7], v[74:75]
	v_add_f64 v[14:15], v[14:15], v[46:47]
	;; [unrolled: 1-line block ×4, first 2 shown]
	v_fma_f64 v[46:47], v[134:135], v[146:147], -v[62:63]
	v_fma_f64 v[40:41], v[136:137], v[26:27], v[40:41]
	v_add_f64 v[16:17], v[56:57], v[16:17]
	v_add_f64 v[8:9], v[32:33], v[8:9]
	v_add_f64 v[2:3], v[2:3], v[50:51]
	v_add_f64 v[4:5], v[52:53], v[4:5]
	v_fma_f64 v[42:43], v[142:143], v[146:147], -v[42:43]
	v_fma_f64 v[44:45], v[144:145], v[146:147], v[44:45]
	v_fma_f64 v[50:51], v[142:143], v[26:27], -v[66:67]
	v_fma_f64 v[26:27], v[144:145], v[26:27], v[28:29]
	v_add_f64 v[14:15], v[14:15], v[54:55]
	v_add_f64 v[10:11], v[10:11], v[58:59]
	;; [unrolled: 1-line block ×14, first 2 shown]
	s_cbranch_vccnz .LBB129_2
	s_branch .LBB129_4
.LBB129_3:
	v_mov_b32_e32 v14, 0
	v_mov_b32_e32 v16, 0
	;; [unrolled: 1-line block ×16, first 2 shown]
.LBB129_4:
	s_load_dwordx2 s[4:5], s[4:5], 0x90
	v_cmp_neq_f64_e64 s6, s[38:39], 0
	v_cmp_neq_f64_e64 s7, s[40:41], 0
	v_add_co_u32 v22, s2, s2, v1
	v_add_co_u32 v0, s0, s0, v0
	v_add_co_ci_u32_e64 v23, null, s3, 0, s2
	v_add_co_ci_u32_e64 v1, null, s1, 0, s0
	s_waitcnt lgkmcnt(0)
	s_mul_i32 s5, s5, s8
	s_mul_hi_u32 s9, s4, s8
	s_mul_i32 s4, s4, s8
	s_add_i32 s5, s9, s5
	s_lshl_b64 s[4:5], s[4:5], 4
	s_add_u32 s2, s48, s4
	s_addc_u32 s3, s49, s5
	s_or_b32 s4, s6, s7
	s_and_b32 vcc_lo, exec_lo, s4
	s_cbranch_vccnz .LBB129_6
; %bb.5:
	v_mul_f64 v[20:21], s[16:17], v[16:17]
	v_mul_f64 v[26:27], s[14:15], v[16:17]
	v_mul_f64 v[36:37], s[16:17], v[4:5]
	v_mul_f64 v[38:39], s[14:15], v[4:5]
	v_mul_lo_u32 v24, v23, s50
	v_mul_lo_u32 v25, v22, s51
	v_mad_u64_u32 v[18:19], null, v22, s50, 0
	v_mul_f64 v[28:29], s[16:17], v[12:13]
	v_mul_f64 v[30:31], s[14:15], v[12:13]
	;; [unrolled: 1-line block ×4, first 2 shown]
	s_lshl_b64 s[0:1], s[50:51], 8
	v_lshlrev_b64 v[40:41], 4, v[0:1]
	v_add3_u32 v19, v19, v25, v24
	v_lshlrev_b64 v[18:19], 4, v[18:19]
	v_fma_f64 v[24:25], s[14:15], v[14:15], -v[20:21]
	v_fma_f64 v[26:27], s[16:17], v[14:15], v[26:27]
	v_fma_f64 v[36:37], s[14:15], v[2:3], -v[36:37]
	v_add_co_u32 v42, vcc_lo, s2, v18
	v_add_co_ci_u32_e64 v43, null, s3, v19, vcc_lo
	v_fma_f64 v[18:19], s[16:17], v[2:3], v[38:39]
	v_fma_f64 v[28:29], s[14:15], v[10:11], -v[28:29]
	v_fma_f64 v[30:31], s[16:17], v[10:11], v[30:31]
	v_fma_f64 v[32:33], s[14:15], v[6:7], -v[32:33]
	v_fma_f64 v[34:35], s[16:17], v[6:7], v[34:35]
	v_add_co_u32 v20, vcc_lo, v42, s0
	v_add_co_ci_u32_e64 v21, null, s1, v43, vcc_lo
	v_add_co_u32 v38, vcc_lo, v20, v40
	v_add_co_ci_u32_e64 v39, null, v21, v41, vcc_lo
	;; [unrolled: 2-line block ×4, first 2 shown]
	global_store_dwordx4 v[40:41], v[24:27], off
	global_store_dwordx4 v[40:41], v[28:31], off offset:256
	global_store_dwordx4 v[38:39], v[32:35], off
	global_store_dwordx2 v[38:39], v[36:37], off offset:256
	s_cbranch_execz .LBB129_7
	s_branch .LBB129_8
.LBB129_6:
                                        ; implicit-def: $vgpr18_vgpr19
                                        ; implicit-def: $vgpr20_vgpr21
.LBB129_7:
	v_mul_lo_u32 v20, v23, s44
	v_mul_lo_u32 v21, v22, s45
	v_mad_u64_u32 v[18:19], null, v22, s44, 0
	s_mul_i32 s1, s47, s8
	s_mul_hi_u32 s4, s46, s8
	s_mul_i32 s0, s46, s8
	s_add_i32 s1, s4, s1
	v_lshlrev_b64 v[0:1], 4, v[0:1]
	s_lshl_b64 s[0:1], s[0:1], 4
	v_add3_u32 v19, v19, v21, v20
	s_add_u32 s0, s42, s0
	s_addc_u32 s1, s43, s1
	v_mul_f64 v[26:27], s[16:17], v[16:17]
	v_mul_f64 v[16:17], s[14:15], v[16:17]
	v_lshlrev_b64 v[18:19], 4, v[18:19]
	v_mul_lo_u32 v23, v23, s50
	v_add_co_u32 v30, vcc_lo, s0, v18
	v_add_co_ci_u32_e64 v31, null, s1, v19, vcc_lo
	s_lshl_b64 s[0:1], s[44:45], 8
	v_add_co_u32 v24, vcc_lo, v30, v0
	v_add_co_ci_u32_e64 v25, null, v31, v1, vcc_lo
	global_load_dwordx4 v[18:21], v[24:25], off
	v_fma_f64 v[26:27], s[14:15], v[14:15], -v[26:27]
	v_fma_f64 v[16:17], s[16:17], v[14:15], v[16:17]
	s_waitcnt vmcnt(0)
	v_mul_f64 v[28:29], s[40:41], v[20:21]
	v_mul_f64 v[20:21], s[38:39], v[20:21]
	v_fma_f64 v[14:15], s[38:39], v[18:19], -v[28:29]
	v_fma_f64 v[18:19], s[40:41], v[18:19], v[20:21]
	v_mul_lo_u32 v28, v22, s51
	v_mad_u64_u32 v[20:21], null, v22, s50, 0
	v_add3_u32 v21, v21, v28, v23
	v_add_f64 v[14:15], v[26:27], v[14:15]
	v_add_f64 v[16:17], v[16:17], v[18:19]
	v_lshlrev_b64 v[18:19], 4, v[20:21]
	v_mul_f64 v[20:21], s[16:17], v[12:13]
	v_mul_f64 v[12:13], s[14:15], v[12:13]
	v_add_co_u32 v26, vcc_lo, s2, v18
	v_add_co_ci_u32_e64 v27, null, s3, v19, vcc_lo
	v_add_co_u32 v18, vcc_lo, v26, v0
	v_add_co_ci_u32_e64 v19, null, v27, v1, vcc_lo
	global_store_dwordx4 v[18:19], v[14:17], off
	global_load_dwordx4 v[14:17], v[24:25], off offset:256
	v_fma_f64 v[20:21], s[14:15], v[10:11], -v[20:21]
	v_fma_f64 v[12:13], s[16:17], v[10:11], v[12:13]
	s_waitcnt vmcnt(0)
	v_mul_f64 v[22:23], s[40:41], v[16:17]
	v_mul_f64 v[16:17], s[38:39], v[16:17]
	v_fma_f64 v[10:11], s[38:39], v[14:15], -v[22:23]
	v_fma_f64 v[14:15], s[40:41], v[14:15], v[16:17]
	v_mul_f64 v[16:17], s[16:17], v[8:9]
	v_mul_f64 v[8:9], s[14:15], v[8:9]
	v_add_f64 v[10:11], v[20:21], v[10:11]
	v_add_f64 v[12:13], v[12:13], v[14:15]
	v_add_co_u32 v14, vcc_lo, v30, s0
	v_add_co_ci_u32_e64 v15, null, s1, v31, vcc_lo
	v_fma_f64 v[16:17], s[14:15], v[6:7], -v[16:17]
	v_add_co_u32 v14, vcc_lo, v14, v0
	v_add_co_ci_u32_e64 v15, null, v15, v1, vcc_lo
	v_fma_f64 v[8:9], s[16:17], v[6:7], v[8:9]
	s_lshl_b64 s[0:1], s[50:51], 8
	global_store_dwordx4 v[18:19], v[10:13], off offset:256
	global_load_dwordx4 v[10:13], v[14:15], off
	s_waitcnt vmcnt(0)
	v_mul_f64 v[18:19], s[40:41], v[12:13]
	v_mul_f64 v[12:13], s[38:39], v[12:13]
	v_fma_f64 v[6:7], s[38:39], v[10:11], -v[18:19]
	v_fma_f64 v[10:11], s[40:41], v[10:11], v[12:13]
	v_add_f64 v[6:7], v[16:17], v[6:7]
	v_add_f64 v[8:9], v[8:9], v[10:11]
	v_add_co_u32 v10, vcc_lo, v26, s0
	v_add_co_ci_u32_e64 v11, null, s1, v27, vcc_lo
	v_add_co_u32 v0, vcc_lo, v10, v0
	v_add_co_ci_u32_e64 v1, null, v11, v1, vcc_lo
	v_mul_f64 v[10:11], s[16:17], v[4:5]
	v_mul_f64 v[4:5], s[14:15], v[4:5]
	v_add_co_u32 v20, vcc_lo, 0x100, v0
	v_add_co_ci_u32_e64 v21, null, 0, v1, vcc_lo
	global_store_dwordx4 v[0:1], v[6:9], off
	global_load_dwordx4 v[6:9], v[14:15], off offset:256
	v_fma_f64 v[10:11], s[14:15], v[2:3], -v[10:11]
	v_fma_f64 v[2:3], s[16:17], v[2:3], v[4:5]
	s_waitcnt vmcnt(0)
	v_mul_f64 v[12:13], s[40:41], v[8:9]
	v_mul_f64 v[8:9], s[38:39], v[8:9]
	v_fma_f64 v[4:5], s[38:39], v[6:7], -v[12:13]
	v_fma_f64 v[6:7], s[40:41], v[6:7], v[8:9]
	v_add_f64 v[4:5], v[10:11], v[4:5]
	v_add_f64 v[18:19], v[2:3], v[6:7]
	global_store_dwordx2 v[0:1], v[4:5], off offset:256
.LBB129_8:
	global_store_dwordx2 v[20:21], v[18:19], off offset:8
	s_endpgm
	.section	.rodata,"a",@progbits
	.p2align	6, 0x0
	.amdhsa_kernel _ZN12_GLOBAL__N_127rocblas_gemm_batched_kernelI19rocblas_complex_numIdELi16ELi16ELi32ELi32ELi8ELi32ELi8ELi8ELi32ELc78ELc84EKS2_S3_S2_EEvlllT_PT11_llS6_llS4_PT12_llPT13_lli
		.amdhsa_group_segment_fixed_size 8192
		.amdhsa_private_segment_fixed_size 0
		.amdhsa_kernarg_size 156
		.amdhsa_user_sgpr_count 6
		.amdhsa_user_sgpr_private_segment_buffer 1
		.amdhsa_user_sgpr_dispatch_ptr 0
		.amdhsa_user_sgpr_queue_ptr 0
		.amdhsa_user_sgpr_kernarg_segment_ptr 1
		.amdhsa_user_sgpr_dispatch_id 0
		.amdhsa_user_sgpr_flat_scratch_init 0
		.amdhsa_user_sgpr_private_segment_size 0
		.amdhsa_wavefront_size32 1
		.amdhsa_uses_dynamic_stack 0
		.amdhsa_system_sgpr_private_segment_wavefront_offset 0
		.amdhsa_system_sgpr_workgroup_id_x 1
		.amdhsa_system_sgpr_workgroup_id_y 1
		.amdhsa_system_sgpr_workgroup_id_z 1
		.amdhsa_system_sgpr_workgroup_info 0
		.amdhsa_system_vgpr_workitem_id 1
		.amdhsa_next_free_vgpr 162
		.amdhsa_next_free_sgpr 52
		.amdhsa_reserve_vcc 1
		.amdhsa_reserve_flat_scratch 0
		.amdhsa_float_round_mode_32 0
		.amdhsa_float_round_mode_16_64 0
		.amdhsa_float_denorm_mode_32 3
		.amdhsa_float_denorm_mode_16_64 3
		.amdhsa_dx10_clamp 1
		.amdhsa_ieee_mode 1
		.amdhsa_fp16_overflow 0
		.amdhsa_workgroup_processor_mode 1
		.amdhsa_memory_ordered 1
		.amdhsa_forward_progress 1
		.amdhsa_shared_vgpr_count 0
		.amdhsa_exception_fp_ieee_invalid_op 0
		.amdhsa_exception_fp_denorm_src 0
		.amdhsa_exception_fp_ieee_div_zero 0
		.amdhsa_exception_fp_ieee_overflow 0
		.amdhsa_exception_fp_ieee_underflow 0
		.amdhsa_exception_fp_ieee_inexact 0
		.amdhsa_exception_int_div_zero 0
	.end_amdhsa_kernel
	.section	.text._ZN12_GLOBAL__N_127rocblas_gemm_batched_kernelI19rocblas_complex_numIdELi16ELi16ELi32ELi32ELi8ELi32ELi8ELi8ELi32ELc78ELc84EKS2_S3_S2_EEvlllT_PT11_llS6_llS4_PT12_llPT13_lli,"axG",@progbits,_ZN12_GLOBAL__N_127rocblas_gemm_batched_kernelI19rocblas_complex_numIdELi16ELi16ELi32ELi32ELi8ELi32ELi8ELi8ELi32ELc78ELc84EKS2_S3_S2_EEvlllT_PT11_llS6_llS4_PT12_llPT13_lli,comdat
.Lfunc_end129:
	.size	_ZN12_GLOBAL__N_127rocblas_gemm_batched_kernelI19rocblas_complex_numIdELi16ELi16ELi32ELi32ELi8ELi32ELi8ELi8ELi32ELc78ELc84EKS2_S3_S2_EEvlllT_PT11_llS6_llS4_PT12_llPT13_lli, .Lfunc_end129-_ZN12_GLOBAL__N_127rocblas_gemm_batched_kernelI19rocblas_complex_numIdELi16ELi16ELi32ELi32ELi8ELi32ELi8ELi8ELi32ELc78ELc84EKS2_S3_S2_EEvlllT_PT11_llS6_llS4_PT12_llPT13_lli
                                        ; -- End function
	.set _ZN12_GLOBAL__N_127rocblas_gemm_batched_kernelI19rocblas_complex_numIdELi16ELi16ELi32ELi32ELi8ELi32ELi8ELi8ELi32ELc78ELc84EKS2_S3_S2_EEvlllT_PT11_llS6_llS4_PT12_llPT13_lli.num_vgpr, 162
	.set _ZN12_GLOBAL__N_127rocblas_gemm_batched_kernelI19rocblas_complex_numIdELi16ELi16ELi32ELi32ELi8ELi32ELi8ELi8ELi32ELc78ELc84EKS2_S3_S2_EEvlllT_PT11_llS6_llS4_PT12_llPT13_lli.num_agpr, 0
	.set _ZN12_GLOBAL__N_127rocblas_gemm_batched_kernelI19rocblas_complex_numIdELi16ELi16ELi32ELi32ELi8ELi32ELi8ELi8ELi32ELc78ELc84EKS2_S3_S2_EEvlllT_PT11_llS6_llS4_PT12_llPT13_lli.numbered_sgpr, 52
	.set _ZN12_GLOBAL__N_127rocblas_gemm_batched_kernelI19rocblas_complex_numIdELi16ELi16ELi32ELi32ELi8ELi32ELi8ELi8ELi32ELc78ELc84EKS2_S3_S2_EEvlllT_PT11_llS6_llS4_PT12_llPT13_lli.num_named_barrier, 0
	.set _ZN12_GLOBAL__N_127rocblas_gemm_batched_kernelI19rocblas_complex_numIdELi16ELi16ELi32ELi32ELi8ELi32ELi8ELi8ELi32ELc78ELc84EKS2_S3_S2_EEvlllT_PT11_llS6_llS4_PT12_llPT13_lli.private_seg_size, 0
	.set _ZN12_GLOBAL__N_127rocblas_gemm_batched_kernelI19rocblas_complex_numIdELi16ELi16ELi32ELi32ELi8ELi32ELi8ELi8ELi32ELc78ELc84EKS2_S3_S2_EEvlllT_PT11_llS6_llS4_PT12_llPT13_lli.uses_vcc, 1
	.set _ZN12_GLOBAL__N_127rocblas_gemm_batched_kernelI19rocblas_complex_numIdELi16ELi16ELi32ELi32ELi8ELi32ELi8ELi8ELi32ELc78ELc84EKS2_S3_S2_EEvlllT_PT11_llS6_llS4_PT12_llPT13_lli.uses_flat_scratch, 0
	.set _ZN12_GLOBAL__N_127rocblas_gemm_batched_kernelI19rocblas_complex_numIdELi16ELi16ELi32ELi32ELi8ELi32ELi8ELi8ELi32ELc78ELc84EKS2_S3_S2_EEvlllT_PT11_llS6_llS4_PT12_llPT13_lli.has_dyn_sized_stack, 0
	.set _ZN12_GLOBAL__N_127rocblas_gemm_batched_kernelI19rocblas_complex_numIdELi16ELi16ELi32ELi32ELi8ELi32ELi8ELi8ELi32ELc78ELc84EKS2_S3_S2_EEvlllT_PT11_llS6_llS4_PT12_llPT13_lli.has_recursion, 0
	.set _ZN12_GLOBAL__N_127rocblas_gemm_batched_kernelI19rocblas_complex_numIdELi16ELi16ELi32ELi32ELi8ELi32ELi8ELi8ELi32ELc78ELc84EKS2_S3_S2_EEvlllT_PT11_llS6_llS4_PT12_llPT13_lli.has_indirect_call, 0
	.section	.AMDGPU.csdata,"",@progbits
; Kernel info:
; codeLenInByte = 3496
; TotalNumSgprs: 54
; NumVgprs: 162
; ScratchSize: 0
; MemoryBound: 0
; FloatMode: 240
; IeeeMode: 1
; LDSByteSize: 8192 bytes/workgroup (compile time only)
; SGPRBlocks: 0
; VGPRBlocks: 20
; NumSGPRsForWavesPerEU: 54
; NumVGPRsForWavesPerEU: 162
; Occupancy: 5
; WaveLimiterHint : 1
; COMPUTE_PGM_RSRC2:SCRATCH_EN: 0
; COMPUTE_PGM_RSRC2:USER_SGPR: 6
; COMPUTE_PGM_RSRC2:TRAP_HANDLER: 0
; COMPUTE_PGM_RSRC2:TGID_X_EN: 1
; COMPUTE_PGM_RSRC2:TGID_Y_EN: 1
; COMPUTE_PGM_RSRC2:TGID_Z_EN: 1
; COMPUTE_PGM_RSRC2:TIDIG_COMP_CNT: 1
	.section	.text._ZN12_GLOBAL__N_127rocblas_gemm_batched_kernelI19rocblas_complex_numIdELi16ELi16ELi32ELi32ELi8ELi32ELi8ELi8ELi32ELc84ELc84EKS2_S3_S2_EEvlllT_PT11_llS6_llS4_PT12_llPT13_lli,"axG",@progbits,_ZN12_GLOBAL__N_127rocblas_gemm_batched_kernelI19rocblas_complex_numIdELi16ELi16ELi32ELi32ELi8ELi32ELi8ELi8ELi32ELc84ELc84EKS2_S3_S2_EEvlllT_PT11_llS6_llS4_PT12_llPT13_lli,comdat
	.globl	_ZN12_GLOBAL__N_127rocblas_gemm_batched_kernelI19rocblas_complex_numIdELi16ELi16ELi32ELi32ELi8ELi32ELi8ELi8ELi32ELc84ELc84EKS2_S3_S2_EEvlllT_PT11_llS6_llS4_PT12_llPT13_lli ; -- Begin function _ZN12_GLOBAL__N_127rocblas_gemm_batched_kernelI19rocblas_complex_numIdELi16ELi16ELi32ELi32ELi8ELi32ELi8ELi8ELi32ELc84ELc84EKS2_S3_S2_EEvlllT_PT11_llS6_llS4_PT12_llPT13_lli
	.p2align	8
	.type	_ZN12_GLOBAL__N_127rocblas_gemm_batched_kernelI19rocblas_complex_numIdELi16ELi16ELi32ELi32ELi8ELi32ELi8ELi8ELi32ELc84ELc84EKS2_S3_S2_EEvlllT_PT11_llS6_llS4_PT12_llPT13_lli,@function
_ZN12_GLOBAL__N_127rocblas_gemm_batched_kernelI19rocblas_complex_numIdELi16ELi16ELi32ELi32ELi8ELi32ELi8ELi8ELi32ELc84ELc84EKS2_S3_S2_EEvlllT_PT11_llS6_llS4_PT12_llPT13_lli: ; @_ZN12_GLOBAL__N_127rocblas_gemm_batched_kernelI19rocblas_complex_numIdELi16ELi16ELi32ELi32ELi8ELi32ELi8ELi8ELi32ELc84ELc84EKS2_S3_S2_EEvlllT_PT11_llS6_llS4_PT12_llPT13_lli
; %bb.0:
	s_clause 0x1
	s_load_dwordx16 s[12:27], s[4:5], 0x10
	s_load_dwordx16 s[36:51], s[4:5], 0x50
	s_mov_b32 s2, s7
	s_ashr_i32 s7, s6, 31
	s_ashr_i32 s3, s2, 31
	s_lshl_b64 s[0:1], s[6:7], 5
	s_lshl_b64 s[2:3], s[2:3], 5
	s_waitcnt lgkmcnt(0)
	v_cmp_lt_i64_e64 s9, s[12:13], 1
	s_and_b32 vcc_lo, exec_lo, s9
	s_cbranch_vccnz .LBB130_3
; %bb.1:
	v_lshl_add_u32 v6, v1, 4, v0
	v_and_b32_e32 v7, 7, v0
	s_mul_i32 s7, s23, s8
	s_mul_hi_u32 s9, s22, s8
	v_mov_b32_e32 v16, 0
	v_lshrrev_b32_e32 v8, 3, v6
	v_and_b32_e32 v9, 31, v6
	v_lshrrev_b32_e32 v12, 5, v6
	v_lshlrev_b32_e32 v13, 4, v7
	s_add_i32 s7, s9, s7
	v_add_co_u32 v2, s6, v8, s2
	v_add_co_ci_u32_e64 v3, null, 0, s3, s6
	v_add_co_u32 v4, s6, s0, v9
	v_add_co_ci_u32_e64 v5, null, s1, 0, s6
	v_mad_u64_u32 v[2:3], null, s26, v7, v[2:3]
	v_mul_lo_u32 v10, s21, v4
	v_mul_lo_u32 v11, s20, v5
	v_mad_u64_u32 v[4:5], null, s20, v4, 0
	s_mul_i32 s6, s22, s8
	v_mov_b32_e32 v14, 0
	s_lshl_b64 s[6:7], s[6:7], 4
	v_lshlrev_b32_e32 v22, 4, v0
	v_lshl_add_u32 v23, v1, 7, 0x1000
	v_mov_b32_e32 v17, 0
	v_add3_u32 v5, v5, v11, v10
	v_mad_u64_u32 v[6:7], null, s27, v7, v[3:4]
	v_lshlrev_b32_e32 v3, 4, v9
	v_lshl_or_b32 v7, v8, 7, v13
	v_lshlrev_b64 v[4:5], 4, v[4:5]
	v_mov_b32_e32 v8, 0
	v_mov_b32_e32 v10, 0
	v_lshl_or_b32 v24, v12, 9, v3
	v_mov_b32_e32 v3, v6
	v_lshlrev_b32_e32 v6, 4, v12
	v_add_co_u32 v4, vcc_lo, v4, s6
	v_add_co_ci_u32_e64 v5, null, s7, v5, vcc_lo
	s_mul_i32 s6, s37, s8
	s_mul_hi_u32 s7, s36, s8
	v_add_co_u32 v4, vcc_lo, v4, v6
	s_add_i32 s7, s7, s6
	s_mul_i32 s6, s36, s8
	v_lshlrev_b64 v[20:21], 4, v[2:3]
	v_add_co_ci_u32_e64 v5, null, 0, v5, vcc_lo
	s_lshl_b64 s[6:7], s[6:7], 4
	v_add_co_u32 v18, vcc_lo, s18, v4
	s_add_u32 s6, s24, s6
	v_add_co_ci_u32_e64 v19, null, s19, v5, vcc_lo
	s_addc_u32 s7, s25, s7
	v_add_co_u32 v20, vcc_lo, s6, v20
	v_add_nc_u32_e32 v25, 0x1000, v7
	v_mov_b32_e32 v4, 0
	v_mov_b32_e32 v2, 0
	;; [unrolled: 1-line block ×11, first 2 shown]
	v_add_co_ci_u32_e64 v21, null, s7, v21, vcc_lo
	s_lshl_b64 s[6:7], s[26:27], 7
	s_mov_b64 s[10:11], 0
.LBB130_2:                              ; =>This Inner Loop Header: Depth=1
	global_load_dwordx4 v[26:29], v[18:19], off
	global_load_dwordx4 v[30:33], v[20:21], off
	s_add_u32 s10, s10, 8
	s_addc_u32 s11, s11, 0
	v_add_co_u32 v18, vcc_lo, 0x80, v18
	v_cmp_lt_i64_e64 s9, s[10:11], s[12:13]
	v_add_co_ci_u32_e64 v19, null, 0, v19, vcc_lo
	v_add_co_u32 v20, vcc_lo, v20, s6
	v_add_co_ci_u32_e64 v21, null, s7, v21, vcc_lo
	s_and_b32 vcc_lo, exec_lo, s9
	s_waitcnt vmcnt(1)
	ds_write2_b64 v24, v[26:27], v[28:29] offset1:1
	s_waitcnt vmcnt(0)
	ds_write2_b64 v25, v[30:31], v[32:33] offset1:1
	s_waitcnt lgkmcnt(0)
	s_barrier
	buffer_gl0_inv
	ds_read_b128 v[26:29], v22
	ds_read_b128 v[30:33], v22 offset:256
	ds_read_b128 v[34:37], v23
	ds_read_b128 v[38:41], v23 offset:16
	ds_read_b128 v[42:45], v23 offset:2048
	;; [unrolled: 1-line block ×28, first 2 shown]
	s_waitcnt lgkmcnt(28)
	v_mul_f64 v[150:151], v[36:37], v[28:29]
	v_mul_f64 v[154:155], v[36:37], v[32:33]
	;; [unrolled: 1-line block ×4, first 2 shown]
	v_fma_f64 v[150:151], v[34:35], v[26:27], -v[150:151]
	v_fma_f64 v[34:35], v[34:35], v[30:31], -v[154:155]
	s_waitcnt lgkmcnt(26)
	v_mul_f64 v[154:155], v[44:45], v[28:29]
	v_mul_f64 v[28:29], v[42:43], v[28:29]
	v_fma_f64 v[152:153], v[36:37], v[26:27], v[152:153]
	v_fma_f64 v[36:37], v[36:37], v[30:31], v[156:157]
	v_add_f64 v[14:15], v[14:15], v[150:151]
	v_add_f64 v[10:11], v[10:11], v[34:35]
	v_fma_f64 v[154:155], v[42:43], v[26:27], -v[154:155]
	v_fma_f64 v[156:157], v[44:45], v[26:27], v[28:29]
	v_mul_f64 v[26:27], v[44:45], v[32:33]
	v_mul_f64 v[28:29], v[42:43], v[32:33]
	v_add_f64 v[16:17], v[152:153], v[16:17]
	v_add_f64 v[12:13], v[36:37], v[12:13]
	s_waitcnt lgkmcnt(16)
	v_mul_f64 v[34:35], v[64:65], v[84:85]
	v_mul_f64 v[36:37], v[62:63], v[84:85]
	s_waitcnt lgkmcnt(15)
	v_mul_f64 v[150:151], v[62:63], v[88:89]
	s_waitcnt lgkmcnt(12)
	v_mul_f64 v[152:153], v[98:99], v[96:97]
	v_add_f64 v[6:7], v[6:7], v[154:155]
	v_add_f64 v[8:9], v[156:157], v[8:9]
	v_fma_f64 v[32:33], v[42:43], v[30:31], -v[26:27]
	v_fma_f64 v[30:31], v[44:45], v[30:31], v[28:29]
	v_mul_f64 v[26:27], v[40:41], v[52:53]
	v_mul_f64 v[28:29], v[38:39], v[52:53]
	v_mul_f64 v[42:43], v[40:41], v[56:57]
	v_mul_f64 v[44:45], v[38:39], v[56:57]
	v_fma_f64 v[34:35], v[62:63], v[82:83], -v[34:35]
	v_fma_f64 v[36:37], v[64:65], v[82:83], v[36:37]
	v_add_f64 v[2:3], v[2:3], v[32:33]
	v_add_f64 v[4:5], v[30:31], v[4:5]
	v_fma_f64 v[158:159], v[38:39], v[50:51], -v[26:27]
	v_fma_f64 v[160:161], v[40:41], v[50:51], v[28:29]
	v_mul_f64 v[26:27], v[48:49], v[52:53]
	v_mul_f64 v[28:29], v[46:47], v[52:53]
	v_fma_f64 v[38:39], v[38:39], v[54:55], -v[42:43]
	v_fma_f64 v[40:41], v[40:41], v[54:55], v[44:45]
	v_mul_f64 v[52:53], v[58:59], v[72:73]
	v_mul_f64 v[30:31], v[80:81], v[84:85]
	;; [unrolled: 1-line block ×4, first 2 shown]
	v_add_f64 v[14:15], v[14:15], v[158:159]
	v_add_f64 v[16:17], v[160:161], v[16:17]
	v_fma_f64 v[42:43], v[46:47], v[50:51], -v[26:27]
	v_fma_f64 v[44:45], v[48:49], v[50:51], v[28:29]
	v_mul_f64 v[26:27], v[48:49], v[56:57]
	v_mul_f64 v[28:29], v[46:47], v[56:57]
	v_mul_f64 v[50:51], v[60:61], v[72:73]
	v_fma_f64 v[52:53], v[60:61], v[70:71], v[52:53]
	v_add_f64 v[10:11], v[10:11], v[38:39]
	v_add_f64 v[12:13], v[40:41], v[12:13]
	s_waitcnt lgkmcnt(10)
	v_mul_f64 v[38:39], v[108:109], v[92:93]
	v_mul_f64 v[40:41], v[106:107], v[92:93]
	v_fma_f64 v[30:31], v[78:79], v[82:83], -v[30:31]
	v_fma_f64 v[32:33], v[80:81], v[82:83], v[32:33]
	s_waitcnt lgkmcnt(8)
	v_mul_f64 v[82:83], v[112:113], v[116:117]
	v_add_f64 v[6:7], v[6:7], v[42:43]
	v_add_f64 v[8:9], v[44:45], v[8:9]
	v_fma_f64 v[46:47], v[46:47], v[54:55], -v[26:27]
	v_fma_f64 v[48:49], v[48:49], v[54:55], v[28:29]
	v_mul_f64 v[26:27], v[60:61], v[68:69]
	v_mul_f64 v[28:29], v[58:59], v[68:69]
	v_fma_f64 v[50:51], v[58:59], v[70:71], -v[50:51]
	v_mul_f64 v[42:43], v[108:109], v[96:97]
	v_mul_f64 v[44:45], v[106:107], v[96:97]
	v_add_f64 v[12:13], v[52:53], v[12:13]
	s_waitcnt lgkmcnt(7)
	v_mul_f64 v[52:53], v[110:111], v[120:121]
	v_fma_f64 v[38:39], v[106:107], v[90:91], -v[38:39]
	v_fma_f64 v[40:41], v[108:109], v[90:91], v[40:41]
	v_add_f64 v[2:3], v[2:3], v[46:47]
	v_add_f64 v[4:5], v[48:49], v[4:5]
	v_fma_f64 v[54:55], v[58:59], v[66:67], -v[26:27]
	v_fma_f64 v[56:57], v[60:61], v[66:67], v[28:29]
	v_mul_f64 v[26:27], v[76:77], v[68:69]
	v_mul_f64 v[28:29], v[74:75], v[68:69]
	;; [unrolled: 1-line block ×3, first 2 shown]
	v_add_f64 v[10:11], v[10:11], v[50:51]
	v_mul_f64 v[46:47], v[104:105], v[116:117]
	v_mul_f64 v[48:49], v[102:103], v[116:117]
	;; [unrolled: 1-line block ×3, first 2 shown]
	v_fma_f64 v[42:43], v[106:107], v[94:95], -v[42:43]
	v_fma_f64 v[44:45], v[108:109], v[94:95], v[44:45]
	v_fma_f64 v[52:53], v[112:113], v[118:119], v[52:53]
	v_add_f64 v[14:15], v[14:15], v[54:55]
	v_add_f64 v[16:17], v[56:57], v[16:17]
	v_fma_f64 v[58:59], v[74:75], v[66:67], -v[26:27]
	v_fma_f64 v[60:61], v[76:77], v[66:67], v[28:29]
	v_mul_f64 v[66:67], v[76:77], v[72:73]
	v_mul_f64 v[72:73], v[64:65], v[88:89]
	v_fma_f64 v[68:69], v[76:77], v[70:71], v[68:69]
	v_mul_f64 v[76:77], v[100:101], v[92:93]
	v_fma_f64 v[64:65], v[64:65], v[86:87], v[150:151]
	v_mul_f64 v[92:93], v[102:103], v[120:121]
	s_waitcnt lgkmcnt(4)
	v_mul_f64 v[54:55], v[132:133], v[124:125]
	v_mul_f64 v[56:57], v[130:131], v[124:125]
	v_fma_f64 v[46:47], v[102:103], v[114:115], -v[46:47]
	v_fma_f64 v[48:49], v[104:105], v[114:115], v[48:49]
	v_fma_f64 v[50:51], v[110:111], v[118:119], -v[50:51]
	ds_read_b128 v[26:29], v22 offset:3840
	s_waitcnt lgkmcnt(0)
	s_barrier
	buffer_gl0_inv
	v_add_f64 v[14:15], v[14:15], v[34:35]
	v_add_f64 v[16:17], v[36:37], v[16:17]
	;; [unrolled: 1-line block ×4, first 2 shown]
	v_fma_f64 v[66:67], v[74:75], v[70:71], -v[66:67]
	v_mul_f64 v[70:71], v[80:81], v[88:89]
	v_mul_f64 v[74:75], v[78:79], v[88:89]
	;; [unrolled: 1-line block ×3, first 2 shown]
	v_fma_f64 v[62:63], v[62:63], v[86:87], -v[72:73]
	v_add_f64 v[4:5], v[68:69], v[4:5]
	v_mul_f64 v[72:73], v[104:105], v[120:121]
	v_mul_f64 v[96:97], v[110:111], v[116:117]
	v_fma_f64 v[68:69], v[100:101], v[90:91], v[84:85]
	v_add_f64 v[12:13], v[64:65], v[12:13]
	v_mul_f64 v[58:59], v[132:133], v[128:129]
	v_mul_f64 v[60:61], v[130:131], v[128:129]
	;; [unrolled: 1-line block ×5, first 2 shown]
	v_fma_f64 v[54:55], v[130:131], v[122:123], -v[54:55]
	v_fma_f64 v[56:57], v[132:133], v[122:123], v[56:57]
	v_add_f64 v[6:7], v[6:7], v[30:31]
	v_add_f64 v[8:9], v[32:33], v[8:9]
	;; [unrolled: 1-line block ×3, first 2 shown]
	v_fma_f64 v[70:71], v[78:79], v[86:87], -v[70:71]
	v_fma_f64 v[74:75], v[80:81], v[86:87], v[74:75]
	v_fma_f64 v[66:67], v[98:99], v[90:91], -v[76:77]
	v_fma_f64 v[76:77], v[98:99], v[94:95], -v[88:89]
	v_fma_f64 v[78:79], v[100:101], v[94:95], v[152:153]
	v_add_f64 v[10:11], v[10:11], v[62:63]
	v_mul_f64 v[30:31], v[140:141], v[124:125]
	v_mul_f64 v[32:33], v[138:139], v[124:125]
	v_fma_f64 v[80:81], v[112:113], v[114:115], v[96:97]
	v_add_f64 v[16:17], v[68:69], v[16:17]
	v_mul_f64 v[62:63], v[136:137], v[148:149]
	v_fma_f64 v[58:59], v[130:131], v[126:127], -v[58:59]
	v_fma_f64 v[60:61], v[132:133], v[126:127], v[60:61]
	v_fma_f64 v[34:35], v[138:139], v[126:127], -v[34:35]
	v_fma_f64 v[36:37], v[140:141], v[126:127], v[36:37]
	v_add_f64 v[6:7], v[6:7], v[38:39]
	v_add_f64 v[8:9], v[40:41], v[8:9]
	v_mul_f64 v[38:39], v[136:137], v[28:29]
	v_add_f64 v[2:3], v[2:3], v[70:71]
	v_add_f64 v[4:5], v[74:75], v[4:5]
	v_fma_f64 v[70:71], v[102:103], v[118:119], -v[72:73]
	v_fma_f64 v[72:73], v[104:105], v[118:119], v[92:93]
	v_fma_f64 v[74:75], v[110:111], v[114:115], -v[82:83]
	v_add_f64 v[14:15], v[14:15], v[66:67]
	v_add_f64 v[10:11], v[10:11], v[76:77]
	;; [unrolled: 1-line block ×3, first 2 shown]
	v_mul_f64 v[40:41], v[134:135], v[28:29]
	v_mul_f64 v[66:67], v[144:145], v[28:29]
	;; [unrolled: 1-line block ×3, first 2 shown]
	v_fma_f64 v[30:31], v[138:139], v[122:123], -v[30:31]
	v_fma_f64 v[32:33], v[140:141], v[122:123], v[32:33]
	v_add_f64 v[16:17], v[48:49], v[16:17]
	v_fma_f64 v[48:49], v[136:137], v[146:147], v[64:65]
	v_add_f64 v[8:9], v[80:81], v[8:9]
	v_fma_f64 v[38:39], v[134:135], v[26:27], -v[38:39]
	v_add_f64 v[2:3], v[2:3], v[42:43]
	v_add_f64 v[4:5], v[44:45], v[4:5]
	v_mul_f64 v[42:43], v[144:145], v[148:149]
	v_mul_f64 v[44:45], v[142:143], v[148:149]
	v_add_f64 v[6:7], v[6:7], v[74:75]
	v_add_f64 v[14:15], v[14:15], v[46:47]
	;; [unrolled: 1-line block ×4, first 2 shown]
	v_fma_f64 v[46:47], v[134:135], v[146:147], -v[62:63]
	v_fma_f64 v[40:41], v[136:137], v[26:27], v[40:41]
	v_add_f64 v[16:17], v[56:57], v[16:17]
	v_add_f64 v[8:9], v[32:33], v[8:9]
	v_add_f64 v[2:3], v[2:3], v[50:51]
	v_add_f64 v[4:5], v[52:53], v[4:5]
	v_fma_f64 v[42:43], v[142:143], v[146:147], -v[42:43]
	v_fma_f64 v[44:45], v[144:145], v[146:147], v[44:45]
	v_fma_f64 v[50:51], v[142:143], v[26:27], -v[66:67]
	v_fma_f64 v[26:27], v[144:145], v[26:27], v[28:29]
	v_add_f64 v[14:15], v[14:15], v[54:55]
	v_add_f64 v[10:11], v[10:11], v[58:59]
	v_add_f64 v[12:13], v[60:61], v[12:13]
	v_add_f64 v[6:7], v[6:7], v[30:31]
	v_add_f64 v[16:17], v[48:49], v[16:17]
	v_add_f64 v[2:3], v[2:3], v[34:35]
	v_add_f64 v[4:5], v[36:37], v[4:5]
	v_add_f64 v[8:9], v[44:45], v[8:9]
	v_add_f64 v[14:15], v[14:15], v[46:47]
	v_add_f64 v[10:11], v[10:11], v[38:39]
	v_add_f64 v[12:13], v[40:41], v[12:13]
	v_add_f64 v[6:7], v[6:7], v[42:43]
	v_add_f64 v[2:3], v[2:3], v[50:51]
	v_add_f64 v[4:5], v[26:27], v[4:5]
	s_cbranch_vccnz .LBB130_2
	s_branch .LBB130_4
.LBB130_3:
	v_mov_b32_e32 v14, 0
	v_mov_b32_e32 v16, 0
	;; [unrolled: 1-line block ×16, first 2 shown]
.LBB130_4:
	s_load_dwordx2 s[4:5], s[4:5], 0x90
	v_cmp_neq_f64_e64 s6, s[38:39], 0
	v_cmp_neq_f64_e64 s7, s[40:41], 0
	v_add_co_u32 v22, s2, s2, v1
	v_add_co_u32 v0, s0, s0, v0
	v_add_co_ci_u32_e64 v23, null, s3, 0, s2
	v_add_co_ci_u32_e64 v1, null, s1, 0, s0
	s_waitcnt lgkmcnt(0)
	s_mul_i32 s5, s5, s8
	s_mul_hi_u32 s9, s4, s8
	s_mul_i32 s4, s4, s8
	s_add_i32 s5, s9, s5
	s_lshl_b64 s[4:5], s[4:5], 4
	s_add_u32 s2, s48, s4
	s_addc_u32 s3, s49, s5
	s_or_b32 s4, s6, s7
	s_and_b32 vcc_lo, exec_lo, s4
	s_cbranch_vccnz .LBB130_6
; %bb.5:
	v_mul_f64 v[20:21], s[16:17], v[16:17]
	v_mul_f64 v[26:27], s[14:15], v[16:17]
	;; [unrolled: 1-line block ×4, first 2 shown]
	v_mul_lo_u32 v24, v23, s50
	v_mul_lo_u32 v25, v22, s51
	v_mad_u64_u32 v[18:19], null, v22, s50, 0
	v_mul_f64 v[28:29], s[16:17], v[12:13]
	v_mul_f64 v[30:31], s[14:15], v[12:13]
	;; [unrolled: 1-line block ×4, first 2 shown]
	s_lshl_b64 s[0:1], s[50:51], 8
	v_lshlrev_b64 v[40:41], 4, v[0:1]
	v_add3_u32 v19, v19, v25, v24
	v_lshlrev_b64 v[18:19], 4, v[18:19]
	v_fma_f64 v[24:25], s[14:15], v[14:15], -v[20:21]
	v_fma_f64 v[26:27], s[16:17], v[14:15], v[26:27]
	v_fma_f64 v[36:37], s[14:15], v[2:3], -v[36:37]
	v_add_co_u32 v42, vcc_lo, s2, v18
	v_add_co_ci_u32_e64 v43, null, s3, v19, vcc_lo
	v_fma_f64 v[18:19], s[16:17], v[2:3], v[38:39]
	v_fma_f64 v[28:29], s[14:15], v[10:11], -v[28:29]
	v_fma_f64 v[30:31], s[16:17], v[10:11], v[30:31]
	v_fma_f64 v[32:33], s[14:15], v[6:7], -v[32:33]
	v_fma_f64 v[34:35], s[16:17], v[6:7], v[34:35]
	v_add_co_u32 v20, vcc_lo, v42, s0
	v_add_co_ci_u32_e64 v21, null, s1, v43, vcc_lo
	v_add_co_u32 v38, vcc_lo, v20, v40
	v_add_co_ci_u32_e64 v39, null, v21, v41, vcc_lo
	;; [unrolled: 2-line block ×4, first 2 shown]
	global_store_dwordx4 v[40:41], v[24:27], off
	global_store_dwordx4 v[40:41], v[28:31], off offset:256
	global_store_dwordx4 v[38:39], v[32:35], off
	global_store_dwordx2 v[38:39], v[36:37], off offset:256
	s_cbranch_execz .LBB130_7
	s_branch .LBB130_8
.LBB130_6:
                                        ; implicit-def: $vgpr18_vgpr19
                                        ; implicit-def: $vgpr20_vgpr21
.LBB130_7:
	v_mul_lo_u32 v20, v23, s44
	v_mul_lo_u32 v21, v22, s45
	v_mad_u64_u32 v[18:19], null, v22, s44, 0
	s_mul_i32 s1, s47, s8
	s_mul_hi_u32 s4, s46, s8
	s_mul_i32 s0, s46, s8
	s_add_i32 s1, s4, s1
	v_lshlrev_b64 v[0:1], 4, v[0:1]
	s_lshl_b64 s[0:1], s[0:1], 4
	v_add3_u32 v19, v19, v21, v20
	s_add_u32 s0, s42, s0
	s_addc_u32 s1, s43, s1
	v_mul_f64 v[26:27], s[16:17], v[16:17]
	v_mul_f64 v[16:17], s[14:15], v[16:17]
	v_lshlrev_b64 v[18:19], 4, v[18:19]
	v_mul_lo_u32 v23, v23, s50
	v_add_co_u32 v30, vcc_lo, s0, v18
	v_add_co_ci_u32_e64 v31, null, s1, v19, vcc_lo
	s_lshl_b64 s[0:1], s[44:45], 8
	v_add_co_u32 v24, vcc_lo, v30, v0
	v_add_co_ci_u32_e64 v25, null, v31, v1, vcc_lo
	global_load_dwordx4 v[18:21], v[24:25], off
	v_fma_f64 v[26:27], s[14:15], v[14:15], -v[26:27]
	v_fma_f64 v[16:17], s[16:17], v[14:15], v[16:17]
	s_waitcnt vmcnt(0)
	v_mul_f64 v[28:29], s[40:41], v[20:21]
	v_mul_f64 v[20:21], s[38:39], v[20:21]
	v_fma_f64 v[14:15], s[38:39], v[18:19], -v[28:29]
	v_fma_f64 v[18:19], s[40:41], v[18:19], v[20:21]
	v_mul_lo_u32 v28, v22, s51
	v_mad_u64_u32 v[20:21], null, v22, s50, 0
	v_add3_u32 v21, v21, v28, v23
	v_add_f64 v[14:15], v[26:27], v[14:15]
	v_add_f64 v[16:17], v[16:17], v[18:19]
	v_lshlrev_b64 v[18:19], 4, v[20:21]
	v_mul_f64 v[20:21], s[16:17], v[12:13]
	v_mul_f64 v[12:13], s[14:15], v[12:13]
	v_add_co_u32 v26, vcc_lo, s2, v18
	v_add_co_ci_u32_e64 v27, null, s3, v19, vcc_lo
	v_add_co_u32 v18, vcc_lo, v26, v0
	v_add_co_ci_u32_e64 v19, null, v27, v1, vcc_lo
	global_store_dwordx4 v[18:19], v[14:17], off
	global_load_dwordx4 v[14:17], v[24:25], off offset:256
	v_fma_f64 v[20:21], s[14:15], v[10:11], -v[20:21]
	v_fma_f64 v[12:13], s[16:17], v[10:11], v[12:13]
	s_waitcnt vmcnt(0)
	v_mul_f64 v[22:23], s[40:41], v[16:17]
	v_mul_f64 v[16:17], s[38:39], v[16:17]
	v_fma_f64 v[10:11], s[38:39], v[14:15], -v[22:23]
	v_fma_f64 v[14:15], s[40:41], v[14:15], v[16:17]
	v_mul_f64 v[16:17], s[16:17], v[8:9]
	v_mul_f64 v[8:9], s[14:15], v[8:9]
	v_add_f64 v[10:11], v[20:21], v[10:11]
	v_add_f64 v[12:13], v[12:13], v[14:15]
	v_add_co_u32 v14, vcc_lo, v30, s0
	v_add_co_ci_u32_e64 v15, null, s1, v31, vcc_lo
	v_fma_f64 v[16:17], s[14:15], v[6:7], -v[16:17]
	v_add_co_u32 v14, vcc_lo, v14, v0
	v_add_co_ci_u32_e64 v15, null, v15, v1, vcc_lo
	v_fma_f64 v[8:9], s[16:17], v[6:7], v[8:9]
	s_lshl_b64 s[0:1], s[50:51], 8
	global_store_dwordx4 v[18:19], v[10:13], off offset:256
	global_load_dwordx4 v[10:13], v[14:15], off
	s_waitcnt vmcnt(0)
	v_mul_f64 v[18:19], s[40:41], v[12:13]
	v_mul_f64 v[12:13], s[38:39], v[12:13]
	v_fma_f64 v[6:7], s[38:39], v[10:11], -v[18:19]
	v_fma_f64 v[10:11], s[40:41], v[10:11], v[12:13]
	v_add_f64 v[6:7], v[16:17], v[6:7]
	v_add_f64 v[8:9], v[8:9], v[10:11]
	v_add_co_u32 v10, vcc_lo, v26, s0
	v_add_co_ci_u32_e64 v11, null, s1, v27, vcc_lo
	v_add_co_u32 v0, vcc_lo, v10, v0
	v_add_co_ci_u32_e64 v1, null, v11, v1, vcc_lo
	v_mul_f64 v[10:11], s[16:17], v[4:5]
	v_mul_f64 v[4:5], s[14:15], v[4:5]
	v_add_co_u32 v20, vcc_lo, 0x100, v0
	v_add_co_ci_u32_e64 v21, null, 0, v1, vcc_lo
	global_store_dwordx4 v[0:1], v[6:9], off
	global_load_dwordx4 v[6:9], v[14:15], off offset:256
	v_fma_f64 v[10:11], s[14:15], v[2:3], -v[10:11]
	v_fma_f64 v[2:3], s[16:17], v[2:3], v[4:5]
	s_waitcnt vmcnt(0)
	v_mul_f64 v[12:13], s[40:41], v[8:9]
	v_mul_f64 v[8:9], s[38:39], v[8:9]
	v_fma_f64 v[4:5], s[38:39], v[6:7], -v[12:13]
	v_fma_f64 v[6:7], s[40:41], v[6:7], v[8:9]
	v_add_f64 v[4:5], v[10:11], v[4:5]
	v_add_f64 v[18:19], v[2:3], v[6:7]
	global_store_dwordx2 v[0:1], v[4:5], off offset:256
.LBB130_8:
	global_store_dwordx2 v[20:21], v[18:19], off offset:8
	s_endpgm
	.section	.rodata,"a",@progbits
	.p2align	6, 0x0
	.amdhsa_kernel _ZN12_GLOBAL__N_127rocblas_gemm_batched_kernelI19rocblas_complex_numIdELi16ELi16ELi32ELi32ELi8ELi32ELi8ELi8ELi32ELc84ELc84EKS2_S3_S2_EEvlllT_PT11_llS6_llS4_PT12_llPT13_lli
		.amdhsa_group_segment_fixed_size 8192
		.amdhsa_private_segment_fixed_size 0
		.amdhsa_kernarg_size 156
		.amdhsa_user_sgpr_count 6
		.amdhsa_user_sgpr_private_segment_buffer 1
		.amdhsa_user_sgpr_dispatch_ptr 0
		.amdhsa_user_sgpr_queue_ptr 0
		.amdhsa_user_sgpr_kernarg_segment_ptr 1
		.amdhsa_user_sgpr_dispatch_id 0
		.amdhsa_user_sgpr_flat_scratch_init 0
		.amdhsa_user_sgpr_private_segment_size 0
		.amdhsa_wavefront_size32 1
		.amdhsa_uses_dynamic_stack 0
		.amdhsa_system_sgpr_private_segment_wavefront_offset 0
		.amdhsa_system_sgpr_workgroup_id_x 1
		.amdhsa_system_sgpr_workgroup_id_y 1
		.amdhsa_system_sgpr_workgroup_id_z 1
		.amdhsa_system_sgpr_workgroup_info 0
		.amdhsa_system_vgpr_workitem_id 1
		.amdhsa_next_free_vgpr 162
		.amdhsa_next_free_sgpr 52
		.amdhsa_reserve_vcc 1
		.amdhsa_reserve_flat_scratch 0
		.amdhsa_float_round_mode_32 0
		.amdhsa_float_round_mode_16_64 0
		.amdhsa_float_denorm_mode_32 3
		.amdhsa_float_denorm_mode_16_64 3
		.amdhsa_dx10_clamp 1
		.amdhsa_ieee_mode 1
		.amdhsa_fp16_overflow 0
		.amdhsa_workgroup_processor_mode 1
		.amdhsa_memory_ordered 1
		.amdhsa_forward_progress 1
		.amdhsa_shared_vgpr_count 0
		.amdhsa_exception_fp_ieee_invalid_op 0
		.amdhsa_exception_fp_denorm_src 0
		.amdhsa_exception_fp_ieee_div_zero 0
		.amdhsa_exception_fp_ieee_overflow 0
		.amdhsa_exception_fp_ieee_underflow 0
		.amdhsa_exception_fp_ieee_inexact 0
		.amdhsa_exception_int_div_zero 0
	.end_amdhsa_kernel
	.section	.text._ZN12_GLOBAL__N_127rocblas_gemm_batched_kernelI19rocblas_complex_numIdELi16ELi16ELi32ELi32ELi8ELi32ELi8ELi8ELi32ELc84ELc84EKS2_S3_S2_EEvlllT_PT11_llS6_llS4_PT12_llPT13_lli,"axG",@progbits,_ZN12_GLOBAL__N_127rocblas_gemm_batched_kernelI19rocblas_complex_numIdELi16ELi16ELi32ELi32ELi8ELi32ELi8ELi8ELi32ELc84ELc84EKS2_S3_S2_EEvlllT_PT11_llS6_llS4_PT12_llPT13_lli,comdat
.Lfunc_end130:
	.size	_ZN12_GLOBAL__N_127rocblas_gemm_batched_kernelI19rocblas_complex_numIdELi16ELi16ELi32ELi32ELi8ELi32ELi8ELi8ELi32ELc84ELc84EKS2_S3_S2_EEvlllT_PT11_llS6_llS4_PT12_llPT13_lli, .Lfunc_end130-_ZN12_GLOBAL__N_127rocblas_gemm_batched_kernelI19rocblas_complex_numIdELi16ELi16ELi32ELi32ELi8ELi32ELi8ELi8ELi32ELc84ELc84EKS2_S3_S2_EEvlllT_PT11_llS6_llS4_PT12_llPT13_lli
                                        ; -- End function
	.set _ZN12_GLOBAL__N_127rocblas_gemm_batched_kernelI19rocblas_complex_numIdELi16ELi16ELi32ELi32ELi8ELi32ELi8ELi8ELi32ELc84ELc84EKS2_S3_S2_EEvlllT_PT11_llS6_llS4_PT12_llPT13_lli.num_vgpr, 162
	.set _ZN12_GLOBAL__N_127rocblas_gemm_batched_kernelI19rocblas_complex_numIdELi16ELi16ELi32ELi32ELi8ELi32ELi8ELi8ELi32ELc84ELc84EKS2_S3_S2_EEvlllT_PT11_llS6_llS4_PT12_llPT13_lli.num_agpr, 0
	.set _ZN12_GLOBAL__N_127rocblas_gemm_batched_kernelI19rocblas_complex_numIdELi16ELi16ELi32ELi32ELi8ELi32ELi8ELi8ELi32ELc84ELc84EKS2_S3_S2_EEvlllT_PT11_llS6_llS4_PT12_llPT13_lli.numbered_sgpr, 52
	.set _ZN12_GLOBAL__N_127rocblas_gemm_batched_kernelI19rocblas_complex_numIdELi16ELi16ELi32ELi32ELi8ELi32ELi8ELi8ELi32ELc84ELc84EKS2_S3_S2_EEvlllT_PT11_llS6_llS4_PT12_llPT13_lli.num_named_barrier, 0
	.set _ZN12_GLOBAL__N_127rocblas_gemm_batched_kernelI19rocblas_complex_numIdELi16ELi16ELi32ELi32ELi8ELi32ELi8ELi8ELi32ELc84ELc84EKS2_S3_S2_EEvlllT_PT11_llS6_llS4_PT12_llPT13_lli.private_seg_size, 0
	.set _ZN12_GLOBAL__N_127rocblas_gemm_batched_kernelI19rocblas_complex_numIdELi16ELi16ELi32ELi32ELi8ELi32ELi8ELi8ELi32ELc84ELc84EKS2_S3_S2_EEvlllT_PT11_llS6_llS4_PT12_llPT13_lli.uses_vcc, 1
	.set _ZN12_GLOBAL__N_127rocblas_gemm_batched_kernelI19rocblas_complex_numIdELi16ELi16ELi32ELi32ELi8ELi32ELi8ELi8ELi32ELc84ELc84EKS2_S3_S2_EEvlllT_PT11_llS6_llS4_PT12_llPT13_lli.uses_flat_scratch, 0
	.set _ZN12_GLOBAL__N_127rocblas_gemm_batched_kernelI19rocblas_complex_numIdELi16ELi16ELi32ELi32ELi8ELi32ELi8ELi8ELi32ELc84ELc84EKS2_S3_S2_EEvlllT_PT11_llS6_llS4_PT12_llPT13_lli.has_dyn_sized_stack, 0
	.set _ZN12_GLOBAL__N_127rocblas_gemm_batched_kernelI19rocblas_complex_numIdELi16ELi16ELi32ELi32ELi8ELi32ELi8ELi8ELi32ELc84ELc84EKS2_S3_S2_EEvlllT_PT11_llS6_llS4_PT12_llPT13_lli.has_recursion, 0
	.set _ZN12_GLOBAL__N_127rocblas_gemm_batched_kernelI19rocblas_complex_numIdELi16ELi16ELi32ELi32ELi8ELi32ELi8ELi8ELi32ELc84ELc84EKS2_S3_S2_EEvlllT_PT11_llS6_llS4_PT12_llPT13_lli.has_indirect_call, 0
	.section	.AMDGPU.csdata,"",@progbits
; Kernel info:
; codeLenInByte = 3536
; TotalNumSgprs: 54
; NumVgprs: 162
; ScratchSize: 0
; MemoryBound: 0
; FloatMode: 240
; IeeeMode: 1
; LDSByteSize: 8192 bytes/workgroup (compile time only)
; SGPRBlocks: 0
; VGPRBlocks: 20
; NumSGPRsForWavesPerEU: 54
; NumVGPRsForWavesPerEU: 162
; Occupancy: 5
; WaveLimiterHint : 1
; COMPUTE_PGM_RSRC2:SCRATCH_EN: 0
; COMPUTE_PGM_RSRC2:USER_SGPR: 6
; COMPUTE_PGM_RSRC2:TRAP_HANDLER: 0
; COMPUTE_PGM_RSRC2:TGID_X_EN: 1
; COMPUTE_PGM_RSRC2:TGID_Y_EN: 1
; COMPUTE_PGM_RSRC2:TGID_Z_EN: 1
; COMPUTE_PGM_RSRC2:TIDIG_COMP_CNT: 1
	.section	.text._ZN12_GLOBAL__N_127rocblas_gemm_batched_kernelI19rocblas_complex_numIdELi16ELi16ELi32ELi32ELi8ELi32ELi8ELi8ELi32ELc67ELc67EKS2_S3_S2_EEvlllT_PT11_llS6_llS4_PT12_llPT13_lli,"axG",@progbits,_ZN12_GLOBAL__N_127rocblas_gemm_batched_kernelI19rocblas_complex_numIdELi16ELi16ELi32ELi32ELi8ELi32ELi8ELi8ELi32ELc67ELc67EKS2_S3_S2_EEvlllT_PT11_llS6_llS4_PT12_llPT13_lli,comdat
	.globl	_ZN12_GLOBAL__N_127rocblas_gemm_batched_kernelI19rocblas_complex_numIdELi16ELi16ELi32ELi32ELi8ELi32ELi8ELi8ELi32ELc67ELc67EKS2_S3_S2_EEvlllT_PT11_llS6_llS4_PT12_llPT13_lli ; -- Begin function _ZN12_GLOBAL__N_127rocblas_gemm_batched_kernelI19rocblas_complex_numIdELi16ELi16ELi32ELi32ELi8ELi32ELi8ELi8ELi32ELc67ELc67EKS2_S3_S2_EEvlllT_PT11_llS6_llS4_PT12_llPT13_lli
	.p2align	8
	.type	_ZN12_GLOBAL__N_127rocblas_gemm_batched_kernelI19rocblas_complex_numIdELi16ELi16ELi32ELi32ELi8ELi32ELi8ELi8ELi32ELc67ELc67EKS2_S3_S2_EEvlllT_PT11_llS6_llS4_PT12_llPT13_lli,@function
_ZN12_GLOBAL__N_127rocblas_gemm_batched_kernelI19rocblas_complex_numIdELi16ELi16ELi32ELi32ELi8ELi32ELi8ELi8ELi32ELc67ELc67EKS2_S3_S2_EEvlllT_PT11_llS6_llS4_PT12_llPT13_lli: ; @_ZN12_GLOBAL__N_127rocblas_gemm_batched_kernelI19rocblas_complex_numIdELi16ELi16ELi32ELi32ELi8ELi32ELi8ELi8ELi32ELc67ELc67EKS2_S3_S2_EEvlllT_PT11_llS6_llS4_PT12_llPT13_lli
; %bb.0:
	s_clause 0x1
	s_load_dwordx16 s[12:27], s[4:5], 0x10
	s_load_dwordx16 s[36:51], s[4:5], 0x50
	s_mov_b32 s2, s7
	s_ashr_i32 s7, s6, 31
	s_ashr_i32 s3, s2, 31
	s_lshl_b64 s[0:1], s[6:7], 5
	s_lshl_b64 s[2:3], s[2:3], 5
	s_waitcnt lgkmcnt(0)
	v_cmp_lt_i64_e64 s9, s[12:13], 1
	s_and_b32 vcc_lo, exec_lo, s9
	s_cbranch_vccnz .LBB131_3
; %bb.1:
	v_lshl_add_u32 v6, v1, 4, v0
	v_and_b32_e32 v7, 7, v0
	s_mul_i32 s7, s23, s8
	s_mul_hi_u32 s9, s22, s8
	v_mov_b32_e32 v16, 0
	v_lshrrev_b32_e32 v8, 3, v6
	v_and_b32_e32 v9, 31, v6
	v_lshrrev_b32_e32 v12, 5, v6
	v_lshlrev_b32_e32 v13, 4, v7
	s_add_i32 s7, s9, s7
	v_add_co_u32 v2, s6, v8, s2
	v_add_co_ci_u32_e64 v3, null, 0, s3, s6
	v_add_co_u32 v4, s6, s0, v9
	v_add_co_ci_u32_e64 v5, null, s1, 0, s6
	v_mad_u64_u32 v[2:3], null, s26, v7, v[2:3]
	v_mul_lo_u32 v10, s21, v4
	v_mul_lo_u32 v11, s20, v5
	v_mad_u64_u32 v[4:5], null, s20, v4, 0
	s_mul_i32 s6, s22, s8
	v_mov_b32_e32 v14, 0
	s_lshl_b64 s[6:7], s[6:7], 4
	v_lshlrev_b32_e32 v22, 4, v0
	v_lshl_add_u32 v23, v1, 7, 0x1000
	v_mov_b32_e32 v17, 0
	v_add3_u32 v5, v5, v11, v10
	v_mad_u64_u32 v[6:7], null, s27, v7, v[3:4]
	v_lshlrev_b32_e32 v3, 4, v9
	v_lshl_or_b32 v7, v8, 7, v13
	v_lshlrev_b64 v[4:5], 4, v[4:5]
	v_mov_b32_e32 v8, 0
	v_mov_b32_e32 v10, 0
	v_lshl_or_b32 v24, v12, 9, v3
	v_mov_b32_e32 v3, v6
	v_lshlrev_b32_e32 v6, 4, v12
	v_add_co_u32 v4, vcc_lo, v4, s6
	v_add_co_ci_u32_e64 v5, null, s7, v5, vcc_lo
	s_mul_i32 s6, s37, s8
	v_add_co_u32 v4, vcc_lo, v4, v6
	v_add_co_ci_u32_e64 v5, null, 0, v5, vcc_lo
	s_mul_hi_u32 s7, s36, s8
	v_add_co_u32 v4, vcc_lo, s18, v4
	s_add_i32 s7, s7, s6
	s_mul_i32 s6, s36, s8
	v_lshlrev_b64 v[2:3], 4, v[2:3]
	v_add_co_ci_u32_e64 v5, null, s19, v5, vcc_lo
	s_lshl_b64 s[6:7], s[6:7], 4
	v_add_co_u32 v18, vcc_lo, v4, 8
	s_add_u32 s6, s24, s6
	v_add_co_ci_u32_e64 v19, null, 0, v5, vcc_lo
	s_addc_u32 s7, s25, s7
	v_add_co_u32 v20, vcc_lo, s6, v2
	v_add_co_ci_u32_e64 v21, null, s7, v3, vcc_lo
	v_add_nc_u32_e32 v25, 0x1000, v7
	v_add_co_u32 v20, vcc_lo, v20, 8
	v_mov_b32_e32 v4, 0
	v_mov_b32_e32 v2, 0
	;; [unrolled: 1-line block ×11, first 2 shown]
	v_add_co_ci_u32_e64 v21, null, 0, v21, vcc_lo
	s_lshl_b64 s[6:7], s[26:27], 7
	s_mov_b64 s[10:11], 0
.LBB131_2:                              ; =>This Inner Loop Header: Depth=1
	global_load_dwordx4 v[26:29], v[18:19], off offset:-8
	global_load_dwordx4 v[30:33], v[20:21], off offset:-8
	s_add_u32 s10, s10, 8
	s_addc_u32 s11, s11, 0
	v_add_co_u32 v18, vcc_lo, 0x80, v18
	v_cmp_lt_i64_e64 s9, s[10:11], s[12:13]
	v_add_co_ci_u32_e64 v19, null, 0, v19, vcc_lo
	v_add_co_u32 v20, vcc_lo, v20, s6
	v_add_co_ci_u32_e64 v21, null, s7, v21, vcc_lo
	s_and_b32 vcc_lo, exec_lo, s9
	s_waitcnt vmcnt(1)
	v_xor_b32_e32 v29, 0x80000000, v29
	s_waitcnt vmcnt(0)
	v_xor_b32_e32 v33, 0x80000000, v33
	ds_write_b128 v24, v[26:29]
	ds_write_b128 v25, v[30:33]
	s_waitcnt lgkmcnt(0)
	s_barrier
	buffer_gl0_inv
	ds_read_b128 v[26:29], v22
	ds_read_b128 v[30:33], v22 offset:256
	ds_read_b128 v[34:37], v23
	ds_read_b128 v[38:41], v23 offset:16
	ds_read_b128 v[42:45], v23 offset:2048
	;; [unrolled: 1-line block ×28, first 2 shown]
	s_waitcnt lgkmcnt(28)
	v_mul_f64 v[150:151], v[36:37], v[28:29]
	v_mul_f64 v[154:155], v[36:37], v[32:33]
	;; [unrolled: 1-line block ×4, first 2 shown]
	v_fma_f64 v[150:151], v[34:35], v[26:27], -v[150:151]
	v_fma_f64 v[34:35], v[34:35], v[30:31], -v[154:155]
	s_waitcnt lgkmcnt(26)
	v_mul_f64 v[154:155], v[44:45], v[28:29]
	v_mul_f64 v[28:29], v[42:43], v[28:29]
	v_fma_f64 v[152:153], v[36:37], v[26:27], v[152:153]
	v_fma_f64 v[36:37], v[36:37], v[30:31], v[156:157]
	v_add_f64 v[14:15], v[14:15], v[150:151]
	v_add_f64 v[10:11], v[10:11], v[34:35]
	v_fma_f64 v[154:155], v[42:43], v[26:27], -v[154:155]
	v_fma_f64 v[156:157], v[44:45], v[26:27], v[28:29]
	v_mul_f64 v[26:27], v[44:45], v[32:33]
	v_mul_f64 v[28:29], v[42:43], v[32:33]
	v_add_f64 v[16:17], v[152:153], v[16:17]
	v_add_f64 v[12:13], v[36:37], v[12:13]
	s_waitcnt lgkmcnt(16)
	v_mul_f64 v[34:35], v[64:65], v[84:85]
	v_mul_f64 v[36:37], v[62:63], v[84:85]
	s_waitcnt lgkmcnt(15)
	v_mul_f64 v[150:151], v[62:63], v[88:89]
	s_waitcnt lgkmcnt(12)
	v_mul_f64 v[152:153], v[98:99], v[96:97]
	v_add_f64 v[6:7], v[6:7], v[154:155]
	v_add_f64 v[8:9], v[156:157], v[8:9]
	v_fma_f64 v[32:33], v[42:43], v[30:31], -v[26:27]
	v_fma_f64 v[30:31], v[44:45], v[30:31], v[28:29]
	v_mul_f64 v[26:27], v[40:41], v[52:53]
	v_mul_f64 v[28:29], v[38:39], v[52:53]
	;; [unrolled: 1-line block ×4, first 2 shown]
	v_fma_f64 v[34:35], v[62:63], v[82:83], -v[34:35]
	v_fma_f64 v[36:37], v[64:65], v[82:83], v[36:37]
	v_add_f64 v[2:3], v[2:3], v[32:33]
	v_add_f64 v[4:5], v[30:31], v[4:5]
	v_fma_f64 v[158:159], v[38:39], v[50:51], -v[26:27]
	v_fma_f64 v[160:161], v[40:41], v[50:51], v[28:29]
	v_mul_f64 v[26:27], v[48:49], v[52:53]
	v_mul_f64 v[28:29], v[46:47], v[52:53]
	v_fma_f64 v[38:39], v[38:39], v[54:55], -v[42:43]
	v_fma_f64 v[40:41], v[40:41], v[54:55], v[44:45]
	v_mul_f64 v[52:53], v[58:59], v[72:73]
	v_mul_f64 v[30:31], v[80:81], v[84:85]
	;; [unrolled: 1-line block ×4, first 2 shown]
	v_add_f64 v[14:15], v[14:15], v[158:159]
	v_add_f64 v[16:17], v[160:161], v[16:17]
	v_fma_f64 v[42:43], v[46:47], v[50:51], -v[26:27]
	v_fma_f64 v[44:45], v[48:49], v[50:51], v[28:29]
	v_mul_f64 v[26:27], v[48:49], v[56:57]
	v_mul_f64 v[28:29], v[46:47], v[56:57]
	;; [unrolled: 1-line block ×3, first 2 shown]
	v_fma_f64 v[52:53], v[60:61], v[70:71], v[52:53]
	v_add_f64 v[10:11], v[10:11], v[38:39]
	v_add_f64 v[12:13], v[40:41], v[12:13]
	s_waitcnt lgkmcnt(10)
	v_mul_f64 v[38:39], v[108:109], v[92:93]
	v_mul_f64 v[40:41], v[106:107], v[92:93]
	v_fma_f64 v[30:31], v[78:79], v[82:83], -v[30:31]
	v_fma_f64 v[32:33], v[80:81], v[82:83], v[32:33]
	s_waitcnt lgkmcnt(8)
	v_mul_f64 v[82:83], v[112:113], v[116:117]
	v_add_f64 v[6:7], v[6:7], v[42:43]
	v_add_f64 v[8:9], v[44:45], v[8:9]
	v_fma_f64 v[46:47], v[46:47], v[54:55], -v[26:27]
	v_fma_f64 v[48:49], v[48:49], v[54:55], v[28:29]
	v_mul_f64 v[26:27], v[60:61], v[68:69]
	v_mul_f64 v[28:29], v[58:59], v[68:69]
	v_fma_f64 v[50:51], v[58:59], v[70:71], -v[50:51]
	v_mul_f64 v[42:43], v[108:109], v[96:97]
	v_mul_f64 v[44:45], v[106:107], v[96:97]
	v_add_f64 v[12:13], v[52:53], v[12:13]
	s_waitcnt lgkmcnt(7)
	v_mul_f64 v[52:53], v[110:111], v[120:121]
	v_fma_f64 v[38:39], v[106:107], v[90:91], -v[38:39]
	v_fma_f64 v[40:41], v[108:109], v[90:91], v[40:41]
	v_add_f64 v[2:3], v[2:3], v[46:47]
	v_add_f64 v[4:5], v[48:49], v[4:5]
	v_fma_f64 v[54:55], v[58:59], v[66:67], -v[26:27]
	v_fma_f64 v[56:57], v[60:61], v[66:67], v[28:29]
	v_mul_f64 v[26:27], v[76:77], v[68:69]
	v_mul_f64 v[28:29], v[74:75], v[68:69]
	;; [unrolled: 1-line block ×3, first 2 shown]
	v_add_f64 v[10:11], v[10:11], v[50:51]
	v_mul_f64 v[46:47], v[104:105], v[116:117]
	v_mul_f64 v[48:49], v[102:103], v[116:117]
	;; [unrolled: 1-line block ×3, first 2 shown]
	v_fma_f64 v[42:43], v[106:107], v[94:95], -v[42:43]
	v_fma_f64 v[44:45], v[108:109], v[94:95], v[44:45]
	v_fma_f64 v[52:53], v[112:113], v[118:119], v[52:53]
	v_add_f64 v[14:15], v[14:15], v[54:55]
	v_add_f64 v[16:17], v[56:57], v[16:17]
	v_fma_f64 v[58:59], v[74:75], v[66:67], -v[26:27]
	v_fma_f64 v[60:61], v[76:77], v[66:67], v[28:29]
	v_mul_f64 v[66:67], v[76:77], v[72:73]
	v_mul_f64 v[72:73], v[64:65], v[88:89]
	v_fma_f64 v[68:69], v[76:77], v[70:71], v[68:69]
	v_mul_f64 v[76:77], v[100:101], v[92:93]
	v_fma_f64 v[64:65], v[64:65], v[86:87], v[150:151]
	v_mul_f64 v[92:93], v[102:103], v[120:121]
	s_waitcnt lgkmcnt(4)
	v_mul_f64 v[54:55], v[132:133], v[124:125]
	v_mul_f64 v[56:57], v[130:131], v[124:125]
	v_fma_f64 v[46:47], v[102:103], v[114:115], -v[46:47]
	v_fma_f64 v[48:49], v[104:105], v[114:115], v[48:49]
	v_fma_f64 v[50:51], v[110:111], v[118:119], -v[50:51]
	ds_read_b128 v[26:29], v22 offset:3840
	s_waitcnt lgkmcnt(0)
	s_barrier
	buffer_gl0_inv
	v_add_f64 v[14:15], v[14:15], v[34:35]
	v_add_f64 v[16:17], v[36:37], v[16:17]
	;; [unrolled: 1-line block ×4, first 2 shown]
	v_fma_f64 v[66:67], v[74:75], v[70:71], -v[66:67]
	v_mul_f64 v[70:71], v[80:81], v[88:89]
	v_mul_f64 v[74:75], v[78:79], v[88:89]
	;; [unrolled: 1-line block ×3, first 2 shown]
	v_fma_f64 v[62:63], v[62:63], v[86:87], -v[72:73]
	v_add_f64 v[4:5], v[68:69], v[4:5]
	v_mul_f64 v[72:73], v[104:105], v[120:121]
	v_mul_f64 v[96:97], v[110:111], v[116:117]
	v_fma_f64 v[68:69], v[100:101], v[90:91], v[84:85]
	v_add_f64 v[12:13], v[64:65], v[12:13]
	v_mul_f64 v[58:59], v[132:133], v[128:129]
	v_mul_f64 v[60:61], v[130:131], v[128:129]
	;; [unrolled: 1-line block ×5, first 2 shown]
	v_fma_f64 v[54:55], v[130:131], v[122:123], -v[54:55]
	v_fma_f64 v[56:57], v[132:133], v[122:123], v[56:57]
	v_add_f64 v[6:7], v[6:7], v[30:31]
	v_add_f64 v[8:9], v[32:33], v[8:9]
	;; [unrolled: 1-line block ×3, first 2 shown]
	v_fma_f64 v[70:71], v[78:79], v[86:87], -v[70:71]
	v_fma_f64 v[74:75], v[80:81], v[86:87], v[74:75]
	v_fma_f64 v[66:67], v[98:99], v[90:91], -v[76:77]
	v_fma_f64 v[76:77], v[98:99], v[94:95], -v[88:89]
	v_fma_f64 v[78:79], v[100:101], v[94:95], v[152:153]
	v_add_f64 v[10:11], v[10:11], v[62:63]
	v_mul_f64 v[30:31], v[140:141], v[124:125]
	v_mul_f64 v[32:33], v[138:139], v[124:125]
	v_fma_f64 v[80:81], v[112:113], v[114:115], v[96:97]
	v_add_f64 v[16:17], v[68:69], v[16:17]
	v_mul_f64 v[62:63], v[136:137], v[148:149]
	v_fma_f64 v[58:59], v[130:131], v[126:127], -v[58:59]
	v_fma_f64 v[60:61], v[132:133], v[126:127], v[60:61]
	v_fma_f64 v[34:35], v[138:139], v[126:127], -v[34:35]
	v_fma_f64 v[36:37], v[140:141], v[126:127], v[36:37]
	v_add_f64 v[6:7], v[6:7], v[38:39]
	v_add_f64 v[8:9], v[40:41], v[8:9]
	v_mul_f64 v[38:39], v[136:137], v[28:29]
	v_add_f64 v[2:3], v[2:3], v[70:71]
	v_add_f64 v[4:5], v[74:75], v[4:5]
	v_fma_f64 v[70:71], v[102:103], v[118:119], -v[72:73]
	v_fma_f64 v[72:73], v[104:105], v[118:119], v[92:93]
	v_fma_f64 v[74:75], v[110:111], v[114:115], -v[82:83]
	v_add_f64 v[14:15], v[14:15], v[66:67]
	v_add_f64 v[10:11], v[10:11], v[76:77]
	;; [unrolled: 1-line block ×3, first 2 shown]
	v_mul_f64 v[40:41], v[134:135], v[28:29]
	v_mul_f64 v[66:67], v[144:145], v[28:29]
	;; [unrolled: 1-line block ×3, first 2 shown]
	v_fma_f64 v[30:31], v[138:139], v[122:123], -v[30:31]
	v_fma_f64 v[32:33], v[140:141], v[122:123], v[32:33]
	v_add_f64 v[16:17], v[48:49], v[16:17]
	v_fma_f64 v[48:49], v[136:137], v[146:147], v[64:65]
	v_add_f64 v[8:9], v[80:81], v[8:9]
	v_fma_f64 v[38:39], v[134:135], v[26:27], -v[38:39]
	v_add_f64 v[2:3], v[2:3], v[42:43]
	v_add_f64 v[4:5], v[44:45], v[4:5]
	v_mul_f64 v[42:43], v[144:145], v[148:149]
	v_mul_f64 v[44:45], v[142:143], v[148:149]
	v_add_f64 v[6:7], v[6:7], v[74:75]
	v_add_f64 v[14:15], v[14:15], v[46:47]
	;; [unrolled: 1-line block ×4, first 2 shown]
	v_fma_f64 v[46:47], v[134:135], v[146:147], -v[62:63]
	v_fma_f64 v[40:41], v[136:137], v[26:27], v[40:41]
	v_add_f64 v[16:17], v[56:57], v[16:17]
	v_add_f64 v[8:9], v[32:33], v[8:9]
	;; [unrolled: 1-line block ×4, first 2 shown]
	v_fma_f64 v[42:43], v[142:143], v[146:147], -v[42:43]
	v_fma_f64 v[44:45], v[144:145], v[146:147], v[44:45]
	v_fma_f64 v[50:51], v[142:143], v[26:27], -v[66:67]
	v_fma_f64 v[26:27], v[144:145], v[26:27], v[28:29]
	v_add_f64 v[14:15], v[14:15], v[54:55]
	v_add_f64 v[10:11], v[10:11], v[58:59]
	;; [unrolled: 1-line block ×14, first 2 shown]
	s_cbranch_vccnz .LBB131_2
	s_branch .LBB131_4
.LBB131_3:
	v_mov_b32_e32 v14, 0
	v_mov_b32_e32 v16, 0
	v_mov_b32_e32 v10, 0
	v_mov_b32_e32 v12, 0
	v_mov_b32_e32 v6, 0
	v_mov_b32_e32 v8, 0
	v_mov_b32_e32 v2, 0
	v_mov_b32_e32 v4, 0
	v_mov_b32_e32 v15, 0
	v_mov_b32_e32 v17, 0
	v_mov_b32_e32 v11, 0
	v_mov_b32_e32 v13, 0
	v_mov_b32_e32 v7, 0
	v_mov_b32_e32 v9, 0
	v_mov_b32_e32 v3, 0
	v_mov_b32_e32 v5, 0
.LBB131_4:
	s_load_dwordx2 s[4:5], s[4:5], 0x90
	v_cmp_neq_f64_e64 s6, s[38:39], 0
	v_cmp_neq_f64_e64 s7, s[40:41], 0
	v_add_co_u32 v22, s2, s2, v1
	v_add_co_u32 v0, s0, s0, v0
	v_add_co_ci_u32_e64 v23, null, s3, 0, s2
	v_add_co_ci_u32_e64 v1, null, s1, 0, s0
	s_waitcnt lgkmcnt(0)
	s_mul_i32 s5, s5, s8
	s_mul_hi_u32 s9, s4, s8
	s_mul_i32 s4, s4, s8
	s_add_i32 s5, s9, s5
	s_lshl_b64 s[4:5], s[4:5], 4
	s_add_u32 s2, s48, s4
	s_addc_u32 s3, s49, s5
	s_or_b32 s4, s6, s7
	s_and_b32 vcc_lo, exec_lo, s4
	s_cbranch_vccnz .LBB131_6
; %bb.5:
	v_mul_f64 v[20:21], s[16:17], v[16:17]
	v_mul_f64 v[26:27], s[14:15], v[16:17]
	;; [unrolled: 1-line block ×4, first 2 shown]
	v_mul_lo_u32 v24, v23, s50
	v_mul_lo_u32 v25, v22, s51
	v_mad_u64_u32 v[18:19], null, v22, s50, 0
	v_mul_f64 v[28:29], s[16:17], v[12:13]
	v_mul_f64 v[30:31], s[14:15], v[12:13]
	;; [unrolled: 1-line block ×4, first 2 shown]
	s_lshl_b64 s[0:1], s[50:51], 8
	v_lshlrev_b64 v[40:41], 4, v[0:1]
	v_add3_u32 v19, v19, v25, v24
	v_lshlrev_b64 v[18:19], 4, v[18:19]
	v_fma_f64 v[24:25], s[14:15], v[14:15], -v[20:21]
	v_fma_f64 v[26:27], s[16:17], v[14:15], v[26:27]
	v_fma_f64 v[36:37], s[14:15], v[2:3], -v[36:37]
	v_add_co_u32 v42, vcc_lo, s2, v18
	v_add_co_ci_u32_e64 v43, null, s3, v19, vcc_lo
	v_fma_f64 v[18:19], s[16:17], v[2:3], v[38:39]
	v_fma_f64 v[28:29], s[14:15], v[10:11], -v[28:29]
	v_fma_f64 v[30:31], s[16:17], v[10:11], v[30:31]
	v_fma_f64 v[32:33], s[14:15], v[6:7], -v[32:33]
	v_fma_f64 v[34:35], s[16:17], v[6:7], v[34:35]
	v_add_co_u32 v20, vcc_lo, v42, s0
	v_add_co_ci_u32_e64 v21, null, s1, v43, vcc_lo
	v_add_co_u32 v38, vcc_lo, v20, v40
	v_add_co_ci_u32_e64 v39, null, v21, v41, vcc_lo
	;; [unrolled: 2-line block ×4, first 2 shown]
	global_store_dwordx4 v[40:41], v[24:27], off
	global_store_dwordx4 v[40:41], v[28:31], off offset:256
	global_store_dwordx4 v[38:39], v[32:35], off
	global_store_dwordx2 v[38:39], v[36:37], off offset:256
	s_cbranch_execz .LBB131_7
	s_branch .LBB131_8
.LBB131_6:
                                        ; implicit-def: $vgpr18_vgpr19
                                        ; implicit-def: $vgpr20_vgpr21
.LBB131_7:
	v_mul_lo_u32 v20, v23, s44
	v_mul_lo_u32 v21, v22, s45
	v_mad_u64_u32 v[18:19], null, v22, s44, 0
	s_mul_i32 s1, s47, s8
	s_mul_hi_u32 s4, s46, s8
	s_mul_i32 s0, s46, s8
	s_add_i32 s1, s4, s1
	v_lshlrev_b64 v[0:1], 4, v[0:1]
	s_lshl_b64 s[0:1], s[0:1], 4
	v_add3_u32 v19, v19, v21, v20
	s_add_u32 s0, s42, s0
	s_addc_u32 s1, s43, s1
	v_mul_f64 v[26:27], s[16:17], v[16:17]
	v_mul_f64 v[16:17], s[14:15], v[16:17]
	v_lshlrev_b64 v[18:19], 4, v[18:19]
	v_mul_lo_u32 v23, v23, s50
	v_add_co_u32 v30, vcc_lo, s0, v18
	v_add_co_ci_u32_e64 v31, null, s1, v19, vcc_lo
	s_lshl_b64 s[0:1], s[44:45], 8
	v_add_co_u32 v24, vcc_lo, v30, v0
	v_add_co_ci_u32_e64 v25, null, v31, v1, vcc_lo
	global_load_dwordx4 v[18:21], v[24:25], off
	v_fma_f64 v[26:27], s[14:15], v[14:15], -v[26:27]
	v_fma_f64 v[16:17], s[16:17], v[14:15], v[16:17]
	s_waitcnt vmcnt(0)
	v_mul_f64 v[28:29], s[40:41], v[20:21]
	v_mul_f64 v[20:21], s[38:39], v[20:21]
	v_fma_f64 v[14:15], s[38:39], v[18:19], -v[28:29]
	v_fma_f64 v[18:19], s[40:41], v[18:19], v[20:21]
	v_mul_lo_u32 v28, v22, s51
	v_mad_u64_u32 v[20:21], null, v22, s50, 0
	v_add3_u32 v21, v21, v28, v23
	v_add_f64 v[14:15], v[26:27], v[14:15]
	v_add_f64 v[16:17], v[16:17], v[18:19]
	v_lshlrev_b64 v[18:19], 4, v[20:21]
	v_mul_f64 v[20:21], s[16:17], v[12:13]
	v_mul_f64 v[12:13], s[14:15], v[12:13]
	v_add_co_u32 v26, vcc_lo, s2, v18
	v_add_co_ci_u32_e64 v27, null, s3, v19, vcc_lo
	v_add_co_u32 v18, vcc_lo, v26, v0
	v_add_co_ci_u32_e64 v19, null, v27, v1, vcc_lo
	global_store_dwordx4 v[18:19], v[14:17], off
	global_load_dwordx4 v[14:17], v[24:25], off offset:256
	v_fma_f64 v[20:21], s[14:15], v[10:11], -v[20:21]
	v_fma_f64 v[12:13], s[16:17], v[10:11], v[12:13]
	s_waitcnt vmcnt(0)
	v_mul_f64 v[22:23], s[40:41], v[16:17]
	v_mul_f64 v[16:17], s[38:39], v[16:17]
	v_fma_f64 v[10:11], s[38:39], v[14:15], -v[22:23]
	v_fma_f64 v[14:15], s[40:41], v[14:15], v[16:17]
	v_mul_f64 v[16:17], s[16:17], v[8:9]
	v_mul_f64 v[8:9], s[14:15], v[8:9]
	v_add_f64 v[10:11], v[20:21], v[10:11]
	v_add_f64 v[12:13], v[12:13], v[14:15]
	v_add_co_u32 v14, vcc_lo, v30, s0
	v_add_co_ci_u32_e64 v15, null, s1, v31, vcc_lo
	v_fma_f64 v[16:17], s[14:15], v[6:7], -v[16:17]
	v_add_co_u32 v14, vcc_lo, v14, v0
	v_add_co_ci_u32_e64 v15, null, v15, v1, vcc_lo
	v_fma_f64 v[8:9], s[16:17], v[6:7], v[8:9]
	s_lshl_b64 s[0:1], s[50:51], 8
	global_store_dwordx4 v[18:19], v[10:13], off offset:256
	global_load_dwordx4 v[10:13], v[14:15], off
	s_waitcnt vmcnt(0)
	v_mul_f64 v[18:19], s[40:41], v[12:13]
	v_mul_f64 v[12:13], s[38:39], v[12:13]
	v_fma_f64 v[6:7], s[38:39], v[10:11], -v[18:19]
	v_fma_f64 v[10:11], s[40:41], v[10:11], v[12:13]
	v_add_f64 v[6:7], v[16:17], v[6:7]
	v_add_f64 v[8:9], v[8:9], v[10:11]
	v_add_co_u32 v10, vcc_lo, v26, s0
	v_add_co_ci_u32_e64 v11, null, s1, v27, vcc_lo
	v_add_co_u32 v0, vcc_lo, v10, v0
	v_add_co_ci_u32_e64 v1, null, v11, v1, vcc_lo
	v_mul_f64 v[10:11], s[16:17], v[4:5]
	v_mul_f64 v[4:5], s[14:15], v[4:5]
	v_add_co_u32 v20, vcc_lo, 0x100, v0
	v_add_co_ci_u32_e64 v21, null, 0, v1, vcc_lo
	global_store_dwordx4 v[0:1], v[6:9], off
	global_load_dwordx4 v[6:9], v[14:15], off offset:256
	v_fma_f64 v[10:11], s[14:15], v[2:3], -v[10:11]
	v_fma_f64 v[2:3], s[16:17], v[2:3], v[4:5]
	s_waitcnt vmcnt(0)
	v_mul_f64 v[12:13], s[40:41], v[8:9]
	v_mul_f64 v[8:9], s[38:39], v[8:9]
	v_fma_f64 v[4:5], s[38:39], v[6:7], -v[12:13]
	v_fma_f64 v[6:7], s[40:41], v[6:7], v[8:9]
	v_add_f64 v[4:5], v[10:11], v[4:5]
	v_add_f64 v[18:19], v[2:3], v[6:7]
	global_store_dwordx2 v[0:1], v[4:5], off offset:256
.LBB131_8:
	global_store_dwordx2 v[20:21], v[18:19], off offset:8
	s_endpgm
	.section	.rodata,"a",@progbits
	.p2align	6, 0x0
	.amdhsa_kernel _ZN12_GLOBAL__N_127rocblas_gemm_batched_kernelI19rocblas_complex_numIdELi16ELi16ELi32ELi32ELi8ELi32ELi8ELi8ELi32ELc67ELc67EKS2_S3_S2_EEvlllT_PT11_llS6_llS4_PT12_llPT13_lli
		.amdhsa_group_segment_fixed_size 8192
		.amdhsa_private_segment_fixed_size 0
		.amdhsa_kernarg_size 156
		.amdhsa_user_sgpr_count 6
		.amdhsa_user_sgpr_private_segment_buffer 1
		.amdhsa_user_sgpr_dispatch_ptr 0
		.amdhsa_user_sgpr_queue_ptr 0
		.amdhsa_user_sgpr_kernarg_segment_ptr 1
		.amdhsa_user_sgpr_dispatch_id 0
		.amdhsa_user_sgpr_flat_scratch_init 0
		.amdhsa_user_sgpr_private_segment_size 0
		.amdhsa_wavefront_size32 1
		.amdhsa_uses_dynamic_stack 0
		.amdhsa_system_sgpr_private_segment_wavefront_offset 0
		.amdhsa_system_sgpr_workgroup_id_x 1
		.amdhsa_system_sgpr_workgroup_id_y 1
		.amdhsa_system_sgpr_workgroup_id_z 1
		.amdhsa_system_sgpr_workgroup_info 0
		.amdhsa_system_vgpr_workitem_id 1
		.amdhsa_next_free_vgpr 162
		.amdhsa_next_free_sgpr 52
		.amdhsa_reserve_vcc 1
		.amdhsa_reserve_flat_scratch 0
		.amdhsa_float_round_mode_32 0
		.amdhsa_float_round_mode_16_64 0
		.amdhsa_float_denorm_mode_32 3
		.amdhsa_float_denorm_mode_16_64 3
		.amdhsa_dx10_clamp 1
		.amdhsa_ieee_mode 1
		.amdhsa_fp16_overflow 0
		.amdhsa_workgroup_processor_mode 1
		.amdhsa_memory_ordered 1
		.amdhsa_forward_progress 1
		.amdhsa_shared_vgpr_count 0
		.amdhsa_exception_fp_ieee_invalid_op 0
		.amdhsa_exception_fp_denorm_src 0
		.amdhsa_exception_fp_ieee_div_zero 0
		.amdhsa_exception_fp_ieee_overflow 0
		.amdhsa_exception_fp_ieee_underflow 0
		.amdhsa_exception_fp_ieee_inexact 0
		.amdhsa_exception_int_div_zero 0
	.end_amdhsa_kernel
	.section	.text._ZN12_GLOBAL__N_127rocblas_gemm_batched_kernelI19rocblas_complex_numIdELi16ELi16ELi32ELi32ELi8ELi32ELi8ELi8ELi32ELc67ELc67EKS2_S3_S2_EEvlllT_PT11_llS6_llS4_PT12_llPT13_lli,"axG",@progbits,_ZN12_GLOBAL__N_127rocblas_gemm_batched_kernelI19rocblas_complex_numIdELi16ELi16ELi32ELi32ELi8ELi32ELi8ELi8ELi32ELc67ELc67EKS2_S3_S2_EEvlllT_PT11_llS6_llS4_PT12_llPT13_lli,comdat
.Lfunc_end131:
	.size	_ZN12_GLOBAL__N_127rocblas_gemm_batched_kernelI19rocblas_complex_numIdELi16ELi16ELi32ELi32ELi8ELi32ELi8ELi8ELi32ELc67ELc67EKS2_S3_S2_EEvlllT_PT11_llS6_llS4_PT12_llPT13_lli, .Lfunc_end131-_ZN12_GLOBAL__N_127rocblas_gemm_batched_kernelI19rocblas_complex_numIdELi16ELi16ELi32ELi32ELi8ELi32ELi8ELi8ELi32ELc67ELc67EKS2_S3_S2_EEvlllT_PT11_llS6_llS4_PT12_llPT13_lli
                                        ; -- End function
	.set _ZN12_GLOBAL__N_127rocblas_gemm_batched_kernelI19rocblas_complex_numIdELi16ELi16ELi32ELi32ELi8ELi32ELi8ELi8ELi32ELc67ELc67EKS2_S3_S2_EEvlllT_PT11_llS6_llS4_PT12_llPT13_lli.num_vgpr, 162
	.set _ZN12_GLOBAL__N_127rocblas_gemm_batched_kernelI19rocblas_complex_numIdELi16ELi16ELi32ELi32ELi8ELi32ELi8ELi8ELi32ELc67ELc67EKS2_S3_S2_EEvlllT_PT11_llS6_llS4_PT12_llPT13_lli.num_agpr, 0
	.set _ZN12_GLOBAL__N_127rocblas_gemm_batched_kernelI19rocblas_complex_numIdELi16ELi16ELi32ELi32ELi8ELi32ELi8ELi8ELi32ELc67ELc67EKS2_S3_S2_EEvlllT_PT11_llS6_llS4_PT12_llPT13_lli.numbered_sgpr, 52
	.set _ZN12_GLOBAL__N_127rocblas_gemm_batched_kernelI19rocblas_complex_numIdELi16ELi16ELi32ELi32ELi8ELi32ELi8ELi8ELi32ELc67ELc67EKS2_S3_S2_EEvlllT_PT11_llS6_llS4_PT12_llPT13_lli.num_named_barrier, 0
	.set _ZN12_GLOBAL__N_127rocblas_gemm_batched_kernelI19rocblas_complex_numIdELi16ELi16ELi32ELi32ELi8ELi32ELi8ELi8ELi32ELc67ELc67EKS2_S3_S2_EEvlllT_PT11_llS6_llS4_PT12_llPT13_lli.private_seg_size, 0
	.set _ZN12_GLOBAL__N_127rocblas_gemm_batched_kernelI19rocblas_complex_numIdELi16ELi16ELi32ELi32ELi8ELi32ELi8ELi8ELi32ELc67ELc67EKS2_S3_S2_EEvlllT_PT11_llS6_llS4_PT12_llPT13_lli.uses_vcc, 1
	.set _ZN12_GLOBAL__N_127rocblas_gemm_batched_kernelI19rocblas_complex_numIdELi16ELi16ELi32ELi32ELi8ELi32ELi8ELi8ELi32ELc67ELc67EKS2_S3_S2_EEvlllT_PT11_llS6_llS4_PT12_llPT13_lli.uses_flat_scratch, 0
	.set _ZN12_GLOBAL__N_127rocblas_gemm_batched_kernelI19rocblas_complex_numIdELi16ELi16ELi32ELi32ELi8ELi32ELi8ELi8ELi32ELc67ELc67EKS2_S3_S2_EEvlllT_PT11_llS6_llS4_PT12_llPT13_lli.has_dyn_sized_stack, 0
	.set _ZN12_GLOBAL__N_127rocblas_gemm_batched_kernelI19rocblas_complex_numIdELi16ELi16ELi32ELi32ELi8ELi32ELi8ELi8ELi32ELc67ELc67EKS2_S3_S2_EEvlllT_PT11_llS6_llS4_PT12_llPT13_lli.has_recursion, 0
	.set _ZN12_GLOBAL__N_127rocblas_gemm_batched_kernelI19rocblas_complex_numIdELi16ELi16ELi32ELi32ELi8ELi32ELi8ELi8ELi32ELc67ELc67EKS2_S3_S2_EEvlllT_PT11_llS6_llS4_PT12_llPT13_lli.has_indirect_call, 0
	.section	.AMDGPU.csdata,"",@progbits
; Kernel info:
; codeLenInByte = 3584
; TotalNumSgprs: 54
; NumVgprs: 162
; ScratchSize: 0
; MemoryBound: 0
; FloatMode: 240
; IeeeMode: 1
; LDSByteSize: 8192 bytes/workgroup (compile time only)
; SGPRBlocks: 0
; VGPRBlocks: 20
; NumSGPRsForWavesPerEU: 54
; NumVGPRsForWavesPerEU: 162
; Occupancy: 5
; WaveLimiterHint : 1
; COMPUTE_PGM_RSRC2:SCRATCH_EN: 0
; COMPUTE_PGM_RSRC2:USER_SGPR: 6
; COMPUTE_PGM_RSRC2:TRAP_HANDLER: 0
; COMPUTE_PGM_RSRC2:TGID_X_EN: 1
; COMPUTE_PGM_RSRC2:TGID_Y_EN: 1
; COMPUTE_PGM_RSRC2:TGID_Z_EN: 1
; COMPUTE_PGM_RSRC2:TIDIG_COMP_CNT: 1
	.section	.text._ZN12_GLOBAL__N_127rocblas_gemm_batched_kernelI19rocblas_complex_numIdELi16ELi16ELi32ELi32ELi8ELi32ELi8ELi8ELi32ELc67ELc78EKS2_S3_S2_EEvlllT_PT11_llS6_llS4_PT12_llPT13_lli,"axG",@progbits,_ZN12_GLOBAL__N_127rocblas_gemm_batched_kernelI19rocblas_complex_numIdELi16ELi16ELi32ELi32ELi8ELi32ELi8ELi8ELi32ELc67ELc78EKS2_S3_S2_EEvlllT_PT11_llS6_llS4_PT12_llPT13_lli,comdat
	.globl	_ZN12_GLOBAL__N_127rocblas_gemm_batched_kernelI19rocblas_complex_numIdELi16ELi16ELi32ELi32ELi8ELi32ELi8ELi8ELi32ELc67ELc78EKS2_S3_S2_EEvlllT_PT11_llS6_llS4_PT12_llPT13_lli ; -- Begin function _ZN12_GLOBAL__N_127rocblas_gemm_batched_kernelI19rocblas_complex_numIdELi16ELi16ELi32ELi32ELi8ELi32ELi8ELi8ELi32ELc67ELc78EKS2_S3_S2_EEvlllT_PT11_llS6_llS4_PT12_llPT13_lli
	.p2align	8
	.type	_ZN12_GLOBAL__N_127rocblas_gemm_batched_kernelI19rocblas_complex_numIdELi16ELi16ELi32ELi32ELi8ELi32ELi8ELi8ELi32ELc67ELc78EKS2_S3_S2_EEvlllT_PT11_llS6_llS4_PT12_llPT13_lli,@function
_ZN12_GLOBAL__N_127rocblas_gemm_batched_kernelI19rocblas_complex_numIdELi16ELi16ELi32ELi32ELi8ELi32ELi8ELi8ELi32ELc67ELc78EKS2_S3_S2_EEvlllT_PT11_llS6_llS4_PT12_llPT13_lli: ; @_ZN12_GLOBAL__N_127rocblas_gemm_batched_kernelI19rocblas_complex_numIdELi16ELi16ELi32ELi32ELi8ELi32ELi8ELi8ELi32ELc67ELc78EKS2_S3_S2_EEvlllT_PT11_llS6_llS4_PT12_llPT13_lli
; %bb.0:
	s_clause 0x1
	s_load_dwordx16 s[12:27], s[4:5], 0x10
	s_load_dwordx16 s[36:51], s[4:5], 0x50
	s_mov_b32 s2, s7
	s_ashr_i32 s7, s6, 31
	s_ashr_i32 s3, s2, 31
	s_lshl_b64 s[0:1], s[6:7], 5
	s_lshl_b64 s[2:3], s[2:3], 5
	s_waitcnt lgkmcnt(0)
	v_cmp_lt_i64_e64 s9, s[12:13], 1
	s_and_b32 vcc_lo, exec_lo, s9
	s_cbranch_vccnz .LBB132_3
; %bb.1:
	v_lshl_add_u32 v4, v1, 4, v0
	v_and_b32_e32 v6, 7, v0
	s_mul_i32 s7, s23, s8
	s_mul_hi_u32 s9, s22, s8
	v_mov_b32_e32 v12, 0
	v_and_b32_e32 v5, 31, v4
	v_lshrrev_b32_e32 v9, 3, v4
	v_lshlrev_b32_e32 v6, 4, v6
	s_add_i32 s7, s9, s7
	v_lshrrev_b32_e32 v10, 5, v4
	v_add_co_u32 v2, s6, s0, v5
	v_add_co_ci_u32_e64 v3, null, s1, 0, s6
	v_lshlrev_b32_e32 v4, 4, v5
	v_mul_lo_u32 v7, s21, v2
	v_lshl_or_b32 v5, v9, 7, v6
	v_mul_lo_u32 v8, s20, v3
	v_mad_u64_u32 v[2:3], null, s20, v2, 0
	v_lshl_or_b32 v23, v10, 9, v4
	v_add_nc_u32_e32 v24, 0x1000, v5
	s_mul_i32 s6, s22, s8
	v_mov_b32_e32 v16, 0
	s_lshl_b64 s[6:7], s[6:7], 4
	v_mov_b32_e32 v14, 0
	v_add3_u32 v3, v3, v8, v7
	v_add_co_u32 v7, s9, v9, s2
	v_add_co_ci_u32_e64 v8, null, 0, s3, s9
	v_lshlrev_b64 v[2:3], 4, v[2:3]
	v_mul_lo_u32 v9, s27, v7
	v_mad_u64_u32 v[4:5], null, s26, v7, 0
	v_mul_lo_u32 v8, s26, v8
	v_lshlrev_b32_e32 v7, 4, v10
	v_add_co_u32 v2, vcc_lo, v2, s6
	v_add_co_ci_u32_e64 v3, null, s7, v3, vcc_lo
	s_mul_i32 s6, s37, s8
	v_add_co_u32 v7, vcc_lo, v2, v7
	v_add3_u32 v5, v5, v8, v9
	v_add_co_ci_u32_e64 v8, null, 0, v3, vcc_lo
	s_mul_hi_u32 s7, s36, s8
	v_mov_b32_e32 v10, 0
	v_lshlrev_b64 v[2:3], 4, v[4:5]
	s_add_i32 s7, s7, s6
	s_mul_i32 s6, s36, s8
	v_add_co_u32 v4, vcc_lo, s18, v7
	s_lshl_b64 s[6:7], s[6:7], 4
	v_add_co_ci_u32_e64 v5, null, s19, v8, vcc_lo
	v_add_co_u32 v2, vcc_lo, v2, s6
	v_add_co_ci_u32_e64 v3, null, s7, v3, vcc_lo
	v_add_co_u32 v18, vcc_lo, v4, 8
	;; [unrolled: 2-line block ×3, first 2 shown]
	v_add_co_ci_u32_e64 v21, null, 0, v3, vcc_lo
	v_mov_b32_e32 v4, 0
	v_add_co_u32 v20, vcc_lo, s24, v20
	v_mov_b32_e32 v2, 0
	v_mov_b32_e32 v8, 0
	;; [unrolled: 1-line block ×3, first 2 shown]
	v_lshlrev_b32_e32 v22, 4, v0
	v_lshl_add_u32 v25, v1, 7, 0x1000
	v_mov_b32_e32 v5, 0
	v_mov_b32_e32 v3, 0
	;; [unrolled: 1-line block ×8, first 2 shown]
	v_add_co_ci_u32_e64 v21, null, s25, v21, vcc_lo
	s_mov_b64 s[6:7], 0
.LBB132_2:                              ; =>This Inner Loop Header: Depth=1
	global_load_dwordx4 v[26:29], v[18:19], off offset:-8
	global_load_dwordx4 v[30:33], v[20:21], off
	s_add_u32 s6, s6, 8
	s_addc_u32 s7, s7, 0
	v_add_co_u32 v18, vcc_lo, 0x80, v18
	v_cmp_lt_i64_e64 s9, s[6:7], s[12:13]
	v_add_co_ci_u32_e64 v19, null, 0, v19, vcc_lo
	v_add_co_u32 v20, vcc_lo, 0x80, v20
	v_add_co_ci_u32_e64 v21, null, 0, v21, vcc_lo
	s_and_b32 vcc_lo, exec_lo, s9
	s_waitcnt vmcnt(1)
	v_xor_b32_e32 v29, 0x80000000, v29
	s_waitcnt vmcnt(0)
	ds_write2_b64 v24, v[30:31], v[32:33] offset1:1
	ds_write_b128 v23, v[26:29]
	s_waitcnt lgkmcnt(0)
	s_barrier
	buffer_gl0_inv
	ds_read_b128 v[26:29], v22
	ds_read_b128 v[30:33], v22 offset:256
	ds_read_b128 v[34:37], v25
	ds_read_b128 v[38:41], v25 offset:16
	ds_read_b128 v[42:45], v25 offset:2048
	;; [unrolled: 1-line block ×28, first 2 shown]
	s_waitcnt lgkmcnt(28)
	v_mul_f64 v[150:151], v[36:37], v[28:29]
	v_mul_f64 v[154:155], v[36:37], v[32:33]
	;; [unrolled: 1-line block ×4, first 2 shown]
	v_fma_f64 v[150:151], v[34:35], v[26:27], -v[150:151]
	v_fma_f64 v[34:35], v[34:35], v[30:31], -v[154:155]
	s_waitcnt lgkmcnt(26)
	v_mul_f64 v[154:155], v[44:45], v[28:29]
	v_mul_f64 v[28:29], v[42:43], v[28:29]
	v_fma_f64 v[152:153], v[36:37], v[26:27], v[152:153]
	v_fma_f64 v[36:37], v[36:37], v[30:31], v[156:157]
	v_add_f64 v[14:15], v[14:15], v[150:151]
	v_add_f64 v[10:11], v[10:11], v[34:35]
	v_fma_f64 v[154:155], v[42:43], v[26:27], -v[154:155]
	v_fma_f64 v[156:157], v[44:45], v[26:27], v[28:29]
	v_mul_f64 v[26:27], v[44:45], v[32:33]
	v_mul_f64 v[28:29], v[42:43], v[32:33]
	v_add_f64 v[16:17], v[152:153], v[16:17]
	v_add_f64 v[12:13], v[36:37], v[12:13]
	s_waitcnt lgkmcnt(16)
	v_mul_f64 v[34:35], v[64:65], v[84:85]
	v_mul_f64 v[36:37], v[62:63], v[84:85]
	s_waitcnt lgkmcnt(15)
	v_mul_f64 v[150:151], v[62:63], v[88:89]
	s_waitcnt lgkmcnt(12)
	v_mul_f64 v[152:153], v[98:99], v[96:97]
	v_add_f64 v[6:7], v[6:7], v[154:155]
	v_add_f64 v[8:9], v[156:157], v[8:9]
	v_fma_f64 v[32:33], v[42:43], v[30:31], -v[26:27]
	v_fma_f64 v[30:31], v[44:45], v[30:31], v[28:29]
	v_mul_f64 v[26:27], v[40:41], v[52:53]
	v_mul_f64 v[28:29], v[38:39], v[52:53]
	;; [unrolled: 1-line block ×4, first 2 shown]
	v_fma_f64 v[34:35], v[62:63], v[82:83], -v[34:35]
	v_fma_f64 v[36:37], v[64:65], v[82:83], v[36:37]
	v_add_f64 v[2:3], v[2:3], v[32:33]
	v_add_f64 v[4:5], v[30:31], v[4:5]
	v_fma_f64 v[158:159], v[38:39], v[50:51], -v[26:27]
	v_fma_f64 v[160:161], v[40:41], v[50:51], v[28:29]
	v_mul_f64 v[26:27], v[48:49], v[52:53]
	v_mul_f64 v[28:29], v[46:47], v[52:53]
	v_fma_f64 v[38:39], v[38:39], v[54:55], -v[42:43]
	v_fma_f64 v[40:41], v[40:41], v[54:55], v[44:45]
	v_mul_f64 v[52:53], v[58:59], v[72:73]
	v_mul_f64 v[30:31], v[80:81], v[84:85]
	;; [unrolled: 1-line block ×4, first 2 shown]
	v_add_f64 v[14:15], v[14:15], v[158:159]
	v_add_f64 v[16:17], v[160:161], v[16:17]
	v_fma_f64 v[42:43], v[46:47], v[50:51], -v[26:27]
	v_fma_f64 v[44:45], v[48:49], v[50:51], v[28:29]
	v_mul_f64 v[26:27], v[48:49], v[56:57]
	v_mul_f64 v[28:29], v[46:47], v[56:57]
	;; [unrolled: 1-line block ×3, first 2 shown]
	v_fma_f64 v[52:53], v[60:61], v[70:71], v[52:53]
	v_add_f64 v[10:11], v[10:11], v[38:39]
	v_add_f64 v[12:13], v[40:41], v[12:13]
	s_waitcnt lgkmcnt(10)
	v_mul_f64 v[38:39], v[108:109], v[92:93]
	v_mul_f64 v[40:41], v[106:107], v[92:93]
	v_fma_f64 v[30:31], v[78:79], v[82:83], -v[30:31]
	v_fma_f64 v[32:33], v[80:81], v[82:83], v[32:33]
	s_waitcnt lgkmcnt(8)
	v_mul_f64 v[82:83], v[112:113], v[116:117]
	v_add_f64 v[6:7], v[6:7], v[42:43]
	v_add_f64 v[8:9], v[44:45], v[8:9]
	v_fma_f64 v[46:47], v[46:47], v[54:55], -v[26:27]
	v_fma_f64 v[48:49], v[48:49], v[54:55], v[28:29]
	v_mul_f64 v[26:27], v[60:61], v[68:69]
	v_mul_f64 v[28:29], v[58:59], v[68:69]
	v_fma_f64 v[50:51], v[58:59], v[70:71], -v[50:51]
	v_mul_f64 v[42:43], v[108:109], v[96:97]
	v_mul_f64 v[44:45], v[106:107], v[96:97]
	v_add_f64 v[12:13], v[52:53], v[12:13]
	s_waitcnt lgkmcnt(7)
	v_mul_f64 v[52:53], v[110:111], v[120:121]
	v_fma_f64 v[38:39], v[106:107], v[90:91], -v[38:39]
	v_fma_f64 v[40:41], v[108:109], v[90:91], v[40:41]
	v_add_f64 v[2:3], v[2:3], v[46:47]
	v_add_f64 v[4:5], v[48:49], v[4:5]
	v_fma_f64 v[54:55], v[58:59], v[66:67], -v[26:27]
	v_fma_f64 v[56:57], v[60:61], v[66:67], v[28:29]
	v_mul_f64 v[26:27], v[76:77], v[68:69]
	v_mul_f64 v[28:29], v[74:75], v[68:69]
	;; [unrolled: 1-line block ×3, first 2 shown]
	v_add_f64 v[10:11], v[10:11], v[50:51]
	v_mul_f64 v[46:47], v[104:105], v[116:117]
	v_mul_f64 v[48:49], v[102:103], v[116:117]
	;; [unrolled: 1-line block ×3, first 2 shown]
	v_fma_f64 v[42:43], v[106:107], v[94:95], -v[42:43]
	v_fma_f64 v[44:45], v[108:109], v[94:95], v[44:45]
	v_fma_f64 v[52:53], v[112:113], v[118:119], v[52:53]
	v_add_f64 v[14:15], v[14:15], v[54:55]
	v_add_f64 v[16:17], v[56:57], v[16:17]
	v_fma_f64 v[58:59], v[74:75], v[66:67], -v[26:27]
	v_fma_f64 v[60:61], v[76:77], v[66:67], v[28:29]
	v_mul_f64 v[66:67], v[76:77], v[72:73]
	v_mul_f64 v[72:73], v[64:65], v[88:89]
	v_fma_f64 v[68:69], v[76:77], v[70:71], v[68:69]
	v_mul_f64 v[76:77], v[100:101], v[92:93]
	v_fma_f64 v[64:65], v[64:65], v[86:87], v[150:151]
	v_mul_f64 v[92:93], v[102:103], v[120:121]
	s_waitcnt lgkmcnt(4)
	v_mul_f64 v[54:55], v[132:133], v[124:125]
	v_mul_f64 v[56:57], v[130:131], v[124:125]
	v_fma_f64 v[46:47], v[102:103], v[114:115], -v[46:47]
	v_fma_f64 v[48:49], v[104:105], v[114:115], v[48:49]
	v_fma_f64 v[50:51], v[110:111], v[118:119], -v[50:51]
	ds_read_b128 v[26:29], v22 offset:3840
	s_waitcnt lgkmcnt(0)
	s_barrier
	buffer_gl0_inv
	v_add_f64 v[14:15], v[14:15], v[34:35]
	v_add_f64 v[16:17], v[36:37], v[16:17]
	;; [unrolled: 1-line block ×4, first 2 shown]
	v_fma_f64 v[66:67], v[74:75], v[70:71], -v[66:67]
	v_mul_f64 v[70:71], v[80:81], v[88:89]
	v_mul_f64 v[74:75], v[78:79], v[88:89]
	;; [unrolled: 1-line block ×3, first 2 shown]
	v_fma_f64 v[62:63], v[62:63], v[86:87], -v[72:73]
	v_add_f64 v[4:5], v[68:69], v[4:5]
	v_mul_f64 v[72:73], v[104:105], v[120:121]
	v_mul_f64 v[96:97], v[110:111], v[116:117]
	v_fma_f64 v[68:69], v[100:101], v[90:91], v[84:85]
	v_add_f64 v[12:13], v[64:65], v[12:13]
	v_mul_f64 v[58:59], v[132:133], v[128:129]
	v_mul_f64 v[60:61], v[130:131], v[128:129]
	;; [unrolled: 1-line block ×5, first 2 shown]
	v_fma_f64 v[54:55], v[130:131], v[122:123], -v[54:55]
	v_fma_f64 v[56:57], v[132:133], v[122:123], v[56:57]
	v_add_f64 v[6:7], v[6:7], v[30:31]
	v_add_f64 v[8:9], v[32:33], v[8:9]
	;; [unrolled: 1-line block ×3, first 2 shown]
	v_fma_f64 v[70:71], v[78:79], v[86:87], -v[70:71]
	v_fma_f64 v[74:75], v[80:81], v[86:87], v[74:75]
	v_fma_f64 v[66:67], v[98:99], v[90:91], -v[76:77]
	v_fma_f64 v[76:77], v[98:99], v[94:95], -v[88:89]
	v_fma_f64 v[78:79], v[100:101], v[94:95], v[152:153]
	v_add_f64 v[10:11], v[10:11], v[62:63]
	v_mul_f64 v[30:31], v[140:141], v[124:125]
	v_mul_f64 v[32:33], v[138:139], v[124:125]
	v_fma_f64 v[80:81], v[112:113], v[114:115], v[96:97]
	v_add_f64 v[16:17], v[68:69], v[16:17]
	v_mul_f64 v[62:63], v[136:137], v[148:149]
	v_fma_f64 v[58:59], v[130:131], v[126:127], -v[58:59]
	v_fma_f64 v[60:61], v[132:133], v[126:127], v[60:61]
	v_fma_f64 v[34:35], v[138:139], v[126:127], -v[34:35]
	v_fma_f64 v[36:37], v[140:141], v[126:127], v[36:37]
	v_add_f64 v[6:7], v[6:7], v[38:39]
	v_add_f64 v[8:9], v[40:41], v[8:9]
	v_mul_f64 v[38:39], v[136:137], v[28:29]
	v_add_f64 v[2:3], v[2:3], v[70:71]
	v_add_f64 v[4:5], v[74:75], v[4:5]
	v_fma_f64 v[70:71], v[102:103], v[118:119], -v[72:73]
	v_fma_f64 v[72:73], v[104:105], v[118:119], v[92:93]
	v_fma_f64 v[74:75], v[110:111], v[114:115], -v[82:83]
	v_add_f64 v[14:15], v[14:15], v[66:67]
	v_add_f64 v[10:11], v[10:11], v[76:77]
	;; [unrolled: 1-line block ×3, first 2 shown]
	v_mul_f64 v[40:41], v[134:135], v[28:29]
	v_mul_f64 v[66:67], v[144:145], v[28:29]
	;; [unrolled: 1-line block ×3, first 2 shown]
	v_fma_f64 v[30:31], v[138:139], v[122:123], -v[30:31]
	v_fma_f64 v[32:33], v[140:141], v[122:123], v[32:33]
	v_add_f64 v[16:17], v[48:49], v[16:17]
	v_fma_f64 v[48:49], v[136:137], v[146:147], v[64:65]
	v_add_f64 v[8:9], v[80:81], v[8:9]
	v_fma_f64 v[38:39], v[134:135], v[26:27], -v[38:39]
	v_add_f64 v[2:3], v[2:3], v[42:43]
	v_add_f64 v[4:5], v[44:45], v[4:5]
	v_mul_f64 v[42:43], v[144:145], v[148:149]
	v_mul_f64 v[44:45], v[142:143], v[148:149]
	v_add_f64 v[6:7], v[6:7], v[74:75]
	v_add_f64 v[14:15], v[14:15], v[46:47]
	;; [unrolled: 1-line block ×4, first 2 shown]
	v_fma_f64 v[46:47], v[134:135], v[146:147], -v[62:63]
	v_fma_f64 v[40:41], v[136:137], v[26:27], v[40:41]
	v_add_f64 v[16:17], v[56:57], v[16:17]
	v_add_f64 v[8:9], v[32:33], v[8:9]
	;; [unrolled: 1-line block ×4, first 2 shown]
	v_fma_f64 v[42:43], v[142:143], v[146:147], -v[42:43]
	v_fma_f64 v[44:45], v[144:145], v[146:147], v[44:45]
	v_fma_f64 v[50:51], v[142:143], v[26:27], -v[66:67]
	v_fma_f64 v[26:27], v[144:145], v[26:27], v[28:29]
	v_add_f64 v[14:15], v[14:15], v[54:55]
	v_add_f64 v[10:11], v[10:11], v[58:59]
	;; [unrolled: 1-line block ×14, first 2 shown]
	s_cbranch_vccnz .LBB132_2
	s_branch .LBB132_4
.LBB132_3:
	v_mov_b32_e32 v14, 0
	v_mov_b32_e32 v16, 0
	;; [unrolled: 1-line block ×16, first 2 shown]
.LBB132_4:
	s_load_dwordx2 s[4:5], s[4:5], 0x90
	v_cmp_neq_f64_e64 s6, s[38:39], 0
	v_cmp_neq_f64_e64 s7, s[40:41], 0
	v_add_co_u32 v22, s2, s2, v1
	v_add_co_u32 v0, s0, s0, v0
	v_add_co_ci_u32_e64 v23, null, s3, 0, s2
	v_add_co_ci_u32_e64 v1, null, s1, 0, s0
	s_waitcnt lgkmcnt(0)
	s_mul_i32 s5, s5, s8
	s_mul_hi_u32 s9, s4, s8
	s_mul_i32 s4, s4, s8
	s_add_i32 s5, s9, s5
	s_lshl_b64 s[4:5], s[4:5], 4
	s_add_u32 s2, s48, s4
	s_addc_u32 s3, s49, s5
	s_or_b32 s4, s6, s7
	s_and_b32 vcc_lo, exec_lo, s4
	s_cbranch_vccnz .LBB132_6
; %bb.5:
	v_mul_f64 v[20:21], s[16:17], v[16:17]
	v_mul_f64 v[26:27], s[14:15], v[16:17]
	;; [unrolled: 1-line block ×4, first 2 shown]
	v_mul_lo_u32 v24, v23, s50
	v_mul_lo_u32 v25, v22, s51
	v_mad_u64_u32 v[18:19], null, v22, s50, 0
	v_mul_f64 v[28:29], s[16:17], v[12:13]
	v_mul_f64 v[30:31], s[14:15], v[12:13]
	;; [unrolled: 1-line block ×4, first 2 shown]
	s_lshl_b64 s[0:1], s[50:51], 8
	v_lshlrev_b64 v[40:41], 4, v[0:1]
	v_add3_u32 v19, v19, v25, v24
	v_lshlrev_b64 v[18:19], 4, v[18:19]
	v_fma_f64 v[24:25], s[14:15], v[14:15], -v[20:21]
	v_fma_f64 v[26:27], s[16:17], v[14:15], v[26:27]
	v_fma_f64 v[36:37], s[14:15], v[2:3], -v[36:37]
	v_add_co_u32 v42, vcc_lo, s2, v18
	v_add_co_ci_u32_e64 v43, null, s3, v19, vcc_lo
	v_fma_f64 v[18:19], s[16:17], v[2:3], v[38:39]
	v_fma_f64 v[28:29], s[14:15], v[10:11], -v[28:29]
	v_fma_f64 v[30:31], s[16:17], v[10:11], v[30:31]
	v_fma_f64 v[32:33], s[14:15], v[6:7], -v[32:33]
	v_fma_f64 v[34:35], s[16:17], v[6:7], v[34:35]
	v_add_co_u32 v20, vcc_lo, v42, s0
	v_add_co_ci_u32_e64 v21, null, s1, v43, vcc_lo
	v_add_co_u32 v38, vcc_lo, v20, v40
	v_add_co_ci_u32_e64 v39, null, v21, v41, vcc_lo
	;; [unrolled: 2-line block ×4, first 2 shown]
	global_store_dwordx4 v[40:41], v[24:27], off
	global_store_dwordx4 v[40:41], v[28:31], off offset:256
	global_store_dwordx4 v[38:39], v[32:35], off
	global_store_dwordx2 v[38:39], v[36:37], off offset:256
	s_cbranch_execz .LBB132_7
	s_branch .LBB132_8
.LBB132_6:
                                        ; implicit-def: $vgpr18_vgpr19
                                        ; implicit-def: $vgpr20_vgpr21
.LBB132_7:
	v_mul_lo_u32 v20, v23, s44
	v_mul_lo_u32 v21, v22, s45
	v_mad_u64_u32 v[18:19], null, v22, s44, 0
	s_mul_i32 s1, s47, s8
	s_mul_hi_u32 s4, s46, s8
	s_mul_i32 s0, s46, s8
	s_add_i32 s1, s4, s1
	v_lshlrev_b64 v[0:1], 4, v[0:1]
	s_lshl_b64 s[0:1], s[0:1], 4
	v_add3_u32 v19, v19, v21, v20
	s_add_u32 s0, s42, s0
	s_addc_u32 s1, s43, s1
	v_mul_f64 v[26:27], s[16:17], v[16:17]
	v_mul_f64 v[16:17], s[14:15], v[16:17]
	v_lshlrev_b64 v[18:19], 4, v[18:19]
	v_mul_lo_u32 v23, v23, s50
	v_add_co_u32 v30, vcc_lo, s0, v18
	v_add_co_ci_u32_e64 v31, null, s1, v19, vcc_lo
	s_lshl_b64 s[0:1], s[44:45], 8
	v_add_co_u32 v24, vcc_lo, v30, v0
	v_add_co_ci_u32_e64 v25, null, v31, v1, vcc_lo
	global_load_dwordx4 v[18:21], v[24:25], off
	v_fma_f64 v[26:27], s[14:15], v[14:15], -v[26:27]
	v_fma_f64 v[16:17], s[16:17], v[14:15], v[16:17]
	s_waitcnt vmcnt(0)
	v_mul_f64 v[28:29], s[40:41], v[20:21]
	v_mul_f64 v[20:21], s[38:39], v[20:21]
	v_fma_f64 v[14:15], s[38:39], v[18:19], -v[28:29]
	v_fma_f64 v[18:19], s[40:41], v[18:19], v[20:21]
	v_mul_lo_u32 v28, v22, s51
	v_mad_u64_u32 v[20:21], null, v22, s50, 0
	v_add3_u32 v21, v21, v28, v23
	v_add_f64 v[14:15], v[26:27], v[14:15]
	v_add_f64 v[16:17], v[16:17], v[18:19]
	v_lshlrev_b64 v[18:19], 4, v[20:21]
	v_mul_f64 v[20:21], s[16:17], v[12:13]
	v_mul_f64 v[12:13], s[14:15], v[12:13]
	v_add_co_u32 v26, vcc_lo, s2, v18
	v_add_co_ci_u32_e64 v27, null, s3, v19, vcc_lo
	v_add_co_u32 v18, vcc_lo, v26, v0
	v_add_co_ci_u32_e64 v19, null, v27, v1, vcc_lo
	global_store_dwordx4 v[18:19], v[14:17], off
	global_load_dwordx4 v[14:17], v[24:25], off offset:256
	v_fma_f64 v[20:21], s[14:15], v[10:11], -v[20:21]
	v_fma_f64 v[12:13], s[16:17], v[10:11], v[12:13]
	s_waitcnt vmcnt(0)
	v_mul_f64 v[22:23], s[40:41], v[16:17]
	v_mul_f64 v[16:17], s[38:39], v[16:17]
	v_fma_f64 v[10:11], s[38:39], v[14:15], -v[22:23]
	v_fma_f64 v[14:15], s[40:41], v[14:15], v[16:17]
	v_mul_f64 v[16:17], s[16:17], v[8:9]
	v_mul_f64 v[8:9], s[14:15], v[8:9]
	v_add_f64 v[10:11], v[20:21], v[10:11]
	v_add_f64 v[12:13], v[12:13], v[14:15]
	v_add_co_u32 v14, vcc_lo, v30, s0
	v_add_co_ci_u32_e64 v15, null, s1, v31, vcc_lo
	v_fma_f64 v[16:17], s[14:15], v[6:7], -v[16:17]
	v_add_co_u32 v14, vcc_lo, v14, v0
	v_add_co_ci_u32_e64 v15, null, v15, v1, vcc_lo
	v_fma_f64 v[8:9], s[16:17], v[6:7], v[8:9]
	s_lshl_b64 s[0:1], s[50:51], 8
	global_store_dwordx4 v[18:19], v[10:13], off offset:256
	global_load_dwordx4 v[10:13], v[14:15], off
	s_waitcnt vmcnt(0)
	v_mul_f64 v[18:19], s[40:41], v[12:13]
	v_mul_f64 v[12:13], s[38:39], v[12:13]
	v_fma_f64 v[6:7], s[38:39], v[10:11], -v[18:19]
	v_fma_f64 v[10:11], s[40:41], v[10:11], v[12:13]
	v_add_f64 v[6:7], v[16:17], v[6:7]
	v_add_f64 v[8:9], v[8:9], v[10:11]
	v_add_co_u32 v10, vcc_lo, v26, s0
	v_add_co_ci_u32_e64 v11, null, s1, v27, vcc_lo
	v_add_co_u32 v0, vcc_lo, v10, v0
	v_add_co_ci_u32_e64 v1, null, v11, v1, vcc_lo
	v_mul_f64 v[10:11], s[16:17], v[4:5]
	v_mul_f64 v[4:5], s[14:15], v[4:5]
	v_add_co_u32 v20, vcc_lo, 0x100, v0
	v_add_co_ci_u32_e64 v21, null, 0, v1, vcc_lo
	global_store_dwordx4 v[0:1], v[6:9], off
	global_load_dwordx4 v[6:9], v[14:15], off offset:256
	v_fma_f64 v[10:11], s[14:15], v[2:3], -v[10:11]
	v_fma_f64 v[2:3], s[16:17], v[2:3], v[4:5]
	s_waitcnt vmcnt(0)
	v_mul_f64 v[12:13], s[40:41], v[8:9]
	v_mul_f64 v[8:9], s[38:39], v[8:9]
	v_fma_f64 v[4:5], s[38:39], v[6:7], -v[12:13]
	v_fma_f64 v[6:7], s[40:41], v[6:7], v[8:9]
	v_add_f64 v[4:5], v[10:11], v[4:5]
	v_add_f64 v[18:19], v[2:3], v[6:7]
	global_store_dwordx2 v[0:1], v[4:5], off offset:256
.LBB132_8:
	global_store_dwordx2 v[20:21], v[18:19], off offset:8
	s_endpgm
	.section	.rodata,"a",@progbits
	.p2align	6, 0x0
	.amdhsa_kernel _ZN12_GLOBAL__N_127rocblas_gemm_batched_kernelI19rocblas_complex_numIdELi16ELi16ELi32ELi32ELi8ELi32ELi8ELi8ELi32ELc67ELc78EKS2_S3_S2_EEvlllT_PT11_llS6_llS4_PT12_llPT13_lli
		.amdhsa_group_segment_fixed_size 8192
		.amdhsa_private_segment_fixed_size 0
		.amdhsa_kernarg_size 156
		.amdhsa_user_sgpr_count 6
		.amdhsa_user_sgpr_private_segment_buffer 1
		.amdhsa_user_sgpr_dispatch_ptr 0
		.amdhsa_user_sgpr_queue_ptr 0
		.amdhsa_user_sgpr_kernarg_segment_ptr 1
		.amdhsa_user_sgpr_dispatch_id 0
		.amdhsa_user_sgpr_flat_scratch_init 0
		.amdhsa_user_sgpr_private_segment_size 0
		.amdhsa_wavefront_size32 1
		.amdhsa_uses_dynamic_stack 0
		.amdhsa_system_sgpr_private_segment_wavefront_offset 0
		.amdhsa_system_sgpr_workgroup_id_x 1
		.amdhsa_system_sgpr_workgroup_id_y 1
		.amdhsa_system_sgpr_workgroup_id_z 1
		.amdhsa_system_sgpr_workgroup_info 0
		.amdhsa_system_vgpr_workitem_id 1
		.amdhsa_next_free_vgpr 162
		.amdhsa_next_free_sgpr 52
		.amdhsa_reserve_vcc 1
		.amdhsa_reserve_flat_scratch 0
		.amdhsa_float_round_mode_32 0
		.amdhsa_float_round_mode_16_64 0
		.amdhsa_float_denorm_mode_32 3
		.amdhsa_float_denorm_mode_16_64 3
		.amdhsa_dx10_clamp 1
		.amdhsa_ieee_mode 1
		.amdhsa_fp16_overflow 0
		.amdhsa_workgroup_processor_mode 1
		.amdhsa_memory_ordered 1
		.amdhsa_forward_progress 1
		.amdhsa_shared_vgpr_count 0
		.amdhsa_exception_fp_ieee_invalid_op 0
		.amdhsa_exception_fp_denorm_src 0
		.amdhsa_exception_fp_ieee_div_zero 0
		.amdhsa_exception_fp_ieee_overflow 0
		.amdhsa_exception_fp_ieee_underflow 0
		.amdhsa_exception_fp_ieee_inexact 0
		.amdhsa_exception_int_div_zero 0
	.end_amdhsa_kernel
	.section	.text._ZN12_GLOBAL__N_127rocblas_gemm_batched_kernelI19rocblas_complex_numIdELi16ELi16ELi32ELi32ELi8ELi32ELi8ELi8ELi32ELc67ELc78EKS2_S3_S2_EEvlllT_PT11_llS6_llS4_PT12_llPT13_lli,"axG",@progbits,_ZN12_GLOBAL__N_127rocblas_gemm_batched_kernelI19rocblas_complex_numIdELi16ELi16ELi32ELi32ELi8ELi32ELi8ELi8ELi32ELc67ELc78EKS2_S3_S2_EEvlllT_PT11_llS6_llS4_PT12_llPT13_lli,comdat
.Lfunc_end132:
	.size	_ZN12_GLOBAL__N_127rocblas_gemm_batched_kernelI19rocblas_complex_numIdELi16ELi16ELi32ELi32ELi8ELi32ELi8ELi8ELi32ELc67ELc78EKS2_S3_S2_EEvlllT_PT11_llS6_llS4_PT12_llPT13_lli, .Lfunc_end132-_ZN12_GLOBAL__N_127rocblas_gemm_batched_kernelI19rocblas_complex_numIdELi16ELi16ELi32ELi32ELi8ELi32ELi8ELi8ELi32ELc67ELc78EKS2_S3_S2_EEvlllT_PT11_llS6_llS4_PT12_llPT13_lli
                                        ; -- End function
	.set _ZN12_GLOBAL__N_127rocblas_gemm_batched_kernelI19rocblas_complex_numIdELi16ELi16ELi32ELi32ELi8ELi32ELi8ELi8ELi32ELc67ELc78EKS2_S3_S2_EEvlllT_PT11_llS6_llS4_PT12_llPT13_lli.num_vgpr, 162
	.set _ZN12_GLOBAL__N_127rocblas_gemm_batched_kernelI19rocblas_complex_numIdELi16ELi16ELi32ELi32ELi8ELi32ELi8ELi8ELi32ELc67ELc78EKS2_S3_S2_EEvlllT_PT11_llS6_llS4_PT12_llPT13_lli.num_agpr, 0
	.set _ZN12_GLOBAL__N_127rocblas_gemm_batched_kernelI19rocblas_complex_numIdELi16ELi16ELi32ELi32ELi8ELi32ELi8ELi8ELi32ELc67ELc78EKS2_S3_S2_EEvlllT_PT11_llS6_llS4_PT12_llPT13_lli.numbered_sgpr, 52
	.set _ZN12_GLOBAL__N_127rocblas_gemm_batched_kernelI19rocblas_complex_numIdELi16ELi16ELi32ELi32ELi8ELi32ELi8ELi8ELi32ELc67ELc78EKS2_S3_S2_EEvlllT_PT11_llS6_llS4_PT12_llPT13_lli.num_named_barrier, 0
	.set _ZN12_GLOBAL__N_127rocblas_gemm_batched_kernelI19rocblas_complex_numIdELi16ELi16ELi32ELi32ELi8ELi32ELi8ELi8ELi32ELc67ELc78EKS2_S3_S2_EEvlllT_PT11_llS6_llS4_PT12_llPT13_lli.private_seg_size, 0
	.set _ZN12_GLOBAL__N_127rocblas_gemm_batched_kernelI19rocblas_complex_numIdELi16ELi16ELi32ELi32ELi8ELi32ELi8ELi8ELi32ELc67ELc78EKS2_S3_S2_EEvlllT_PT11_llS6_llS4_PT12_llPT13_lli.uses_vcc, 1
	.set _ZN12_GLOBAL__N_127rocblas_gemm_batched_kernelI19rocblas_complex_numIdELi16ELi16ELi32ELi32ELi8ELi32ELi8ELi8ELi32ELc67ELc78EKS2_S3_S2_EEvlllT_PT11_llS6_llS4_PT12_llPT13_lli.uses_flat_scratch, 0
	.set _ZN12_GLOBAL__N_127rocblas_gemm_batched_kernelI19rocblas_complex_numIdELi16ELi16ELi32ELi32ELi8ELi32ELi8ELi8ELi32ELc67ELc78EKS2_S3_S2_EEvlllT_PT11_llS6_llS4_PT12_llPT13_lli.has_dyn_sized_stack, 0
	.set _ZN12_GLOBAL__N_127rocblas_gemm_batched_kernelI19rocblas_complex_numIdELi16ELi16ELi32ELi32ELi8ELi32ELi8ELi8ELi32ELc67ELc78EKS2_S3_S2_EEvlllT_PT11_llS6_llS4_PT12_llPT13_lli.has_recursion, 0
	.set _ZN12_GLOBAL__N_127rocblas_gemm_batched_kernelI19rocblas_complex_numIdELi16ELi16ELi32ELi32ELi8ELi32ELi8ELi8ELi32ELc67ELc78EKS2_S3_S2_EEvlllT_PT11_llS6_llS4_PT12_llPT13_lli.has_indirect_call, 0
	.section	.AMDGPU.csdata,"",@progbits
; Kernel info:
; codeLenInByte = 3596
; TotalNumSgprs: 54
; NumVgprs: 162
; ScratchSize: 0
; MemoryBound: 0
; FloatMode: 240
; IeeeMode: 1
; LDSByteSize: 8192 bytes/workgroup (compile time only)
; SGPRBlocks: 0
; VGPRBlocks: 20
; NumSGPRsForWavesPerEU: 54
; NumVGPRsForWavesPerEU: 162
; Occupancy: 5
; WaveLimiterHint : 1
; COMPUTE_PGM_RSRC2:SCRATCH_EN: 0
; COMPUTE_PGM_RSRC2:USER_SGPR: 6
; COMPUTE_PGM_RSRC2:TRAP_HANDLER: 0
; COMPUTE_PGM_RSRC2:TGID_X_EN: 1
; COMPUTE_PGM_RSRC2:TGID_Y_EN: 1
; COMPUTE_PGM_RSRC2:TGID_Z_EN: 1
; COMPUTE_PGM_RSRC2:TIDIG_COMP_CNT: 1
	.section	.text._ZN12_GLOBAL__N_127rocblas_gemm_batched_kernelI19rocblas_complex_numIdELi16ELi16ELi32ELi32ELi8ELi32ELi8ELi8ELi32ELc67ELc84EKS2_S3_S2_EEvlllT_PT11_llS6_llS4_PT12_llPT13_lli,"axG",@progbits,_ZN12_GLOBAL__N_127rocblas_gemm_batched_kernelI19rocblas_complex_numIdELi16ELi16ELi32ELi32ELi8ELi32ELi8ELi8ELi32ELc67ELc84EKS2_S3_S2_EEvlllT_PT11_llS6_llS4_PT12_llPT13_lli,comdat
	.globl	_ZN12_GLOBAL__N_127rocblas_gemm_batched_kernelI19rocblas_complex_numIdELi16ELi16ELi32ELi32ELi8ELi32ELi8ELi8ELi32ELc67ELc84EKS2_S3_S2_EEvlllT_PT11_llS6_llS4_PT12_llPT13_lli ; -- Begin function _ZN12_GLOBAL__N_127rocblas_gemm_batched_kernelI19rocblas_complex_numIdELi16ELi16ELi32ELi32ELi8ELi32ELi8ELi8ELi32ELc67ELc84EKS2_S3_S2_EEvlllT_PT11_llS6_llS4_PT12_llPT13_lli
	.p2align	8
	.type	_ZN12_GLOBAL__N_127rocblas_gemm_batched_kernelI19rocblas_complex_numIdELi16ELi16ELi32ELi32ELi8ELi32ELi8ELi8ELi32ELc67ELc84EKS2_S3_S2_EEvlllT_PT11_llS6_llS4_PT12_llPT13_lli,@function
_ZN12_GLOBAL__N_127rocblas_gemm_batched_kernelI19rocblas_complex_numIdELi16ELi16ELi32ELi32ELi8ELi32ELi8ELi8ELi32ELc67ELc84EKS2_S3_S2_EEvlllT_PT11_llS6_llS4_PT12_llPT13_lli: ; @_ZN12_GLOBAL__N_127rocblas_gemm_batched_kernelI19rocblas_complex_numIdELi16ELi16ELi32ELi32ELi8ELi32ELi8ELi8ELi32ELc67ELc84EKS2_S3_S2_EEvlllT_PT11_llS6_llS4_PT12_llPT13_lli
; %bb.0:
	s_clause 0x1
	s_load_dwordx16 s[12:27], s[4:5], 0x10
	s_load_dwordx16 s[36:51], s[4:5], 0x50
	s_mov_b32 s2, s7
	s_ashr_i32 s7, s6, 31
	s_ashr_i32 s3, s2, 31
	s_lshl_b64 s[0:1], s[6:7], 5
	s_lshl_b64 s[2:3], s[2:3], 5
	s_waitcnt lgkmcnt(0)
	v_cmp_lt_i64_e64 s9, s[12:13], 1
	s_and_b32 vcc_lo, exec_lo, s9
	s_cbranch_vccnz .LBB133_3
; %bb.1:
	v_lshl_add_u32 v6, v1, 4, v0
	v_and_b32_e32 v7, 7, v0
	s_mul_i32 s7, s23, s8
	s_mul_hi_u32 s9, s22, s8
	v_mov_b32_e32 v16, 0
	v_lshrrev_b32_e32 v8, 3, v6
	v_and_b32_e32 v9, 31, v6
	v_lshrrev_b32_e32 v12, 5, v6
	v_lshlrev_b32_e32 v13, 4, v7
	s_add_i32 s7, s9, s7
	v_add_co_u32 v2, s6, v8, s2
	v_add_co_ci_u32_e64 v3, null, 0, s3, s6
	v_add_co_u32 v4, s6, s0, v9
	v_add_co_ci_u32_e64 v5, null, s1, 0, s6
	v_mad_u64_u32 v[2:3], null, s26, v7, v[2:3]
	v_mul_lo_u32 v10, s21, v4
	v_mul_lo_u32 v11, s20, v5
	v_mad_u64_u32 v[4:5], null, s20, v4, 0
	s_mul_i32 s6, s22, s8
	v_mov_b32_e32 v14, 0
	s_lshl_b64 s[6:7], s[6:7], 4
	v_lshlrev_b32_e32 v22, 4, v0
	v_lshl_add_u32 v25, v1, 7, 0x1000
	v_mov_b32_e32 v17, 0
	v_add3_u32 v5, v5, v11, v10
	v_mad_u64_u32 v[6:7], null, s27, v7, v[3:4]
	v_lshl_or_b32 v7, v8, 7, v13
	v_lshlrev_b32_e32 v8, 4, v12
	v_lshlrev_b64 v[4:5], 4, v[4:5]
	v_lshlrev_b32_e32 v3, 4, v9
	v_mov_b32_e32 v10, 0
	v_add_nc_u32_e32 v24, 0x1000, v7
	v_mov_b32_e32 v11, 0
	v_mov_b32_e32 v15, 0
	v_add_co_u32 v4, vcc_lo, v4, s6
	v_add_co_ci_u32_e64 v5, null, s7, v5, vcc_lo
	v_lshl_or_b32 v23, v12, 9, v3
	v_add_co_u32 v4, vcc_lo, v4, v8
	v_mov_b32_e32 v3, v6
	v_add_co_ci_u32_e64 v5, null, 0, v5, vcc_lo
	s_mul_i32 s6, s37, s8
	s_mul_hi_u32 s7, s36, s8
	v_add_co_u32 v4, vcc_lo, s18, v4
	s_add_i32 s7, s7, s6
	s_mul_i32 s6, s36, s8
	v_lshlrev_b64 v[20:21], 4, v[2:3]
	v_add_co_ci_u32_e64 v5, null, s19, v5, vcc_lo
	s_lshl_b64 s[6:7], s[6:7], 4
	v_add_co_u32 v18, vcc_lo, v4, 8
	s_add_u32 s6, s24, s6
	v_add_co_ci_u32_e64 v19, null, 0, v5, vcc_lo
	s_addc_u32 s7, s25, s7
	v_add_co_u32 v20, vcc_lo, s6, v20
	v_mov_b32_e32 v4, 0
	v_mov_b32_e32 v2, 0
	;; [unrolled: 1-line block ×10, first 2 shown]
	v_add_co_ci_u32_e64 v21, null, s7, v21, vcc_lo
	s_lshl_b64 s[6:7], s[26:27], 7
	s_mov_b64 s[10:11], 0
.LBB133_2:                              ; =>This Inner Loop Header: Depth=1
	global_load_dwordx4 v[26:29], v[18:19], off offset:-8
	global_load_dwordx4 v[30:33], v[20:21], off
	s_add_u32 s10, s10, 8
	s_addc_u32 s11, s11, 0
	v_add_co_u32 v18, vcc_lo, 0x80, v18
	v_cmp_lt_i64_e64 s9, s[10:11], s[12:13]
	v_add_co_ci_u32_e64 v19, null, 0, v19, vcc_lo
	v_add_co_u32 v20, vcc_lo, v20, s6
	v_add_co_ci_u32_e64 v21, null, s7, v21, vcc_lo
	s_and_b32 vcc_lo, exec_lo, s9
	s_waitcnt vmcnt(1)
	v_xor_b32_e32 v29, 0x80000000, v29
	s_waitcnt vmcnt(0)
	ds_write2_b64 v24, v[30:31], v[32:33] offset1:1
	ds_write_b128 v23, v[26:29]
	s_waitcnt lgkmcnt(0)
	s_barrier
	buffer_gl0_inv
	ds_read_b128 v[26:29], v22
	ds_read_b128 v[30:33], v22 offset:256
	ds_read_b128 v[34:37], v25
	ds_read_b128 v[38:41], v25 offset:16
	ds_read_b128 v[42:45], v25 offset:2048
	;; [unrolled: 1-line block ×28, first 2 shown]
	s_waitcnt lgkmcnt(28)
	v_mul_f64 v[150:151], v[36:37], v[28:29]
	v_mul_f64 v[154:155], v[36:37], v[32:33]
	;; [unrolled: 1-line block ×4, first 2 shown]
	v_fma_f64 v[150:151], v[34:35], v[26:27], -v[150:151]
	v_fma_f64 v[34:35], v[34:35], v[30:31], -v[154:155]
	s_waitcnt lgkmcnt(26)
	v_mul_f64 v[154:155], v[44:45], v[28:29]
	v_mul_f64 v[28:29], v[42:43], v[28:29]
	v_fma_f64 v[152:153], v[36:37], v[26:27], v[152:153]
	v_fma_f64 v[36:37], v[36:37], v[30:31], v[156:157]
	v_add_f64 v[14:15], v[14:15], v[150:151]
	v_add_f64 v[10:11], v[10:11], v[34:35]
	v_fma_f64 v[154:155], v[42:43], v[26:27], -v[154:155]
	v_fma_f64 v[156:157], v[44:45], v[26:27], v[28:29]
	v_mul_f64 v[26:27], v[44:45], v[32:33]
	v_mul_f64 v[28:29], v[42:43], v[32:33]
	v_add_f64 v[16:17], v[152:153], v[16:17]
	v_add_f64 v[12:13], v[36:37], v[12:13]
	s_waitcnt lgkmcnt(16)
	v_mul_f64 v[34:35], v[64:65], v[84:85]
	v_mul_f64 v[36:37], v[62:63], v[84:85]
	s_waitcnt lgkmcnt(15)
	v_mul_f64 v[150:151], v[62:63], v[88:89]
	s_waitcnt lgkmcnt(12)
	v_mul_f64 v[152:153], v[98:99], v[96:97]
	v_add_f64 v[6:7], v[6:7], v[154:155]
	v_add_f64 v[8:9], v[156:157], v[8:9]
	v_fma_f64 v[32:33], v[42:43], v[30:31], -v[26:27]
	v_fma_f64 v[30:31], v[44:45], v[30:31], v[28:29]
	v_mul_f64 v[26:27], v[40:41], v[52:53]
	v_mul_f64 v[28:29], v[38:39], v[52:53]
	;; [unrolled: 1-line block ×4, first 2 shown]
	v_fma_f64 v[34:35], v[62:63], v[82:83], -v[34:35]
	v_fma_f64 v[36:37], v[64:65], v[82:83], v[36:37]
	v_add_f64 v[2:3], v[2:3], v[32:33]
	v_add_f64 v[4:5], v[30:31], v[4:5]
	v_fma_f64 v[158:159], v[38:39], v[50:51], -v[26:27]
	v_fma_f64 v[160:161], v[40:41], v[50:51], v[28:29]
	v_mul_f64 v[26:27], v[48:49], v[52:53]
	v_mul_f64 v[28:29], v[46:47], v[52:53]
	v_fma_f64 v[38:39], v[38:39], v[54:55], -v[42:43]
	v_fma_f64 v[40:41], v[40:41], v[54:55], v[44:45]
	v_mul_f64 v[52:53], v[58:59], v[72:73]
	v_mul_f64 v[30:31], v[80:81], v[84:85]
	;; [unrolled: 1-line block ×4, first 2 shown]
	v_add_f64 v[14:15], v[14:15], v[158:159]
	v_add_f64 v[16:17], v[160:161], v[16:17]
	v_fma_f64 v[42:43], v[46:47], v[50:51], -v[26:27]
	v_fma_f64 v[44:45], v[48:49], v[50:51], v[28:29]
	v_mul_f64 v[26:27], v[48:49], v[56:57]
	v_mul_f64 v[28:29], v[46:47], v[56:57]
	;; [unrolled: 1-line block ×3, first 2 shown]
	v_fma_f64 v[52:53], v[60:61], v[70:71], v[52:53]
	v_add_f64 v[10:11], v[10:11], v[38:39]
	v_add_f64 v[12:13], v[40:41], v[12:13]
	s_waitcnt lgkmcnt(10)
	v_mul_f64 v[38:39], v[108:109], v[92:93]
	v_mul_f64 v[40:41], v[106:107], v[92:93]
	v_fma_f64 v[30:31], v[78:79], v[82:83], -v[30:31]
	v_fma_f64 v[32:33], v[80:81], v[82:83], v[32:33]
	s_waitcnt lgkmcnt(8)
	v_mul_f64 v[82:83], v[112:113], v[116:117]
	v_add_f64 v[6:7], v[6:7], v[42:43]
	v_add_f64 v[8:9], v[44:45], v[8:9]
	v_fma_f64 v[46:47], v[46:47], v[54:55], -v[26:27]
	v_fma_f64 v[48:49], v[48:49], v[54:55], v[28:29]
	v_mul_f64 v[26:27], v[60:61], v[68:69]
	v_mul_f64 v[28:29], v[58:59], v[68:69]
	v_fma_f64 v[50:51], v[58:59], v[70:71], -v[50:51]
	v_mul_f64 v[42:43], v[108:109], v[96:97]
	v_mul_f64 v[44:45], v[106:107], v[96:97]
	v_add_f64 v[12:13], v[52:53], v[12:13]
	s_waitcnt lgkmcnt(7)
	v_mul_f64 v[52:53], v[110:111], v[120:121]
	v_fma_f64 v[38:39], v[106:107], v[90:91], -v[38:39]
	v_fma_f64 v[40:41], v[108:109], v[90:91], v[40:41]
	v_add_f64 v[2:3], v[2:3], v[46:47]
	v_add_f64 v[4:5], v[48:49], v[4:5]
	v_fma_f64 v[54:55], v[58:59], v[66:67], -v[26:27]
	v_fma_f64 v[56:57], v[60:61], v[66:67], v[28:29]
	v_mul_f64 v[26:27], v[76:77], v[68:69]
	v_mul_f64 v[28:29], v[74:75], v[68:69]
	;; [unrolled: 1-line block ×3, first 2 shown]
	v_add_f64 v[10:11], v[10:11], v[50:51]
	v_mul_f64 v[46:47], v[104:105], v[116:117]
	v_mul_f64 v[48:49], v[102:103], v[116:117]
	;; [unrolled: 1-line block ×3, first 2 shown]
	v_fma_f64 v[42:43], v[106:107], v[94:95], -v[42:43]
	v_fma_f64 v[44:45], v[108:109], v[94:95], v[44:45]
	v_fma_f64 v[52:53], v[112:113], v[118:119], v[52:53]
	v_add_f64 v[14:15], v[14:15], v[54:55]
	v_add_f64 v[16:17], v[56:57], v[16:17]
	v_fma_f64 v[58:59], v[74:75], v[66:67], -v[26:27]
	v_fma_f64 v[60:61], v[76:77], v[66:67], v[28:29]
	v_mul_f64 v[66:67], v[76:77], v[72:73]
	v_mul_f64 v[72:73], v[64:65], v[88:89]
	v_fma_f64 v[68:69], v[76:77], v[70:71], v[68:69]
	v_mul_f64 v[76:77], v[100:101], v[92:93]
	v_fma_f64 v[64:65], v[64:65], v[86:87], v[150:151]
	v_mul_f64 v[92:93], v[102:103], v[120:121]
	s_waitcnt lgkmcnt(4)
	v_mul_f64 v[54:55], v[132:133], v[124:125]
	v_mul_f64 v[56:57], v[130:131], v[124:125]
	v_fma_f64 v[46:47], v[102:103], v[114:115], -v[46:47]
	v_fma_f64 v[48:49], v[104:105], v[114:115], v[48:49]
	v_fma_f64 v[50:51], v[110:111], v[118:119], -v[50:51]
	ds_read_b128 v[26:29], v22 offset:3840
	s_waitcnt lgkmcnt(0)
	s_barrier
	buffer_gl0_inv
	v_add_f64 v[14:15], v[14:15], v[34:35]
	v_add_f64 v[16:17], v[36:37], v[16:17]
	;; [unrolled: 1-line block ×4, first 2 shown]
	v_fma_f64 v[66:67], v[74:75], v[70:71], -v[66:67]
	v_mul_f64 v[70:71], v[80:81], v[88:89]
	v_mul_f64 v[74:75], v[78:79], v[88:89]
	;; [unrolled: 1-line block ×3, first 2 shown]
	v_fma_f64 v[62:63], v[62:63], v[86:87], -v[72:73]
	v_add_f64 v[4:5], v[68:69], v[4:5]
	v_mul_f64 v[72:73], v[104:105], v[120:121]
	v_mul_f64 v[96:97], v[110:111], v[116:117]
	v_fma_f64 v[68:69], v[100:101], v[90:91], v[84:85]
	v_add_f64 v[12:13], v[64:65], v[12:13]
	v_mul_f64 v[58:59], v[132:133], v[128:129]
	v_mul_f64 v[60:61], v[130:131], v[128:129]
	;; [unrolled: 1-line block ×5, first 2 shown]
	v_fma_f64 v[54:55], v[130:131], v[122:123], -v[54:55]
	v_fma_f64 v[56:57], v[132:133], v[122:123], v[56:57]
	v_add_f64 v[6:7], v[6:7], v[30:31]
	v_add_f64 v[8:9], v[32:33], v[8:9]
	;; [unrolled: 1-line block ×3, first 2 shown]
	v_fma_f64 v[70:71], v[78:79], v[86:87], -v[70:71]
	v_fma_f64 v[74:75], v[80:81], v[86:87], v[74:75]
	v_fma_f64 v[66:67], v[98:99], v[90:91], -v[76:77]
	v_fma_f64 v[76:77], v[98:99], v[94:95], -v[88:89]
	v_fma_f64 v[78:79], v[100:101], v[94:95], v[152:153]
	v_add_f64 v[10:11], v[10:11], v[62:63]
	v_mul_f64 v[30:31], v[140:141], v[124:125]
	v_mul_f64 v[32:33], v[138:139], v[124:125]
	v_fma_f64 v[80:81], v[112:113], v[114:115], v[96:97]
	v_add_f64 v[16:17], v[68:69], v[16:17]
	v_mul_f64 v[62:63], v[136:137], v[148:149]
	v_fma_f64 v[58:59], v[130:131], v[126:127], -v[58:59]
	v_fma_f64 v[60:61], v[132:133], v[126:127], v[60:61]
	v_fma_f64 v[34:35], v[138:139], v[126:127], -v[34:35]
	v_fma_f64 v[36:37], v[140:141], v[126:127], v[36:37]
	v_add_f64 v[6:7], v[6:7], v[38:39]
	v_add_f64 v[8:9], v[40:41], v[8:9]
	v_mul_f64 v[38:39], v[136:137], v[28:29]
	v_add_f64 v[2:3], v[2:3], v[70:71]
	v_add_f64 v[4:5], v[74:75], v[4:5]
	v_fma_f64 v[70:71], v[102:103], v[118:119], -v[72:73]
	v_fma_f64 v[72:73], v[104:105], v[118:119], v[92:93]
	v_fma_f64 v[74:75], v[110:111], v[114:115], -v[82:83]
	v_add_f64 v[14:15], v[14:15], v[66:67]
	v_add_f64 v[10:11], v[10:11], v[76:77]
	;; [unrolled: 1-line block ×3, first 2 shown]
	v_mul_f64 v[40:41], v[134:135], v[28:29]
	v_mul_f64 v[66:67], v[144:145], v[28:29]
	;; [unrolled: 1-line block ×3, first 2 shown]
	v_fma_f64 v[30:31], v[138:139], v[122:123], -v[30:31]
	v_fma_f64 v[32:33], v[140:141], v[122:123], v[32:33]
	v_add_f64 v[16:17], v[48:49], v[16:17]
	v_fma_f64 v[48:49], v[136:137], v[146:147], v[64:65]
	v_add_f64 v[8:9], v[80:81], v[8:9]
	v_fma_f64 v[38:39], v[134:135], v[26:27], -v[38:39]
	v_add_f64 v[2:3], v[2:3], v[42:43]
	v_add_f64 v[4:5], v[44:45], v[4:5]
	v_mul_f64 v[42:43], v[144:145], v[148:149]
	v_mul_f64 v[44:45], v[142:143], v[148:149]
	v_add_f64 v[6:7], v[6:7], v[74:75]
	v_add_f64 v[14:15], v[14:15], v[46:47]
	;; [unrolled: 1-line block ×4, first 2 shown]
	v_fma_f64 v[46:47], v[134:135], v[146:147], -v[62:63]
	v_fma_f64 v[40:41], v[136:137], v[26:27], v[40:41]
	v_add_f64 v[16:17], v[56:57], v[16:17]
	v_add_f64 v[8:9], v[32:33], v[8:9]
	;; [unrolled: 1-line block ×4, first 2 shown]
	v_fma_f64 v[42:43], v[142:143], v[146:147], -v[42:43]
	v_fma_f64 v[44:45], v[144:145], v[146:147], v[44:45]
	v_fma_f64 v[50:51], v[142:143], v[26:27], -v[66:67]
	v_fma_f64 v[26:27], v[144:145], v[26:27], v[28:29]
	v_add_f64 v[14:15], v[14:15], v[54:55]
	v_add_f64 v[10:11], v[10:11], v[58:59]
	v_add_f64 v[12:13], v[60:61], v[12:13]
	v_add_f64 v[6:7], v[6:7], v[30:31]
	v_add_f64 v[16:17], v[48:49], v[16:17]
	v_add_f64 v[2:3], v[2:3], v[34:35]
	v_add_f64 v[4:5], v[36:37], v[4:5]
	v_add_f64 v[8:9], v[44:45], v[8:9]
	v_add_f64 v[14:15], v[14:15], v[46:47]
	v_add_f64 v[10:11], v[10:11], v[38:39]
	v_add_f64 v[12:13], v[40:41], v[12:13]
	v_add_f64 v[6:7], v[6:7], v[42:43]
	v_add_f64 v[2:3], v[2:3], v[50:51]
	v_add_f64 v[4:5], v[26:27], v[4:5]
	s_cbranch_vccnz .LBB133_2
	s_branch .LBB133_4
.LBB133_3:
	v_mov_b32_e32 v14, 0
	v_mov_b32_e32 v16, 0
	;; [unrolled: 1-line block ×16, first 2 shown]
.LBB133_4:
	s_load_dwordx2 s[4:5], s[4:5], 0x90
	v_cmp_neq_f64_e64 s6, s[38:39], 0
	v_cmp_neq_f64_e64 s7, s[40:41], 0
	v_add_co_u32 v22, s2, s2, v1
	v_add_co_u32 v0, s0, s0, v0
	v_add_co_ci_u32_e64 v23, null, s3, 0, s2
	v_add_co_ci_u32_e64 v1, null, s1, 0, s0
	s_waitcnt lgkmcnt(0)
	s_mul_i32 s5, s5, s8
	s_mul_hi_u32 s9, s4, s8
	s_mul_i32 s4, s4, s8
	s_add_i32 s5, s9, s5
	s_lshl_b64 s[4:5], s[4:5], 4
	s_add_u32 s2, s48, s4
	s_addc_u32 s3, s49, s5
	s_or_b32 s4, s6, s7
	s_and_b32 vcc_lo, exec_lo, s4
	s_cbranch_vccnz .LBB133_6
; %bb.5:
	v_mul_f64 v[20:21], s[16:17], v[16:17]
	v_mul_f64 v[26:27], s[14:15], v[16:17]
	;; [unrolled: 1-line block ×4, first 2 shown]
	v_mul_lo_u32 v24, v23, s50
	v_mul_lo_u32 v25, v22, s51
	v_mad_u64_u32 v[18:19], null, v22, s50, 0
	v_mul_f64 v[28:29], s[16:17], v[12:13]
	v_mul_f64 v[30:31], s[14:15], v[12:13]
	;; [unrolled: 1-line block ×4, first 2 shown]
	s_lshl_b64 s[0:1], s[50:51], 8
	v_lshlrev_b64 v[40:41], 4, v[0:1]
	v_add3_u32 v19, v19, v25, v24
	v_lshlrev_b64 v[18:19], 4, v[18:19]
	v_fma_f64 v[24:25], s[14:15], v[14:15], -v[20:21]
	v_fma_f64 v[26:27], s[16:17], v[14:15], v[26:27]
	v_fma_f64 v[36:37], s[14:15], v[2:3], -v[36:37]
	v_add_co_u32 v42, vcc_lo, s2, v18
	v_add_co_ci_u32_e64 v43, null, s3, v19, vcc_lo
	v_fma_f64 v[18:19], s[16:17], v[2:3], v[38:39]
	v_fma_f64 v[28:29], s[14:15], v[10:11], -v[28:29]
	v_fma_f64 v[30:31], s[16:17], v[10:11], v[30:31]
	v_fma_f64 v[32:33], s[14:15], v[6:7], -v[32:33]
	v_fma_f64 v[34:35], s[16:17], v[6:7], v[34:35]
	v_add_co_u32 v20, vcc_lo, v42, s0
	v_add_co_ci_u32_e64 v21, null, s1, v43, vcc_lo
	v_add_co_u32 v38, vcc_lo, v20, v40
	v_add_co_ci_u32_e64 v39, null, v21, v41, vcc_lo
	v_add_co_u32 v40, vcc_lo, v42, v40
	v_add_co_ci_u32_e64 v41, null, v43, v41, vcc_lo
	v_add_co_u32 v20, vcc_lo, 0x100, v38
	v_add_co_ci_u32_e64 v21, null, 0, v39, vcc_lo
	global_store_dwordx4 v[40:41], v[24:27], off
	global_store_dwordx4 v[40:41], v[28:31], off offset:256
	global_store_dwordx4 v[38:39], v[32:35], off
	global_store_dwordx2 v[38:39], v[36:37], off offset:256
	s_cbranch_execz .LBB133_7
	s_branch .LBB133_8
.LBB133_6:
                                        ; implicit-def: $vgpr18_vgpr19
                                        ; implicit-def: $vgpr20_vgpr21
.LBB133_7:
	v_mul_lo_u32 v20, v23, s44
	v_mul_lo_u32 v21, v22, s45
	v_mad_u64_u32 v[18:19], null, v22, s44, 0
	s_mul_i32 s1, s47, s8
	s_mul_hi_u32 s4, s46, s8
	s_mul_i32 s0, s46, s8
	s_add_i32 s1, s4, s1
	v_lshlrev_b64 v[0:1], 4, v[0:1]
	s_lshl_b64 s[0:1], s[0:1], 4
	v_add3_u32 v19, v19, v21, v20
	s_add_u32 s0, s42, s0
	s_addc_u32 s1, s43, s1
	v_mul_f64 v[26:27], s[16:17], v[16:17]
	v_mul_f64 v[16:17], s[14:15], v[16:17]
	v_lshlrev_b64 v[18:19], 4, v[18:19]
	v_mul_lo_u32 v23, v23, s50
	v_add_co_u32 v30, vcc_lo, s0, v18
	v_add_co_ci_u32_e64 v31, null, s1, v19, vcc_lo
	s_lshl_b64 s[0:1], s[44:45], 8
	v_add_co_u32 v24, vcc_lo, v30, v0
	v_add_co_ci_u32_e64 v25, null, v31, v1, vcc_lo
	global_load_dwordx4 v[18:21], v[24:25], off
	v_fma_f64 v[26:27], s[14:15], v[14:15], -v[26:27]
	v_fma_f64 v[16:17], s[16:17], v[14:15], v[16:17]
	s_waitcnt vmcnt(0)
	v_mul_f64 v[28:29], s[40:41], v[20:21]
	v_mul_f64 v[20:21], s[38:39], v[20:21]
	v_fma_f64 v[14:15], s[38:39], v[18:19], -v[28:29]
	v_fma_f64 v[18:19], s[40:41], v[18:19], v[20:21]
	v_mul_lo_u32 v28, v22, s51
	v_mad_u64_u32 v[20:21], null, v22, s50, 0
	v_add3_u32 v21, v21, v28, v23
	v_add_f64 v[14:15], v[26:27], v[14:15]
	v_add_f64 v[16:17], v[16:17], v[18:19]
	v_lshlrev_b64 v[18:19], 4, v[20:21]
	v_mul_f64 v[20:21], s[16:17], v[12:13]
	v_mul_f64 v[12:13], s[14:15], v[12:13]
	v_add_co_u32 v26, vcc_lo, s2, v18
	v_add_co_ci_u32_e64 v27, null, s3, v19, vcc_lo
	v_add_co_u32 v18, vcc_lo, v26, v0
	v_add_co_ci_u32_e64 v19, null, v27, v1, vcc_lo
	global_store_dwordx4 v[18:19], v[14:17], off
	global_load_dwordx4 v[14:17], v[24:25], off offset:256
	v_fma_f64 v[20:21], s[14:15], v[10:11], -v[20:21]
	v_fma_f64 v[12:13], s[16:17], v[10:11], v[12:13]
	s_waitcnt vmcnt(0)
	v_mul_f64 v[22:23], s[40:41], v[16:17]
	v_mul_f64 v[16:17], s[38:39], v[16:17]
	v_fma_f64 v[10:11], s[38:39], v[14:15], -v[22:23]
	v_fma_f64 v[14:15], s[40:41], v[14:15], v[16:17]
	v_mul_f64 v[16:17], s[16:17], v[8:9]
	v_mul_f64 v[8:9], s[14:15], v[8:9]
	v_add_f64 v[10:11], v[20:21], v[10:11]
	v_add_f64 v[12:13], v[12:13], v[14:15]
	v_add_co_u32 v14, vcc_lo, v30, s0
	v_add_co_ci_u32_e64 v15, null, s1, v31, vcc_lo
	v_fma_f64 v[16:17], s[14:15], v[6:7], -v[16:17]
	v_add_co_u32 v14, vcc_lo, v14, v0
	v_add_co_ci_u32_e64 v15, null, v15, v1, vcc_lo
	v_fma_f64 v[8:9], s[16:17], v[6:7], v[8:9]
	s_lshl_b64 s[0:1], s[50:51], 8
	global_store_dwordx4 v[18:19], v[10:13], off offset:256
	global_load_dwordx4 v[10:13], v[14:15], off
	s_waitcnt vmcnt(0)
	v_mul_f64 v[18:19], s[40:41], v[12:13]
	v_mul_f64 v[12:13], s[38:39], v[12:13]
	v_fma_f64 v[6:7], s[38:39], v[10:11], -v[18:19]
	v_fma_f64 v[10:11], s[40:41], v[10:11], v[12:13]
	v_add_f64 v[6:7], v[16:17], v[6:7]
	v_add_f64 v[8:9], v[8:9], v[10:11]
	v_add_co_u32 v10, vcc_lo, v26, s0
	v_add_co_ci_u32_e64 v11, null, s1, v27, vcc_lo
	v_add_co_u32 v0, vcc_lo, v10, v0
	v_add_co_ci_u32_e64 v1, null, v11, v1, vcc_lo
	v_mul_f64 v[10:11], s[16:17], v[4:5]
	v_mul_f64 v[4:5], s[14:15], v[4:5]
	v_add_co_u32 v20, vcc_lo, 0x100, v0
	v_add_co_ci_u32_e64 v21, null, 0, v1, vcc_lo
	global_store_dwordx4 v[0:1], v[6:9], off
	global_load_dwordx4 v[6:9], v[14:15], off offset:256
	v_fma_f64 v[10:11], s[14:15], v[2:3], -v[10:11]
	v_fma_f64 v[2:3], s[16:17], v[2:3], v[4:5]
	s_waitcnt vmcnt(0)
	v_mul_f64 v[12:13], s[40:41], v[8:9]
	v_mul_f64 v[8:9], s[38:39], v[8:9]
	v_fma_f64 v[4:5], s[38:39], v[6:7], -v[12:13]
	v_fma_f64 v[6:7], s[40:41], v[6:7], v[8:9]
	v_add_f64 v[4:5], v[10:11], v[4:5]
	v_add_f64 v[18:19], v[2:3], v[6:7]
	global_store_dwordx2 v[0:1], v[4:5], off offset:256
.LBB133_8:
	global_store_dwordx2 v[20:21], v[18:19], off offset:8
	s_endpgm
	.section	.rodata,"a",@progbits
	.p2align	6, 0x0
	.amdhsa_kernel _ZN12_GLOBAL__N_127rocblas_gemm_batched_kernelI19rocblas_complex_numIdELi16ELi16ELi32ELi32ELi8ELi32ELi8ELi8ELi32ELc67ELc84EKS2_S3_S2_EEvlllT_PT11_llS6_llS4_PT12_llPT13_lli
		.amdhsa_group_segment_fixed_size 8192
		.amdhsa_private_segment_fixed_size 0
		.amdhsa_kernarg_size 156
		.amdhsa_user_sgpr_count 6
		.amdhsa_user_sgpr_private_segment_buffer 1
		.amdhsa_user_sgpr_dispatch_ptr 0
		.amdhsa_user_sgpr_queue_ptr 0
		.amdhsa_user_sgpr_kernarg_segment_ptr 1
		.amdhsa_user_sgpr_dispatch_id 0
		.amdhsa_user_sgpr_flat_scratch_init 0
		.amdhsa_user_sgpr_private_segment_size 0
		.amdhsa_wavefront_size32 1
		.amdhsa_uses_dynamic_stack 0
		.amdhsa_system_sgpr_private_segment_wavefront_offset 0
		.amdhsa_system_sgpr_workgroup_id_x 1
		.amdhsa_system_sgpr_workgroup_id_y 1
		.amdhsa_system_sgpr_workgroup_id_z 1
		.amdhsa_system_sgpr_workgroup_info 0
		.amdhsa_system_vgpr_workitem_id 1
		.amdhsa_next_free_vgpr 162
		.amdhsa_next_free_sgpr 52
		.amdhsa_reserve_vcc 1
		.amdhsa_reserve_flat_scratch 0
		.amdhsa_float_round_mode_32 0
		.amdhsa_float_round_mode_16_64 0
		.amdhsa_float_denorm_mode_32 3
		.amdhsa_float_denorm_mode_16_64 3
		.amdhsa_dx10_clamp 1
		.amdhsa_ieee_mode 1
		.amdhsa_fp16_overflow 0
		.amdhsa_workgroup_processor_mode 1
		.amdhsa_memory_ordered 1
		.amdhsa_forward_progress 1
		.amdhsa_shared_vgpr_count 0
		.amdhsa_exception_fp_ieee_invalid_op 0
		.amdhsa_exception_fp_denorm_src 0
		.amdhsa_exception_fp_ieee_div_zero 0
		.amdhsa_exception_fp_ieee_overflow 0
		.amdhsa_exception_fp_ieee_underflow 0
		.amdhsa_exception_fp_ieee_inexact 0
		.amdhsa_exception_int_div_zero 0
	.end_amdhsa_kernel
	.section	.text._ZN12_GLOBAL__N_127rocblas_gemm_batched_kernelI19rocblas_complex_numIdELi16ELi16ELi32ELi32ELi8ELi32ELi8ELi8ELi32ELc67ELc84EKS2_S3_S2_EEvlllT_PT11_llS6_llS4_PT12_llPT13_lli,"axG",@progbits,_ZN12_GLOBAL__N_127rocblas_gemm_batched_kernelI19rocblas_complex_numIdELi16ELi16ELi32ELi32ELi8ELi32ELi8ELi8ELi32ELc67ELc84EKS2_S3_S2_EEvlllT_PT11_llS6_llS4_PT12_llPT13_lli,comdat
.Lfunc_end133:
	.size	_ZN12_GLOBAL__N_127rocblas_gemm_batched_kernelI19rocblas_complex_numIdELi16ELi16ELi32ELi32ELi8ELi32ELi8ELi8ELi32ELc67ELc84EKS2_S3_S2_EEvlllT_PT11_llS6_llS4_PT12_llPT13_lli, .Lfunc_end133-_ZN12_GLOBAL__N_127rocblas_gemm_batched_kernelI19rocblas_complex_numIdELi16ELi16ELi32ELi32ELi8ELi32ELi8ELi8ELi32ELc67ELc84EKS2_S3_S2_EEvlllT_PT11_llS6_llS4_PT12_llPT13_lli
                                        ; -- End function
	.set _ZN12_GLOBAL__N_127rocblas_gemm_batched_kernelI19rocblas_complex_numIdELi16ELi16ELi32ELi32ELi8ELi32ELi8ELi8ELi32ELc67ELc84EKS2_S3_S2_EEvlllT_PT11_llS6_llS4_PT12_llPT13_lli.num_vgpr, 162
	.set _ZN12_GLOBAL__N_127rocblas_gemm_batched_kernelI19rocblas_complex_numIdELi16ELi16ELi32ELi32ELi8ELi32ELi8ELi8ELi32ELc67ELc84EKS2_S3_S2_EEvlllT_PT11_llS6_llS4_PT12_llPT13_lli.num_agpr, 0
	.set _ZN12_GLOBAL__N_127rocblas_gemm_batched_kernelI19rocblas_complex_numIdELi16ELi16ELi32ELi32ELi8ELi32ELi8ELi8ELi32ELc67ELc84EKS2_S3_S2_EEvlllT_PT11_llS6_llS4_PT12_llPT13_lli.numbered_sgpr, 52
	.set _ZN12_GLOBAL__N_127rocblas_gemm_batched_kernelI19rocblas_complex_numIdELi16ELi16ELi32ELi32ELi8ELi32ELi8ELi8ELi32ELc67ELc84EKS2_S3_S2_EEvlllT_PT11_llS6_llS4_PT12_llPT13_lli.num_named_barrier, 0
	.set _ZN12_GLOBAL__N_127rocblas_gemm_batched_kernelI19rocblas_complex_numIdELi16ELi16ELi32ELi32ELi8ELi32ELi8ELi8ELi32ELc67ELc84EKS2_S3_S2_EEvlllT_PT11_llS6_llS4_PT12_llPT13_lli.private_seg_size, 0
	.set _ZN12_GLOBAL__N_127rocblas_gemm_batched_kernelI19rocblas_complex_numIdELi16ELi16ELi32ELi32ELi8ELi32ELi8ELi8ELi32ELc67ELc84EKS2_S3_S2_EEvlllT_PT11_llS6_llS4_PT12_llPT13_lli.uses_vcc, 1
	.set _ZN12_GLOBAL__N_127rocblas_gemm_batched_kernelI19rocblas_complex_numIdELi16ELi16ELi32ELi32ELi8ELi32ELi8ELi8ELi32ELc67ELc84EKS2_S3_S2_EEvlllT_PT11_llS6_llS4_PT12_llPT13_lli.uses_flat_scratch, 0
	.set _ZN12_GLOBAL__N_127rocblas_gemm_batched_kernelI19rocblas_complex_numIdELi16ELi16ELi32ELi32ELi8ELi32ELi8ELi8ELi32ELc67ELc84EKS2_S3_S2_EEvlllT_PT11_llS6_llS4_PT12_llPT13_lli.has_dyn_sized_stack, 0
	.set _ZN12_GLOBAL__N_127rocblas_gemm_batched_kernelI19rocblas_complex_numIdELi16ELi16ELi32ELi32ELi8ELi32ELi8ELi8ELi32ELc67ELc84EKS2_S3_S2_EEvlllT_PT11_llS6_llS4_PT12_llPT13_lli.has_recursion, 0
	.set _ZN12_GLOBAL__N_127rocblas_gemm_batched_kernelI19rocblas_complex_numIdELi16ELi16ELi32ELi32ELi8ELi32ELi8ELi8ELi32ELc67ELc84EKS2_S3_S2_EEvlllT_PT11_llS6_llS4_PT12_llPT13_lli.has_indirect_call, 0
	.section	.AMDGPU.csdata,"",@progbits
; Kernel info:
; codeLenInByte = 3560
; TotalNumSgprs: 54
; NumVgprs: 162
; ScratchSize: 0
; MemoryBound: 0
; FloatMode: 240
; IeeeMode: 1
; LDSByteSize: 8192 bytes/workgroup (compile time only)
; SGPRBlocks: 0
; VGPRBlocks: 20
; NumSGPRsForWavesPerEU: 54
; NumVGPRsForWavesPerEU: 162
; Occupancy: 5
; WaveLimiterHint : 1
; COMPUTE_PGM_RSRC2:SCRATCH_EN: 0
; COMPUTE_PGM_RSRC2:USER_SGPR: 6
; COMPUTE_PGM_RSRC2:TRAP_HANDLER: 0
; COMPUTE_PGM_RSRC2:TGID_X_EN: 1
; COMPUTE_PGM_RSRC2:TGID_Y_EN: 1
; COMPUTE_PGM_RSRC2:TGID_Z_EN: 1
; COMPUTE_PGM_RSRC2:TIDIG_COMP_CNT: 1
	.section	.text._ZN12_GLOBAL__N_127rocblas_gemm_batched_kernelI19rocblas_complex_numIdELi16ELi16ELi32ELi32ELi8ELi32ELi8ELi8ELi32ELc78ELc67EKS2_S3_S2_EEvlllT_PT11_llS6_llS4_PT12_llPT13_lli,"axG",@progbits,_ZN12_GLOBAL__N_127rocblas_gemm_batched_kernelI19rocblas_complex_numIdELi16ELi16ELi32ELi32ELi8ELi32ELi8ELi8ELi32ELc78ELc67EKS2_S3_S2_EEvlllT_PT11_llS6_llS4_PT12_llPT13_lli,comdat
	.globl	_ZN12_GLOBAL__N_127rocblas_gemm_batched_kernelI19rocblas_complex_numIdELi16ELi16ELi32ELi32ELi8ELi32ELi8ELi8ELi32ELc78ELc67EKS2_S3_S2_EEvlllT_PT11_llS6_llS4_PT12_llPT13_lli ; -- Begin function _ZN12_GLOBAL__N_127rocblas_gemm_batched_kernelI19rocblas_complex_numIdELi16ELi16ELi32ELi32ELi8ELi32ELi8ELi8ELi32ELc78ELc67EKS2_S3_S2_EEvlllT_PT11_llS6_llS4_PT12_llPT13_lli
	.p2align	8
	.type	_ZN12_GLOBAL__N_127rocblas_gemm_batched_kernelI19rocblas_complex_numIdELi16ELi16ELi32ELi32ELi8ELi32ELi8ELi8ELi32ELc78ELc67EKS2_S3_S2_EEvlllT_PT11_llS6_llS4_PT12_llPT13_lli,@function
_ZN12_GLOBAL__N_127rocblas_gemm_batched_kernelI19rocblas_complex_numIdELi16ELi16ELi32ELi32ELi8ELi32ELi8ELi8ELi32ELc78ELc67EKS2_S3_S2_EEvlllT_PT11_llS6_llS4_PT12_llPT13_lli: ; @_ZN12_GLOBAL__N_127rocblas_gemm_batched_kernelI19rocblas_complex_numIdELi16ELi16ELi32ELi32ELi8ELi32ELi8ELi8ELi32ELc78ELc67EKS2_S3_S2_EEvlllT_PT11_llS6_llS4_PT12_llPT13_lli
; %bb.0:
	s_clause 0x1
	s_load_dwordx16 s[12:27], s[4:5], 0x10
	s_load_dwordx16 s[36:51], s[4:5], 0x50
	s_mov_b32 s2, s7
	s_ashr_i32 s7, s6, 31
	s_ashr_i32 s3, s2, 31
	s_lshl_b64 s[0:1], s[6:7], 5
	s_lshl_b64 s[2:3], s[2:3], 5
	s_waitcnt lgkmcnt(0)
	v_cmp_lt_i64_e64 s9, s[12:13], 1
	s_and_b32 vcc_lo, exec_lo, s9
	s_cbranch_vccnz .LBB134_3
; %bb.1:
	v_lshl_add_u32 v8, v1, 4, v0
	v_and_b32_e32 v9, 7, v0
	s_mul_i32 s7, s23, s8
	s_mul_hi_u32 s9, s22, s8
	s_mul_i32 s10, s37, s8
	v_lshrrev_b32_e32 v11, 3, v8
	v_lshrrev_b32_e32 v10, 5, v8
	s_add_i32 s7, s9, s7
	s_mul_hi_u32 s11, s36, s8
	v_mov_b32_e32 v12, 0
	v_add_co_u32 v4, s6, v11, s2
	v_add_co_ci_u32_e64 v5, null, 0, s3, s6
	v_mad_u64_u32 v[2:3], null, s20, v10, s[0:1]
	s_mul_i32 s6, s22, s8
	v_mad_u64_u32 v[4:5], null, s26, v9, v[4:5]
	s_lshl_b64 s[6:7], s[6:7], 4
	v_mov_b32_e32 v16, 0
	s_add_u32 s6, s18, s6
	s_addc_u32 s7, s19, s7
	v_mov_b32_e32 v14, 0
	v_lshlrev_b32_e32 v22, 4, v0
	v_mad_u64_u32 v[6:7], null, s21, v10, v[3:4]
	v_and_b32_e32 v7, 31, v8
	v_mov_b32_e32 v3, v5
	v_lshlrev_b32_e32 v8, 4, v9
	v_lshl_add_u32 v23, v1, 7, 0x1000
	v_mov_b32_e32 v13, 0
	v_add_co_u32 v5, vcc_lo, v2, v7
	v_add_co_ci_u32_e64 v6, null, 0, v6, vcc_lo
	v_mad_u64_u32 v[2:3], null, s27, v9, v[3:4]
	v_lshlrev_b32_e32 v3, 4, v7
	v_lshlrev_b64 v[6:7], 4, v[5:6]
	v_lshl_or_b32 v8, v11, 7, v8
	v_mov_b32_e32 v17, 0
	v_mov_b32_e32 v15, 0
	v_lshl_or_b32 v24, v10, 9, v3
	v_mov_b32_e32 v5, v2
	v_add_co_u32 v18, vcc_lo, s6, v6
	v_add_co_ci_u32_e64 v19, null, s7, v7, vcc_lo
	s_add_i32 s7, s11, s10
	s_mul_i32 s6, s36, s8
	v_lshlrev_b64 v[2:3], 4, v[4:5]
	s_lshl_b64 s[10:11], s[6:7], 4
	s_lshl_b64 s[6:7], s[20:21], 7
	s_add_u32 s9, s24, s10
	s_addc_u32 s10, s25, s11
	v_add_nc_u32_e32 v25, 0x1000, v8
	v_add_co_u32 v20, vcc_lo, s9, v2
	v_add_co_ci_u32_e64 v21, null, s10, v3, vcc_lo
	v_mov_b32_e32 v4, 0
	v_add_co_u32 v20, vcc_lo, v20, 8
	v_mov_b32_e32 v2, 0
	v_mov_b32_e32 v8, 0
	;; [unrolled: 1-line block ×9, first 2 shown]
	v_add_co_ci_u32_e64 v21, null, 0, v21, vcc_lo
	s_lshl_b64 s[10:11], s[26:27], 7
	s_mov_b64 s[18:19], 0
.LBB134_2:                              ; =>This Inner Loop Header: Depth=1
	global_load_dwordx4 v[26:29], v[20:21], off offset:-8
	global_load_dwordx4 v[30:33], v[18:19], off
	s_add_u32 s18, s18, 8
	s_addc_u32 s19, s19, 0
	v_add_co_u32 v18, vcc_lo, v18, s6
	v_cmp_lt_i64_e64 s9, s[18:19], s[12:13]
	v_add_co_ci_u32_e64 v19, null, s7, v19, vcc_lo
	v_add_co_u32 v20, vcc_lo, v20, s10
	v_add_co_ci_u32_e64 v21, null, s11, v21, vcc_lo
	s_and_b32 vcc_lo, exec_lo, s9
	s_waitcnt vmcnt(1)
	v_xor_b32_e32 v29, 0x80000000, v29
	s_waitcnt vmcnt(0)
	ds_write2_b64 v24, v[30:31], v[32:33] offset1:1
	ds_write_b128 v25, v[26:29]
	s_waitcnt lgkmcnt(0)
	s_barrier
	buffer_gl0_inv
	ds_read_b128 v[26:29], v22
	ds_read_b128 v[30:33], v22 offset:256
	ds_read_b128 v[34:37], v23
	ds_read_b128 v[38:41], v23 offset:16
	ds_read_b128 v[42:45], v23 offset:2048
	;; [unrolled: 1-line block ×28, first 2 shown]
	s_waitcnt lgkmcnt(28)
	v_mul_f64 v[150:151], v[36:37], v[28:29]
	v_mul_f64 v[154:155], v[36:37], v[32:33]
	;; [unrolled: 1-line block ×4, first 2 shown]
	v_fma_f64 v[150:151], v[34:35], v[26:27], -v[150:151]
	v_fma_f64 v[34:35], v[34:35], v[30:31], -v[154:155]
	s_waitcnt lgkmcnt(26)
	v_mul_f64 v[154:155], v[44:45], v[28:29]
	v_mul_f64 v[28:29], v[42:43], v[28:29]
	v_fma_f64 v[152:153], v[36:37], v[26:27], v[152:153]
	v_fma_f64 v[36:37], v[36:37], v[30:31], v[156:157]
	v_add_f64 v[14:15], v[14:15], v[150:151]
	v_add_f64 v[10:11], v[10:11], v[34:35]
	v_fma_f64 v[154:155], v[42:43], v[26:27], -v[154:155]
	v_fma_f64 v[156:157], v[44:45], v[26:27], v[28:29]
	v_mul_f64 v[26:27], v[44:45], v[32:33]
	v_mul_f64 v[28:29], v[42:43], v[32:33]
	v_add_f64 v[16:17], v[152:153], v[16:17]
	v_add_f64 v[12:13], v[36:37], v[12:13]
	s_waitcnt lgkmcnt(16)
	v_mul_f64 v[34:35], v[64:65], v[84:85]
	v_mul_f64 v[36:37], v[62:63], v[84:85]
	s_waitcnt lgkmcnt(15)
	v_mul_f64 v[150:151], v[62:63], v[88:89]
	s_waitcnt lgkmcnt(12)
	v_mul_f64 v[152:153], v[98:99], v[96:97]
	v_add_f64 v[6:7], v[6:7], v[154:155]
	v_add_f64 v[8:9], v[156:157], v[8:9]
	v_fma_f64 v[32:33], v[42:43], v[30:31], -v[26:27]
	v_fma_f64 v[30:31], v[44:45], v[30:31], v[28:29]
	v_mul_f64 v[26:27], v[40:41], v[52:53]
	v_mul_f64 v[28:29], v[38:39], v[52:53]
	;; [unrolled: 1-line block ×4, first 2 shown]
	v_fma_f64 v[34:35], v[62:63], v[82:83], -v[34:35]
	v_fma_f64 v[36:37], v[64:65], v[82:83], v[36:37]
	v_add_f64 v[2:3], v[2:3], v[32:33]
	v_add_f64 v[4:5], v[30:31], v[4:5]
	v_fma_f64 v[158:159], v[38:39], v[50:51], -v[26:27]
	v_fma_f64 v[160:161], v[40:41], v[50:51], v[28:29]
	v_mul_f64 v[26:27], v[48:49], v[52:53]
	v_mul_f64 v[28:29], v[46:47], v[52:53]
	v_fma_f64 v[38:39], v[38:39], v[54:55], -v[42:43]
	v_fma_f64 v[40:41], v[40:41], v[54:55], v[44:45]
	v_mul_f64 v[52:53], v[58:59], v[72:73]
	v_mul_f64 v[30:31], v[80:81], v[84:85]
	;; [unrolled: 1-line block ×4, first 2 shown]
	v_add_f64 v[14:15], v[14:15], v[158:159]
	v_add_f64 v[16:17], v[160:161], v[16:17]
	v_fma_f64 v[42:43], v[46:47], v[50:51], -v[26:27]
	v_fma_f64 v[44:45], v[48:49], v[50:51], v[28:29]
	v_mul_f64 v[26:27], v[48:49], v[56:57]
	v_mul_f64 v[28:29], v[46:47], v[56:57]
	;; [unrolled: 1-line block ×3, first 2 shown]
	v_fma_f64 v[52:53], v[60:61], v[70:71], v[52:53]
	v_add_f64 v[10:11], v[10:11], v[38:39]
	v_add_f64 v[12:13], v[40:41], v[12:13]
	s_waitcnt lgkmcnt(10)
	v_mul_f64 v[38:39], v[108:109], v[92:93]
	v_mul_f64 v[40:41], v[106:107], v[92:93]
	v_fma_f64 v[30:31], v[78:79], v[82:83], -v[30:31]
	v_fma_f64 v[32:33], v[80:81], v[82:83], v[32:33]
	s_waitcnt lgkmcnt(8)
	v_mul_f64 v[82:83], v[112:113], v[116:117]
	v_add_f64 v[6:7], v[6:7], v[42:43]
	v_add_f64 v[8:9], v[44:45], v[8:9]
	v_fma_f64 v[46:47], v[46:47], v[54:55], -v[26:27]
	v_fma_f64 v[48:49], v[48:49], v[54:55], v[28:29]
	v_mul_f64 v[26:27], v[60:61], v[68:69]
	v_mul_f64 v[28:29], v[58:59], v[68:69]
	v_fma_f64 v[50:51], v[58:59], v[70:71], -v[50:51]
	v_mul_f64 v[42:43], v[108:109], v[96:97]
	v_mul_f64 v[44:45], v[106:107], v[96:97]
	v_add_f64 v[12:13], v[52:53], v[12:13]
	s_waitcnt lgkmcnt(7)
	v_mul_f64 v[52:53], v[110:111], v[120:121]
	v_fma_f64 v[38:39], v[106:107], v[90:91], -v[38:39]
	v_fma_f64 v[40:41], v[108:109], v[90:91], v[40:41]
	v_add_f64 v[2:3], v[2:3], v[46:47]
	v_add_f64 v[4:5], v[48:49], v[4:5]
	v_fma_f64 v[54:55], v[58:59], v[66:67], -v[26:27]
	v_fma_f64 v[56:57], v[60:61], v[66:67], v[28:29]
	v_mul_f64 v[26:27], v[76:77], v[68:69]
	v_mul_f64 v[28:29], v[74:75], v[68:69]
	v_mul_f64 v[68:69], v[74:75], v[72:73]
	v_add_f64 v[10:11], v[10:11], v[50:51]
	v_mul_f64 v[46:47], v[104:105], v[116:117]
	v_mul_f64 v[48:49], v[102:103], v[116:117]
	;; [unrolled: 1-line block ×3, first 2 shown]
	v_fma_f64 v[42:43], v[106:107], v[94:95], -v[42:43]
	v_fma_f64 v[44:45], v[108:109], v[94:95], v[44:45]
	v_fma_f64 v[52:53], v[112:113], v[118:119], v[52:53]
	v_add_f64 v[14:15], v[14:15], v[54:55]
	v_add_f64 v[16:17], v[56:57], v[16:17]
	v_fma_f64 v[58:59], v[74:75], v[66:67], -v[26:27]
	v_fma_f64 v[60:61], v[76:77], v[66:67], v[28:29]
	v_mul_f64 v[66:67], v[76:77], v[72:73]
	v_mul_f64 v[72:73], v[64:65], v[88:89]
	v_fma_f64 v[68:69], v[76:77], v[70:71], v[68:69]
	v_mul_f64 v[76:77], v[100:101], v[92:93]
	v_fma_f64 v[64:65], v[64:65], v[86:87], v[150:151]
	v_mul_f64 v[92:93], v[102:103], v[120:121]
	s_waitcnt lgkmcnt(4)
	v_mul_f64 v[54:55], v[132:133], v[124:125]
	v_mul_f64 v[56:57], v[130:131], v[124:125]
	v_fma_f64 v[46:47], v[102:103], v[114:115], -v[46:47]
	v_fma_f64 v[48:49], v[104:105], v[114:115], v[48:49]
	v_fma_f64 v[50:51], v[110:111], v[118:119], -v[50:51]
	ds_read_b128 v[26:29], v22 offset:3840
	s_waitcnt lgkmcnt(0)
	s_barrier
	buffer_gl0_inv
	v_add_f64 v[14:15], v[14:15], v[34:35]
	v_add_f64 v[16:17], v[36:37], v[16:17]
	;; [unrolled: 1-line block ×4, first 2 shown]
	v_fma_f64 v[66:67], v[74:75], v[70:71], -v[66:67]
	v_mul_f64 v[70:71], v[80:81], v[88:89]
	v_mul_f64 v[74:75], v[78:79], v[88:89]
	v_mul_f64 v[88:89], v[100:101], v[96:97]
	v_fma_f64 v[62:63], v[62:63], v[86:87], -v[72:73]
	v_add_f64 v[4:5], v[68:69], v[4:5]
	v_mul_f64 v[72:73], v[104:105], v[120:121]
	v_mul_f64 v[96:97], v[110:111], v[116:117]
	v_fma_f64 v[68:69], v[100:101], v[90:91], v[84:85]
	v_add_f64 v[12:13], v[64:65], v[12:13]
	v_mul_f64 v[58:59], v[132:133], v[128:129]
	v_mul_f64 v[60:61], v[130:131], v[128:129]
	;; [unrolled: 1-line block ×5, first 2 shown]
	v_fma_f64 v[54:55], v[130:131], v[122:123], -v[54:55]
	v_fma_f64 v[56:57], v[132:133], v[122:123], v[56:57]
	v_add_f64 v[6:7], v[6:7], v[30:31]
	v_add_f64 v[8:9], v[32:33], v[8:9]
	;; [unrolled: 1-line block ×3, first 2 shown]
	v_fma_f64 v[70:71], v[78:79], v[86:87], -v[70:71]
	v_fma_f64 v[74:75], v[80:81], v[86:87], v[74:75]
	v_fma_f64 v[66:67], v[98:99], v[90:91], -v[76:77]
	v_fma_f64 v[76:77], v[98:99], v[94:95], -v[88:89]
	v_fma_f64 v[78:79], v[100:101], v[94:95], v[152:153]
	v_add_f64 v[10:11], v[10:11], v[62:63]
	v_mul_f64 v[30:31], v[140:141], v[124:125]
	v_mul_f64 v[32:33], v[138:139], v[124:125]
	v_fma_f64 v[80:81], v[112:113], v[114:115], v[96:97]
	v_add_f64 v[16:17], v[68:69], v[16:17]
	v_mul_f64 v[62:63], v[136:137], v[148:149]
	v_fma_f64 v[58:59], v[130:131], v[126:127], -v[58:59]
	v_fma_f64 v[60:61], v[132:133], v[126:127], v[60:61]
	v_fma_f64 v[34:35], v[138:139], v[126:127], -v[34:35]
	v_fma_f64 v[36:37], v[140:141], v[126:127], v[36:37]
	v_add_f64 v[6:7], v[6:7], v[38:39]
	v_add_f64 v[8:9], v[40:41], v[8:9]
	v_mul_f64 v[38:39], v[136:137], v[28:29]
	v_add_f64 v[2:3], v[2:3], v[70:71]
	v_add_f64 v[4:5], v[74:75], v[4:5]
	v_fma_f64 v[70:71], v[102:103], v[118:119], -v[72:73]
	v_fma_f64 v[72:73], v[104:105], v[118:119], v[92:93]
	v_fma_f64 v[74:75], v[110:111], v[114:115], -v[82:83]
	v_add_f64 v[14:15], v[14:15], v[66:67]
	v_add_f64 v[10:11], v[10:11], v[76:77]
	;; [unrolled: 1-line block ×3, first 2 shown]
	v_mul_f64 v[40:41], v[134:135], v[28:29]
	v_mul_f64 v[66:67], v[144:145], v[28:29]
	;; [unrolled: 1-line block ×3, first 2 shown]
	v_fma_f64 v[30:31], v[138:139], v[122:123], -v[30:31]
	v_fma_f64 v[32:33], v[140:141], v[122:123], v[32:33]
	v_add_f64 v[16:17], v[48:49], v[16:17]
	v_fma_f64 v[48:49], v[136:137], v[146:147], v[64:65]
	v_add_f64 v[8:9], v[80:81], v[8:9]
	v_fma_f64 v[38:39], v[134:135], v[26:27], -v[38:39]
	v_add_f64 v[2:3], v[2:3], v[42:43]
	v_add_f64 v[4:5], v[44:45], v[4:5]
	v_mul_f64 v[42:43], v[144:145], v[148:149]
	v_mul_f64 v[44:45], v[142:143], v[148:149]
	v_add_f64 v[6:7], v[6:7], v[74:75]
	v_add_f64 v[14:15], v[14:15], v[46:47]
	;; [unrolled: 1-line block ×4, first 2 shown]
	v_fma_f64 v[46:47], v[134:135], v[146:147], -v[62:63]
	v_fma_f64 v[40:41], v[136:137], v[26:27], v[40:41]
	v_add_f64 v[16:17], v[56:57], v[16:17]
	v_add_f64 v[8:9], v[32:33], v[8:9]
	;; [unrolled: 1-line block ×4, first 2 shown]
	v_fma_f64 v[42:43], v[142:143], v[146:147], -v[42:43]
	v_fma_f64 v[44:45], v[144:145], v[146:147], v[44:45]
	v_fma_f64 v[50:51], v[142:143], v[26:27], -v[66:67]
	v_fma_f64 v[26:27], v[144:145], v[26:27], v[28:29]
	v_add_f64 v[14:15], v[14:15], v[54:55]
	v_add_f64 v[10:11], v[10:11], v[58:59]
	;; [unrolled: 1-line block ×14, first 2 shown]
	s_cbranch_vccnz .LBB134_2
	s_branch .LBB134_4
.LBB134_3:
	v_mov_b32_e32 v14, 0
	v_mov_b32_e32 v16, 0
	;; [unrolled: 1-line block ×16, first 2 shown]
.LBB134_4:
	s_load_dwordx2 s[4:5], s[4:5], 0x90
	v_cmp_neq_f64_e64 s6, s[38:39], 0
	v_cmp_neq_f64_e64 s7, s[40:41], 0
	v_add_co_u32 v22, s2, s2, v1
	v_add_co_u32 v0, s0, s0, v0
	v_add_co_ci_u32_e64 v23, null, s3, 0, s2
	v_add_co_ci_u32_e64 v1, null, s1, 0, s0
	s_waitcnt lgkmcnt(0)
	s_mul_i32 s5, s5, s8
	s_mul_hi_u32 s9, s4, s8
	s_mul_i32 s4, s4, s8
	s_add_i32 s5, s9, s5
	s_lshl_b64 s[4:5], s[4:5], 4
	s_add_u32 s2, s48, s4
	s_addc_u32 s3, s49, s5
	s_or_b32 s4, s6, s7
	s_and_b32 vcc_lo, exec_lo, s4
	s_cbranch_vccnz .LBB134_6
; %bb.5:
	v_mul_f64 v[20:21], s[16:17], v[16:17]
	v_mul_f64 v[26:27], s[14:15], v[16:17]
	;; [unrolled: 1-line block ×4, first 2 shown]
	v_mul_lo_u32 v24, v23, s50
	v_mul_lo_u32 v25, v22, s51
	v_mad_u64_u32 v[18:19], null, v22, s50, 0
	v_mul_f64 v[28:29], s[16:17], v[12:13]
	v_mul_f64 v[30:31], s[14:15], v[12:13]
	;; [unrolled: 1-line block ×4, first 2 shown]
	s_lshl_b64 s[0:1], s[50:51], 8
	v_lshlrev_b64 v[40:41], 4, v[0:1]
	v_add3_u32 v19, v19, v25, v24
	v_lshlrev_b64 v[18:19], 4, v[18:19]
	v_fma_f64 v[24:25], s[14:15], v[14:15], -v[20:21]
	v_fma_f64 v[26:27], s[16:17], v[14:15], v[26:27]
	v_fma_f64 v[36:37], s[14:15], v[2:3], -v[36:37]
	v_add_co_u32 v42, vcc_lo, s2, v18
	v_add_co_ci_u32_e64 v43, null, s3, v19, vcc_lo
	v_fma_f64 v[18:19], s[16:17], v[2:3], v[38:39]
	v_fma_f64 v[28:29], s[14:15], v[10:11], -v[28:29]
	v_fma_f64 v[30:31], s[16:17], v[10:11], v[30:31]
	v_fma_f64 v[32:33], s[14:15], v[6:7], -v[32:33]
	v_fma_f64 v[34:35], s[16:17], v[6:7], v[34:35]
	v_add_co_u32 v20, vcc_lo, v42, s0
	v_add_co_ci_u32_e64 v21, null, s1, v43, vcc_lo
	v_add_co_u32 v38, vcc_lo, v20, v40
	v_add_co_ci_u32_e64 v39, null, v21, v41, vcc_lo
	;; [unrolled: 2-line block ×4, first 2 shown]
	global_store_dwordx4 v[40:41], v[24:27], off
	global_store_dwordx4 v[40:41], v[28:31], off offset:256
	global_store_dwordx4 v[38:39], v[32:35], off
	global_store_dwordx2 v[38:39], v[36:37], off offset:256
	s_cbranch_execz .LBB134_7
	s_branch .LBB134_8
.LBB134_6:
                                        ; implicit-def: $vgpr18_vgpr19
                                        ; implicit-def: $vgpr20_vgpr21
.LBB134_7:
	v_mul_lo_u32 v20, v23, s44
	v_mul_lo_u32 v21, v22, s45
	v_mad_u64_u32 v[18:19], null, v22, s44, 0
	s_mul_i32 s1, s47, s8
	s_mul_hi_u32 s4, s46, s8
	s_mul_i32 s0, s46, s8
	s_add_i32 s1, s4, s1
	v_lshlrev_b64 v[0:1], 4, v[0:1]
	s_lshl_b64 s[0:1], s[0:1], 4
	v_add3_u32 v19, v19, v21, v20
	s_add_u32 s0, s42, s0
	s_addc_u32 s1, s43, s1
	v_mul_f64 v[26:27], s[16:17], v[16:17]
	v_mul_f64 v[16:17], s[14:15], v[16:17]
	v_lshlrev_b64 v[18:19], 4, v[18:19]
	v_mul_lo_u32 v23, v23, s50
	v_add_co_u32 v30, vcc_lo, s0, v18
	v_add_co_ci_u32_e64 v31, null, s1, v19, vcc_lo
	s_lshl_b64 s[0:1], s[44:45], 8
	v_add_co_u32 v24, vcc_lo, v30, v0
	v_add_co_ci_u32_e64 v25, null, v31, v1, vcc_lo
	global_load_dwordx4 v[18:21], v[24:25], off
	v_fma_f64 v[26:27], s[14:15], v[14:15], -v[26:27]
	v_fma_f64 v[16:17], s[16:17], v[14:15], v[16:17]
	s_waitcnt vmcnt(0)
	v_mul_f64 v[28:29], s[40:41], v[20:21]
	v_mul_f64 v[20:21], s[38:39], v[20:21]
	v_fma_f64 v[14:15], s[38:39], v[18:19], -v[28:29]
	v_fma_f64 v[18:19], s[40:41], v[18:19], v[20:21]
	v_mul_lo_u32 v28, v22, s51
	v_mad_u64_u32 v[20:21], null, v22, s50, 0
	v_add3_u32 v21, v21, v28, v23
	v_add_f64 v[14:15], v[26:27], v[14:15]
	v_add_f64 v[16:17], v[16:17], v[18:19]
	v_lshlrev_b64 v[18:19], 4, v[20:21]
	v_mul_f64 v[20:21], s[16:17], v[12:13]
	v_mul_f64 v[12:13], s[14:15], v[12:13]
	v_add_co_u32 v26, vcc_lo, s2, v18
	v_add_co_ci_u32_e64 v27, null, s3, v19, vcc_lo
	v_add_co_u32 v18, vcc_lo, v26, v0
	v_add_co_ci_u32_e64 v19, null, v27, v1, vcc_lo
	global_store_dwordx4 v[18:19], v[14:17], off
	global_load_dwordx4 v[14:17], v[24:25], off offset:256
	v_fma_f64 v[20:21], s[14:15], v[10:11], -v[20:21]
	v_fma_f64 v[12:13], s[16:17], v[10:11], v[12:13]
	s_waitcnt vmcnt(0)
	v_mul_f64 v[22:23], s[40:41], v[16:17]
	v_mul_f64 v[16:17], s[38:39], v[16:17]
	v_fma_f64 v[10:11], s[38:39], v[14:15], -v[22:23]
	v_fma_f64 v[14:15], s[40:41], v[14:15], v[16:17]
	v_mul_f64 v[16:17], s[16:17], v[8:9]
	v_mul_f64 v[8:9], s[14:15], v[8:9]
	v_add_f64 v[10:11], v[20:21], v[10:11]
	v_add_f64 v[12:13], v[12:13], v[14:15]
	v_add_co_u32 v14, vcc_lo, v30, s0
	v_add_co_ci_u32_e64 v15, null, s1, v31, vcc_lo
	v_fma_f64 v[16:17], s[14:15], v[6:7], -v[16:17]
	v_add_co_u32 v14, vcc_lo, v14, v0
	v_add_co_ci_u32_e64 v15, null, v15, v1, vcc_lo
	v_fma_f64 v[8:9], s[16:17], v[6:7], v[8:9]
	s_lshl_b64 s[0:1], s[50:51], 8
	global_store_dwordx4 v[18:19], v[10:13], off offset:256
	global_load_dwordx4 v[10:13], v[14:15], off
	s_waitcnt vmcnt(0)
	v_mul_f64 v[18:19], s[40:41], v[12:13]
	v_mul_f64 v[12:13], s[38:39], v[12:13]
	v_fma_f64 v[6:7], s[38:39], v[10:11], -v[18:19]
	v_fma_f64 v[10:11], s[40:41], v[10:11], v[12:13]
	v_add_f64 v[6:7], v[16:17], v[6:7]
	v_add_f64 v[8:9], v[8:9], v[10:11]
	v_add_co_u32 v10, vcc_lo, v26, s0
	v_add_co_ci_u32_e64 v11, null, s1, v27, vcc_lo
	v_add_co_u32 v0, vcc_lo, v10, v0
	v_add_co_ci_u32_e64 v1, null, v11, v1, vcc_lo
	v_mul_f64 v[10:11], s[16:17], v[4:5]
	v_mul_f64 v[4:5], s[14:15], v[4:5]
	v_add_co_u32 v20, vcc_lo, 0x100, v0
	v_add_co_ci_u32_e64 v21, null, 0, v1, vcc_lo
	global_store_dwordx4 v[0:1], v[6:9], off
	global_load_dwordx4 v[6:9], v[14:15], off offset:256
	v_fma_f64 v[10:11], s[14:15], v[2:3], -v[10:11]
	v_fma_f64 v[2:3], s[16:17], v[2:3], v[4:5]
	s_waitcnt vmcnt(0)
	v_mul_f64 v[12:13], s[40:41], v[8:9]
	v_mul_f64 v[8:9], s[38:39], v[8:9]
	v_fma_f64 v[4:5], s[38:39], v[6:7], -v[12:13]
	v_fma_f64 v[6:7], s[40:41], v[6:7], v[8:9]
	v_add_f64 v[4:5], v[10:11], v[4:5]
	v_add_f64 v[18:19], v[2:3], v[6:7]
	global_store_dwordx2 v[0:1], v[4:5], off offset:256
.LBB134_8:
	global_store_dwordx2 v[20:21], v[18:19], off offset:8
	s_endpgm
	.section	.rodata,"a",@progbits
	.p2align	6, 0x0
	.amdhsa_kernel _ZN12_GLOBAL__N_127rocblas_gemm_batched_kernelI19rocblas_complex_numIdELi16ELi16ELi32ELi32ELi8ELi32ELi8ELi8ELi32ELc78ELc67EKS2_S3_S2_EEvlllT_PT11_llS6_llS4_PT12_llPT13_lli
		.amdhsa_group_segment_fixed_size 8192
		.amdhsa_private_segment_fixed_size 0
		.amdhsa_kernarg_size 156
		.amdhsa_user_sgpr_count 6
		.amdhsa_user_sgpr_private_segment_buffer 1
		.amdhsa_user_sgpr_dispatch_ptr 0
		.amdhsa_user_sgpr_queue_ptr 0
		.amdhsa_user_sgpr_kernarg_segment_ptr 1
		.amdhsa_user_sgpr_dispatch_id 0
		.amdhsa_user_sgpr_flat_scratch_init 0
		.amdhsa_user_sgpr_private_segment_size 0
		.amdhsa_wavefront_size32 1
		.amdhsa_uses_dynamic_stack 0
		.amdhsa_system_sgpr_private_segment_wavefront_offset 0
		.amdhsa_system_sgpr_workgroup_id_x 1
		.amdhsa_system_sgpr_workgroup_id_y 1
		.amdhsa_system_sgpr_workgroup_id_z 1
		.amdhsa_system_sgpr_workgroup_info 0
		.amdhsa_system_vgpr_workitem_id 1
		.amdhsa_next_free_vgpr 162
		.amdhsa_next_free_sgpr 52
		.amdhsa_reserve_vcc 1
		.amdhsa_reserve_flat_scratch 0
		.amdhsa_float_round_mode_32 0
		.amdhsa_float_round_mode_16_64 0
		.amdhsa_float_denorm_mode_32 3
		.amdhsa_float_denorm_mode_16_64 3
		.amdhsa_dx10_clamp 1
		.amdhsa_ieee_mode 1
		.amdhsa_fp16_overflow 0
		.amdhsa_workgroup_processor_mode 1
		.amdhsa_memory_ordered 1
		.amdhsa_forward_progress 1
		.amdhsa_shared_vgpr_count 0
		.amdhsa_exception_fp_ieee_invalid_op 0
		.amdhsa_exception_fp_denorm_src 0
		.amdhsa_exception_fp_ieee_div_zero 0
		.amdhsa_exception_fp_ieee_overflow 0
		.amdhsa_exception_fp_ieee_underflow 0
		.amdhsa_exception_fp_ieee_inexact 0
		.amdhsa_exception_int_div_zero 0
	.end_amdhsa_kernel
	.section	.text._ZN12_GLOBAL__N_127rocblas_gemm_batched_kernelI19rocblas_complex_numIdELi16ELi16ELi32ELi32ELi8ELi32ELi8ELi8ELi32ELc78ELc67EKS2_S3_S2_EEvlllT_PT11_llS6_llS4_PT12_llPT13_lli,"axG",@progbits,_ZN12_GLOBAL__N_127rocblas_gemm_batched_kernelI19rocblas_complex_numIdELi16ELi16ELi32ELi32ELi8ELi32ELi8ELi8ELi32ELc78ELc67EKS2_S3_S2_EEvlllT_PT11_llS6_llS4_PT12_llPT13_lli,comdat
.Lfunc_end134:
	.size	_ZN12_GLOBAL__N_127rocblas_gemm_batched_kernelI19rocblas_complex_numIdELi16ELi16ELi32ELi32ELi8ELi32ELi8ELi8ELi32ELc78ELc67EKS2_S3_S2_EEvlllT_PT11_llS6_llS4_PT12_llPT13_lli, .Lfunc_end134-_ZN12_GLOBAL__N_127rocblas_gemm_batched_kernelI19rocblas_complex_numIdELi16ELi16ELi32ELi32ELi8ELi32ELi8ELi8ELi32ELc78ELc67EKS2_S3_S2_EEvlllT_PT11_llS6_llS4_PT12_llPT13_lli
                                        ; -- End function
	.set _ZN12_GLOBAL__N_127rocblas_gemm_batched_kernelI19rocblas_complex_numIdELi16ELi16ELi32ELi32ELi8ELi32ELi8ELi8ELi32ELc78ELc67EKS2_S3_S2_EEvlllT_PT11_llS6_llS4_PT12_llPT13_lli.num_vgpr, 162
	.set _ZN12_GLOBAL__N_127rocblas_gemm_batched_kernelI19rocblas_complex_numIdELi16ELi16ELi32ELi32ELi8ELi32ELi8ELi8ELi32ELc78ELc67EKS2_S3_S2_EEvlllT_PT11_llS6_llS4_PT12_llPT13_lli.num_agpr, 0
	.set _ZN12_GLOBAL__N_127rocblas_gemm_batched_kernelI19rocblas_complex_numIdELi16ELi16ELi32ELi32ELi8ELi32ELi8ELi8ELi32ELc78ELc67EKS2_S3_S2_EEvlllT_PT11_llS6_llS4_PT12_llPT13_lli.numbered_sgpr, 52
	.set _ZN12_GLOBAL__N_127rocblas_gemm_batched_kernelI19rocblas_complex_numIdELi16ELi16ELi32ELi32ELi8ELi32ELi8ELi8ELi32ELc78ELc67EKS2_S3_S2_EEvlllT_PT11_llS6_llS4_PT12_llPT13_lli.num_named_barrier, 0
	.set _ZN12_GLOBAL__N_127rocblas_gemm_batched_kernelI19rocblas_complex_numIdELi16ELi16ELi32ELi32ELi8ELi32ELi8ELi8ELi32ELc78ELc67EKS2_S3_S2_EEvlllT_PT11_llS6_llS4_PT12_llPT13_lli.private_seg_size, 0
	.set _ZN12_GLOBAL__N_127rocblas_gemm_batched_kernelI19rocblas_complex_numIdELi16ELi16ELi32ELi32ELi8ELi32ELi8ELi8ELi32ELc78ELc67EKS2_S3_S2_EEvlllT_PT11_llS6_llS4_PT12_llPT13_lli.uses_vcc, 1
	.set _ZN12_GLOBAL__N_127rocblas_gemm_batched_kernelI19rocblas_complex_numIdELi16ELi16ELi32ELi32ELi8ELi32ELi8ELi8ELi32ELc78ELc67EKS2_S3_S2_EEvlllT_PT11_llS6_llS4_PT12_llPT13_lli.uses_flat_scratch, 0
	.set _ZN12_GLOBAL__N_127rocblas_gemm_batched_kernelI19rocblas_complex_numIdELi16ELi16ELi32ELi32ELi8ELi32ELi8ELi8ELi32ELc78ELc67EKS2_S3_S2_EEvlllT_PT11_llS6_llS4_PT12_llPT13_lli.has_dyn_sized_stack, 0
	.set _ZN12_GLOBAL__N_127rocblas_gemm_batched_kernelI19rocblas_complex_numIdELi16ELi16ELi32ELi32ELi8ELi32ELi8ELi8ELi32ELc78ELc67EKS2_S3_S2_EEvlllT_PT11_llS6_llS4_PT12_llPT13_lli.has_recursion, 0
	.set _ZN12_GLOBAL__N_127rocblas_gemm_batched_kernelI19rocblas_complex_numIdELi16ELi16ELi32ELi32ELi8ELi32ELi8ELi8ELi32ELc78ELc67EKS2_S3_S2_EEvlllT_PT11_llS6_llS4_PT12_llPT13_lli.has_indirect_call, 0
	.section	.AMDGPU.csdata,"",@progbits
; Kernel info:
; codeLenInByte = 3520
; TotalNumSgprs: 54
; NumVgprs: 162
; ScratchSize: 0
; MemoryBound: 0
; FloatMode: 240
; IeeeMode: 1
; LDSByteSize: 8192 bytes/workgroup (compile time only)
; SGPRBlocks: 0
; VGPRBlocks: 20
; NumSGPRsForWavesPerEU: 54
; NumVGPRsForWavesPerEU: 162
; Occupancy: 5
; WaveLimiterHint : 1
; COMPUTE_PGM_RSRC2:SCRATCH_EN: 0
; COMPUTE_PGM_RSRC2:USER_SGPR: 6
; COMPUTE_PGM_RSRC2:TRAP_HANDLER: 0
; COMPUTE_PGM_RSRC2:TGID_X_EN: 1
; COMPUTE_PGM_RSRC2:TGID_Y_EN: 1
; COMPUTE_PGM_RSRC2:TGID_Z_EN: 1
; COMPUTE_PGM_RSRC2:TIDIG_COMP_CNT: 1
	.section	.text._ZN12_GLOBAL__N_127rocblas_gemm_batched_kernelI19rocblas_complex_numIdELi16ELi16ELi32ELi32ELi8ELi32ELi8ELi8ELi32ELc84ELc67EKS2_S3_S2_EEvlllT_PT11_llS6_llS4_PT12_llPT13_lli,"axG",@progbits,_ZN12_GLOBAL__N_127rocblas_gemm_batched_kernelI19rocblas_complex_numIdELi16ELi16ELi32ELi32ELi8ELi32ELi8ELi8ELi32ELc84ELc67EKS2_S3_S2_EEvlllT_PT11_llS6_llS4_PT12_llPT13_lli,comdat
	.globl	_ZN12_GLOBAL__N_127rocblas_gemm_batched_kernelI19rocblas_complex_numIdELi16ELi16ELi32ELi32ELi8ELi32ELi8ELi8ELi32ELc84ELc67EKS2_S3_S2_EEvlllT_PT11_llS6_llS4_PT12_llPT13_lli ; -- Begin function _ZN12_GLOBAL__N_127rocblas_gemm_batched_kernelI19rocblas_complex_numIdELi16ELi16ELi32ELi32ELi8ELi32ELi8ELi8ELi32ELc84ELc67EKS2_S3_S2_EEvlllT_PT11_llS6_llS4_PT12_llPT13_lli
	.p2align	8
	.type	_ZN12_GLOBAL__N_127rocblas_gemm_batched_kernelI19rocblas_complex_numIdELi16ELi16ELi32ELi32ELi8ELi32ELi8ELi8ELi32ELc84ELc67EKS2_S3_S2_EEvlllT_PT11_llS6_llS4_PT12_llPT13_lli,@function
_ZN12_GLOBAL__N_127rocblas_gemm_batched_kernelI19rocblas_complex_numIdELi16ELi16ELi32ELi32ELi8ELi32ELi8ELi8ELi32ELc84ELc67EKS2_S3_S2_EEvlllT_PT11_llS6_llS4_PT12_llPT13_lli: ; @_ZN12_GLOBAL__N_127rocblas_gemm_batched_kernelI19rocblas_complex_numIdELi16ELi16ELi32ELi32ELi8ELi32ELi8ELi8ELi32ELc84ELc67EKS2_S3_S2_EEvlllT_PT11_llS6_llS4_PT12_llPT13_lli
; %bb.0:
	s_clause 0x1
	s_load_dwordx16 s[12:27], s[4:5], 0x10
	s_load_dwordx16 s[36:51], s[4:5], 0x50
	s_mov_b32 s2, s7
	s_ashr_i32 s7, s6, 31
	s_ashr_i32 s3, s2, 31
	s_lshl_b64 s[0:1], s[6:7], 5
	s_lshl_b64 s[2:3], s[2:3], 5
	s_waitcnt lgkmcnt(0)
	v_cmp_lt_i64_e64 s9, s[12:13], 1
	s_and_b32 vcc_lo, exec_lo, s9
	s_cbranch_vccnz .LBB135_3
; %bb.1:
	v_lshl_add_u32 v6, v1, 4, v0
	v_and_b32_e32 v7, 7, v0
	s_mul_i32 s7, s23, s8
	s_mul_hi_u32 s9, s22, s8
	s_mul_hi_u32 s10, s36, s8
	v_lshrrev_b32_e32 v8, 3, v6
	v_and_b32_e32 v9, 31, v6
	v_lshlrev_b32_e32 v12, 4, v7
	v_lshrrev_b32_e32 v13, 5, v6
	s_add_i32 s7, s9, s7
	v_add_co_u32 v2, s6, v8, s2
	v_add_co_ci_u32_e64 v3, null, 0, s3, s6
	v_add_co_u32 v4, s6, s0, v9
	v_add_co_ci_u32_e64 v5, null, s1, 0, s6
	v_mad_u64_u32 v[2:3], null, s26, v7, v[2:3]
	v_mul_lo_u32 v10, s21, v4
	v_mul_lo_u32 v11, s20, v5
	v_mad_u64_u32 v[4:5], null, s20, v4, 0
	s_mul_i32 s6, s22, s8
	s_mul_i32 s9, s37, s8
	s_lshl_b64 s[6:7], s[6:7], 4
	v_lshlrev_b32_e32 v9, 4, v9
	v_mov_b32_e32 v16, 0
	v_mov_b32_e32 v14, 0
	v_add3_u32 v5, v5, v11, v10
	v_mad_u64_u32 v[6:7], null, s27, v7, v[3:4]
	v_lshl_or_b32 v3, v8, 7, v12
	v_lshl_or_b32 v24, v13, 9, v9
	v_lshlrev_b64 v[4:5], 4, v[4:5]
	v_mov_b32_e32 v8, 0
	v_mov_b32_e32 v10, 0
	v_add_nc_u32_e32 v25, 0x1000, v3
	v_mov_b32_e32 v3, v6
	v_lshlrev_b32_e32 v6, 4, v13
	v_add_co_u32 v4, vcc_lo, v4, s6
	v_add_co_ci_u32_e64 v5, null, s7, v5, vcc_lo
	s_add_i32 s7, s10, s9
	v_add_co_u32 v4, vcc_lo, v4, v6
	s_mul_i32 s6, s36, s8
	v_lshlrev_b64 v[2:3], 4, v[2:3]
	v_add_co_ci_u32_e64 v5, null, 0, v5, vcc_lo
	s_lshl_b64 s[6:7], s[6:7], 4
	v_add_co_u32 v18, vcc_lo, s18, v4
	s_add_u32 s6, s24, s6
	v_add_co_ci_u32_e64 v19, null, s19, v5, vcc_lo
	s_addc_u32 s7, s25, s7
	v_add_co_u32 v20, vcc_lo, s6, v2
	v_add_co_ci_u32_e64 v21, null, s7, v3, vcc_lo
	v_mov_b32_e32 v4, 0
	v_add_co_u32 v20, vcc_lo, v20, 8
	v_mov_b32_e32 v2, 0
	v_mov_b32_e32 v6, 0
	;; [unrolled: 1-line block ×3, first 2 shown]
	v_lshlrev_b32_e32 v22, 4, v0
	v_lshl_add_u32 v23, v1, 7, 0x1000
	v_mov_b32_e32 v5, 0
	v_mov_b32_e32 v3, 0
	;; [unrolled: 1-line block ×8, first 2 shown]
	v_add_co_ci_u32_e64 v21, null, 0, v21, vcc_lo
	s_lshl_b64 s[6:7], s[26:27], 7
	s_mov_b64 s[10:11], 0
.LBB135_2:                              ; =>This Inner Loop Header: Depth=1
	global_load_dwordx4 v[26:29], v[20:21], off offset:-8
	global_load_dwordx4 v[30:33], v[18:19], off
	s_add_u32 s10, s10, 8
	s_addc_u32 s11, s11, 0
	v_add_co_u32 v18, vcc_lo, 0x80, v18
	v_cmp_lt_i64_e64 s9, s[10:11], s[12:13]
	v_add_co_ci_u32_e64 v19, null, 0, v19, vcc_lo
	v_add_co_u32 v20, vcc_lo, v20, s6
	v_add_co_ci_u32_e64 v21, null, s7, v21, vcc_lo
	s_and_b32 vcc_lo, exec_lo, s9
	s_waitcnt vmcnt(1)
	v_xor_b32_e32 v29, 0x80000000, v29
	s_waitcnt vmcnt(0)
	ds_write2_b64 v24, v[30:31], v[32:33] offset1:1
	ds_write_b128 v25, v[26:29]
	s_waitcnt lgkmcnt(0)
	s_barrier
	buffer_gl0_inv
	ds_read_b128 v[26:29], v22
	ds_read_b128 v[30:33], v22 offset:256
	ds_read_b128 v[34:37], v23
	ds_read_b128 v[38:41], v23 offset:16
	ds_read_b128 v[42:45], v23 offset:2048
	;; [unrolled: 1-line block ×28, first 2 shown]
	s_waitcnt lgkmcnt(28)
	v_mul_f64 v[150:151], v[36:37], v[28:29]
	v_mul_f64 v[154:155], v[36:37], v[32:33]
	;; [unrolled: 1-line block ×4, first 2 shown]
	v_fma_f64 v[150:151], v[34:35], v[26:27], -v[150:151]
	v_fma_f64 v[34:35], v[34:35], v[30:31], -v[154:155]
	s_waitcnt lgkmcnt(26)
	v_mul_f64 v[154:155], v[44:45], v[28:29]
	v_mul_f64 v[28:29], v[42:43], v[28:29]
	v_fma_f64 v[152:153], v[36:37], v[26:27], v[152:153]
	v_fma_f64 v[36:37], v[36:37], v[30:31], v[156:157]
	v_add_f64 v[14:15], v[14:15], v[150:151]
	v_add_f64 v[10:11], v[10:11], v[34:35]
	v_fma_f64 v[154:155], v[42:43], v[26:27], -v[154:155]
	v_fma_f64 v[156:157], v[44:45], v[26:27], v[28:29]
	v_mul_f64 v[26:27], v[44:45], v[32:33]
	v_mul_f64 v[28:29], v[42:43], v[32:33]
	v_add_f64 v[16:17], v[152:153], v[16:17]
	v_add_f64 v[12:13], v[36:37], v[12:13]
	s_waitcnt lgkmcnt(16)
	v_mul_f64 v[34:35], v[64:65], v[84:85]
	v_mul_f64 v[36:37], v[62:63], v[84:85]
	s_waitcnt lgkmcnt(15)
	v_mul_f64 v[150:151], v[62:63], v[88:89]
	s_waitcnt lgkmcnt(12)
	v_mul_f64 v[152:153], v[98:99], v[96:97]
	v_add_f64 v[6:7], v[6:7], v[154:155]
	v_add_f64 v[8:9], v[156:157], v[8:9]
	v_fma_f64 v[32:33], v[42:43], v[30:31], -v[26:27]
	v_fma_f64 v[30:31], v[44:45], v[30:31], v[28:29]
	v_mul_f64 v[26:27], v[40:41], v[52:53]
	v_mul_f64 v[28:29], v[38:39], v[52:53]
	;; [unrolled: 1-line block ×4, first 2 shown]
	v_fma_f64 v[34:35], v[62:63], v[82:83], -v[34:35]
	v_fma_f64 v[36:37], v[64:65], v[82:83], v[36:37]
	v_add_f64 v[2:3], v[2:3], v[32:33]
	v_add_f64 v[4:5], v[30:31], v[4:5]
	v_fma_f64 v[158:159], v[38:39], v[50:51], -v[26:27]
	v_fma_f64 v[160:161], v[40:41], v[50:51], v[28:29]
	v_mul_f64 v[26:27], v[48:49], v[52:53]
	v_mul_f64 v[28:29], v[46:47], v[52:53]
	v_fma_f64 v[38:39], v[38:39], v[54:55], -v[42:43]
	v_fma_f64 v[40:41], v[40:41], v[54:55], v[44:45]
	v_mul_f64 v[52:53], v[58:59], v[72:73]
	v_mul_f64 v[30:31], v[80:81], v[84:85]
	;; [unrolled: 1-line block ×4, first 2 shown]
	v_add_f64 v[14:15], v[14:15], v[158:159]
	v_add_f64 v[16:17], v[160:161], v[16:17]
	v_fma_f64 v[42:43], v[46:47], v[50:51], -v[26:27]
	v_fma_f64 v[44:45], v[48:49], v[50:51], v[28:29]
	v_mul_f64 v[26:27], v[48:49], v[56:57]
	v_mul_f64 v[28:29], v[46:47], v[56:57]
	;; [unrolled: 1-line block ×3, first 2 shown]
	v_fma_f64 v[52:53], v[60:61], v[70:71], v[52:53]
	v_add_f64 v[10:11], v[10:11], v[38:39]
	v_add_f64 v[12:13], v[40:41], v[12:13]
	s_waitcnt lgkmcnt(10)
	v_mul_f64 v[38:39], v[108:109], v[92:93]
	v_mul_f64 v[40:41], v[106:107], v[92:93]
	v_fma_f64 v[30:31], v[78:79], v[82:83], -v[30:31]
	v_fma_f64 v[32:33], v[80:81], v[82:83], v[32:33]
	s_waitcnt lgkmcnt(8)
	v_mul_f64 v[82:83], v[112:113], v[116:117]
	v_add_f64 v[6:7], v[6:7], v[42:43]
	v_add_f64 v[8:9], v[44:45], v[8:9]
	v_fma_f64 v[46:47], v[46:47], v[54:55], -v[26:27]
	v_fma_f64 v[48:49], v[48:49], v[54:55], v[28:29]
	v_mul_f64 v[26:27], v[60:61], v[68:69]
	v_mul_f64 v[28:29], v[58:59], v[68:69]
	v_fma_f64 v[50:51], v[58:59], v[70:71], -v[50:51]
	v_mul_f64 v[42:43], v[108:109], v[96:97]
	v_mul_f64 v[44:45], v[106:107], v[96:97]
	v_add_f64 v[12:13], v[52:53], v[12:13]
	s_waitcnt lgkmcnt(7)
	v_mul_f64 v[52:53], v[110:111], v[120:121]
	v_fma_f64 v[38:39], v[106:107], v[90:91], -v[38:39]
	v_fma_f64 v[40:41], v[108:109], v[90:91], v[40:41]
	v_add_f64 v[2:3], v[2:3], v[46:47]
	v_add_f64 v[4:5], v[48:49], v[4:5]
	v_fma_f64 v[54:55], v[58:59], v[66:67], -v[26:27]
	v_fma_f64 v[56:57], v[60:61], v[66:67], v[28:29]
	v_mul_f64 v[26:27], v[76:77], v[68:69]
	v_mul_f64 v[28:29], v[74:75], v[68:69]
	v_mul_f64 v[68:69], v[74:75], v[72:73]
	v_add_f64 v[10:11], v[10:11], v[50:51]
	v_mul_f64 v[46:47], v[104:105], v[116:117]
	v_mul_f64 v[48:49], v[102:103], v[116:117]
	;; [unrolled: 1-line block ×3, first 2 shown]
	v_fma_f64 v[42:43], v[106:107], v[94:95], -v[42:43]
	v_fma_f64 v[44:45], v[108:109], v[94:95], v[44:45]
	v_fma_f64 v[52:53], v[112:113], v[118:119], v[52:53]
	v_add_f64 v[14:15], v[14:15], v[54:55]
	v_add_f64 v[16:17], v[56:57], v[16:17]
	v_fma_f64 v[58:59], v[74:75], v[66:67], -v[26:27]
	v_fma_f64 v[60:61], v[76:77], v[66:67], v[28:29]
	v_mul_f64 v[66:67], v[76:77], v[72:73]
	v_mul_f64 v[72:73], v[64:65], v[88:89]
	v_fma_f64 v[68:69], v[76:77], v[70:71], v[68:69]
	v_mul_f64 v[76:77], v[100:101], v[92:93]
	v_fma_f64 v[64:65], v[64:65], v[86:87], v[150:151]
	v_mul_f64 v[92:93], v[102:103], v[120:121]
	s_waitcnt lgkmcnt(4)
	v_mul_f64 v[54:55], v[132:133], v[124:125]
	v_mul_f64 v[56:57], v[130:131], v[124:125]
	v_fma_f64 v[46:47], v[102:103], v[114:115], -v[46:47]
	v_fma_f64 v[48:49], v[104:105], v[114:115], v[48:49]
	v_fma_f64 v[50:51], v[110:111], v[118:119], -v[50:51]
	ds_read_b128 v[26:29], v22 offset:3840
	s_waitcnt lgkmcnt(0)
	s_barrier
	buffer_gl0_inv
	v_add_f64 v[14:15], v[14:15], v[34:35]
	v_add_f64 v[16:17], v[36:37], v[16:17]
	;; [unrolled: 1-line block ×4, first 2 shown]
	v_fma_f64 v[66:67], v[74:75], v[70:71], -v[66:67]
	v_mul_f64 v[70:71], v[80:81], v[88:89]
	v_mul_f64 v[74:75], v[78:79], v[88:89]
	;; [unrolled: 1-line block ×3, first 2 shown]
	v_fma_f64 v[62:63], v[62:63], v[86:87], -v[72:73]
	v_add_f64 v[4:5], v[68:69], v[4:5]
	v_mul_f64 v[72:73], v[104:105], v[120:121]
	v_mul_f64 v[96:97], v[110:111], v[116:117]
	v_fma_f64 v[68:69], v[100:101], v[90:91], v[84:85]
	v_add_f64 v[12:13], v[64:65], v[12:13]
	v_mul_f64 v[58:59], v[132:133], v[128:129]
	v_mul_f64 v[60:61], v[130:131], v[128:129]
	;; [unrolled: 1-line block ×5, first 2 shown]
	v_fma_f64 v[54:55], v[130:131], v[122:123], -v[54:55]
	v_fma_f64 v[56:57], v[132:133], v[122:123], v[56:57]
	v_add_f64 v[6:7], v[6:7], v[30:31]
	v_add_f64 v[8:9], v[32:33], v[8:9]
	;; [unrolled: 1-line block ×3, first 2 shown]
	v_fma_f64 v[70:71], v[78:79], v[86:87], -v[70:71]
	v_fma_f64 v[74:75], v[80:81], v[86:87], v[74:75]
	v_fma_f64 v[66:67], v[98:99], v[90:91], -v[76:77]
	v_fma_f64 v[76:77], v[98:99], v[94:95], -v[88:89]
	v_fma_f64 v[78:79], v[100:101], v[94:95], v[152:153]
	v_add_f64 v[10:11], v[10:11], v[62:63]
	v_mul_f64 v[30:31], v[140:141], v[124:125]
	v_mul_f64 v[32:33], v[138:139], v[124:125]
	v_fma_f64 v[80:81], v[112:113], v[114:115], v[96:97]
	v_add_f64 v[16:17], v[68:69], v[16:17]
	v_mul_f64 v[62:63], v[136:137], v[148:149]
	v_fma_f64 v[58:59], v[130:131], v[126:127], -v[58:59]
	v_fma_f64 v[60:61], v[132:133], v[126:127], v[60:61]
	v_fma_f64 v[34:35], v[138:139], v[126:127], -v[34:35]
	v_fma_f64 v[36:37], v[140:141], v[126:127], v[36:37]
	v_add_f64 v[6:7], v[6:7], v[38:39]
	v_add_f64 v[8:9], v[40:41], v[8:9]
	v_mul_f64 v[38:39], v[136:137], v[28:29]
	v_add_f64 v[2:3], v[2:3], v[70:71]
	v_add_f64 v[4:5], v[74:75], v[4:5]
	v_fma_f64 v[70:71], v[102:103], v[118:119], -v[72:73]
	v_fma_f64 v[72:73], v[104:105], v[118:119], v[92:93]
	v_fma_f64 v[74:75], v[110:111], v[114:115], -v[82:83]
	v_add_f64 v[14:15], v[14:15], v[66:67]
	v_add_f64 v[10:11], v[10:11], v[76:77]
	;; [unrolled: 1-line block ×3, first 2 shown]
	v_mul_f64 v[40:41], v[134:135], v[28:29]
	v_mul_f64 v[66:67], v[144:145], v[28:29]
	;; [unrolled: 1-line block ×3, first 2 shown]
	v_fma_f64 v[30:31], v[138:139], v[122:123], -v[30:31]
	v_fma_f64 v[32:33], v[140:141], v[122:123], v[32:33]
	v_add_f64 v[16:17], v[48:49], v[16:17]
	v_fma_f64 v[48:49], v[136:137], v[146:147], v[64:65]
	v_add_f64 v[8:9], v[80:81], v[8:9]
	v_fma_f64 v[38:39], v[134:135], v[26:27], -v[38:39]
	v_add_f64 v[2:3], v[2:3], v[42:43]
	v_add_f64 v[4:5], v[44:45], v[4:5]
	v_mul_f64 v[42:43], v[144:145], v[148:149]
	v_mul_f64 v[44:45], v[142:143], v[148:149]
	v_add_f64 v[6:7], v[6:7], v[74:75]
	v_add_f64 v[14:15], v[14:15], v[46:47]
	v_add_f64 v[10:11], v[10:11], v[70:71]
	v_add_f64 v[12:13], v[72:73], v[12:13]
	v_fma_f64 v[46:47], v[134:135], v[146:147], -v[62:63]
	v_fma_f64 v[40:41], v[136:137], v[26:27], v[40:41]
	v_add_f64 v[16:17], v[56:57], v[16:17]
	v_add_f64 v[8:9], v[32:33], v[8:9]
	;; [unrolled: 1-line block ×4, first 2 shown]
	v_fma_f64 v[42:43], v[142:143], v[146:147], -v[42:43]
	v_fma_f64 v[44:45], v[144:145], v[146:147], v[44:45]
	v_fma_f64 v[50:51], v[142:143], v[26:27], -v[66:67]
	v_fma_f64 v[26:27], v[144:145], v[26:27], v[28:29]
	v_add_f64 v[14:15], v[14:15], v[54:55]
	v_add_f64 v[10:11], v[10:11], v[58:59]
	;; [unrolled: 1-line block ×14, first 2 shown]
	s_cbranch_vccnz .LBB135_2
	s_branch .LBB135_4
.LBB135_3:
	v_mov_b32_e32 v14, 0
	v_mov_b32_e32 v16, 0
	;; [unrolled: 1-line block ×16, first 2 shown]
.LBB135_4:
	s_load_dwordx2 s[4:5], s[4:5], 0x90
	v_cmp_neq_f64_e64 s6, s[38:39], 0
	v_cmp_neq_f64_e64 s7, s[40:41], 0
	v_add_co_u32 v22, s2, s2, v1
	v_add_co_u32 v0, s0, s0, v0
	v_add_co_ci_u32_e64 v23, null, s3, 0, s2
	v_add_co_ci_u32_e64 v1, null, s1, 0, s0
	s_waitcnt lgkmcnt(0)
	s_mul_i32 s5, s5, s8
	s_mul_hi_u32 s9, s4, s8
	s_mul_i32 s4, s4, s8
	s_add_i32 s5, s9, s5
	s_lshl_b64 s[4:5], s[4:5], 4
	s_add_u32 s2, s48, s4
	s_addc_u32 s3, s49, s5
	s_or_b32 s4, s6, s7
	s_and_b32 vcc_lo, exec_lo, s4
	s_cbranch_vccnz .LBB135_6
; %bb.5:
	v_mul_f64 v[20:21], s[16:17], v[16:17]
	v_mul_f64 v[26:27], s[14:15], v[16:17]
	;; [unrolled: 1-line block ×4, first 2 shown]
	v_mul_lo_u32 v24, v23, s50
	v_mul_lo_u32 v25, v22, s51
	v_mad_u64_u32 v[18:19], null, v22, s50, 0
	v_mul_f64 v[28:29], s[16:17], v[12:13]
	v_mul_f64 v[30:31], s[14:15], v[12:13]
	;; [unrolled: 1-line block ×4, first 2 shown]
	s_lshl_b64 s[0:1], s[50:51], 8
	v_lshlrev_b64 v[40:41], 4, v[0:1]
	v_add3_u32 v19, v19, v25, v24
	v_lshlrev_b64 v[18:19], 4, v[18:19]
	v_fma_f64 v[24:25], s[14:15], v[14:15], -v[20:21]
	v_fma_f64 v[26:27], s[16:17], v[14:15], v[26:27]
	v_fma_f64 v[36:37], s[14:15], v[2:3], -v[36:37]
	v_add_co_u32 v42, vcc_lo, s2, v18
	v_add_co_ci_u32_e64 v43, null, s3, v19, vcc_lo
	v_fma_f64 v[18:19], s[16:17], v[2:3], v[38:39]
	v_fma_f64 v[28:29], s[14:15], v[10:11], -v[28:29]
	v_fma_f64 v[30:31], s[16:17], v[10:11], v[30:31]
	v_fma_f64 v[32:33], s[14:15], v[6:7], -v[32:33]
	v_fma_f64 v[34:35], s[16:17], v[6:7], v[34:35]
	v_add_co_u32 v20, vcc_lo, v42, s0
	v_add_co_ci_u32_e64 v21, null, s1, v43, vcc_lo
	v_add_co_u32 v38, vcc_lo, v20, v40
	v_add_co_ci_u32_e64 v39, null, v21, v41, vcc_lo
	;; [unrolled: 2-line block ×4, first 2 shown]
	global_store_dwordx4 v[40:41], v[24:27], off
	global_store_dwordx4 v[40:41], v[28:31], off offset:256
	global_store_dwordx4 v[38:39], v[32:35], off
	global_store_dwordx2 v[38:39], v[36:37], off offset:256
	s_cbranch_execz .LBB135_7
	s_branch .LBB135_8
.LBB135_6:
                                        ; implicit-def: $vgpr18_vgpr19
                                        ; implicit-def: $vgpr20_vgpr21
.LBB135_7:
	v_mul_lo_u32 v20, v23, s44
	v_mul_lo_u32 v21, v22, s45
	v_mad_u64_u32 v[18:19], null, v22, s44, 0
	s_mul_i32 s1, s47, s8
	s_mul_hi_u32 s4, s46, s8
	s_mul_i32 s0, s46, s8
	s_add_i32 s1, s4, s1
	v_lshlrev_b64 v[0:1], 4, v[0:1]
	s_lshl_b64 s[0:1], s[0:1], 4
	v_add3_u32 v19, v19, v21, v20
	s_add_u32 s0, s42, s0
	s_addc_u32 s1, s43, s1
	v_mul_f64 v[26:27], s[16:17], v[16:17]
	v_mul_f64 v[16:17], s[14:15], v[16:17]
	v_lshlrev_b64 v[18:19], 4, v[18:19]
	v_mul_lo_u32 v23, v23, s50
	v_add_co_u32 v30, vcc_lo, s0, v18
	v_add_co_ci_u32_e64 v31, null, s1, v19, vcc_lo
	s_lshl_b64 s[0:1], s[44:45], 8
	v_add_co_u32 v24, vcc_lo, v30, v0
	v_add_co_ci_u32_e64 v25, null, v31, v1, vcc_lo
	global_load_dwordx4 v[18:21], v[24:25], off
	v_fma_f64 v[26:27], s[14:15], v[14:15], -v[26:27]
	v_fma_f64 v[16:17], s[16:17], v[14:15], v[16:17]
	s_waitcnt vmcnt(0)
	v_mul_f64 v[28:29], s[40:41], v[20:21]
	v_mul_f64 v[20:21], s[38:39], v[20:21]
	v_fma_f64 v[14:15], s[38:39], v[18:19], -v[28:29]
	v_fma_f64 v[18:19], s[40:41], v[18:19], v[20:21]
	v_mul_lo_u32 v28, v22, s51
	v_mad_u64_u32 v[20:21], null, v22, s50, 0
	v_add3_u32 v21, v21, v28, v23
	v_add_f64 v[14:15], v[26:27], v[14:15]
	v_add_f64 v[16:17], v[16:17], v[18:19]
	v_lshlrev_b64 v[18:19], 4, v[20:21]
	v_mul_f64 v[20:21], s[16:17], v[12:13]
	v_mul_f64 v[12:13], s[14:15], v[12:13]
	v_add_co_u32 v26, vcc_lo, s2, v18
	v_add_co_ci_u32_e64 v27, null, s3, v19, vcc_lo
	v_add_co_u32 v18, vcc_lo, v26, v0
	v_add_co_ci_u32_e64 v19, null, v27, v1, vcc_lo
	global_store_dwordx4 v[18:19], v[14:17], off
	global_load_dwordx4 v[14:17], v[24:25], off offset:256
	v_fma_f64 v[20:21], s[14:15], v[10:11], -v[20:21]
	v_fma_f64 v[12:13], s[16:17], v[10:11], v[12:13]
	s_waitcnt vmcnt(0)
	v_mul_f64 v[22:23], s[40:41], v[16:17]
	v_mul_f64 v[16:17], s[38:39], v[16:17]
	v_fma_f64 v[10:11], s[38:39], v[14:15], -v[22:23]
	v_fma_f64 v[14:15], s[40:41], v[14:15], v[16:17]
	v_mul_f64 v[16:17], s[16:17], v[8:9]
	v_mul_f64 v[8:9], s[14:15], v[8:9]
	v_add_f64 v[10:11], v[20:21], v[10:11]
	v_add_f64 v[12:13], v[12:13], v[14:15]
	v_add_co_u32 v14, vcc_lo, v30, s0
	v_add_co_ci_u32_e64 v15, null, s1, v31, vcc_lo
	v_fma_f64 v[16:17], s[14:15], v[6:7], -v[16:17]
	v_add_co_u32 v14, vcc_lo, v14, v0
	v_add_co_ci_u32_e64 v15, null, v15, v1, vcc_lo
	v_fma_f64 v[8:9], s[16:17], v[6:7], v[8:9]
	s_lshl_b64 s[0:1], s[50:51], 8
	global_store_dwordx4 v[18:19], v[10:13], off offset:256
	global_load_dwordx4 v[10:13], v[14:15], off
	s_waitcnt vmcnt(0)
	v_mul_f64 v[18:19], s[40:41], v[12:13]
	v_mul_f64 v[12:13], s[38:39], v[12:13]
	v_fma_f64 v[6:7], s[38:39], v[10:11], -v[18:19]
	v_fma_f64 v[10:11], s[40:41], v[10:11], v[12:13]
	v_add_f64 v[6:7], v[16:17], v[6:7]
	v_add_f64 v[8:9], v[8:9], v[10:11]
	v_add_co_u32 v10, vcc_lo, v26, s0
	v_add_co_ci_u32_e64 v11, null, s1, v27, vcc_lo
	v_add_co_u32 v0, vcc_lo, v10, v0
	v_add_co_ci_u32_e64 v1, null, v11, v1, vcc_lo
	v_mul_f64 v[10:11], s[16:17], v[4:5]
	v_mul_f64 v[4:5], s[14:15], v[4:5]
	v_add_co_u32 v20, vcc_lo, 0x100, v0
	v_add_co_ci_u32_e64 v21, null, 0, v1, vcc_lo
	global_store_dwordx4 v[0:1], v[6:9], off
	global_load_dwordx4 v[6:9], v[14:15], off offset:256
	v_fma_f64 v[10:11], s[14:15], v[2:3], -v[10:11]
	v_fma_f64 v[2:3], s[16:17], v[2:3], v[4:5]
	s_waitcnt vmcnt(0)
	v_mul_f64 v[12:13], s[40:41], v[8:9]
	v_mul_f64 v[8:9], s[38:39], v[8:9]
	v_fma_f64 v[4:5], s[38:39], v[6:7], -v[12:13]
	v_fma_f64 v[6:7], s[40:41], v[6:7], v[8:9]
	v_add_f64 v[4:5], v[10:11], v[4:5]
	v_add_f64 v[18:19], v[2:3], v[6:7]
	global_store_dwordx2 v[0:1], v[4:5], off offset:256
.LBB135_8:
	global_store_dwordx2 v[20:21], v[18:19], off offset:8
	s_endpgm
	.section	.rodata,"a",@progbits
	.p2align	6, 0x0
	.amdhsa_kernel _ZN12_GLOBAL__N_127rocblas_gemm_batched_kernelI19rocblas_complex_numIdELi16ELi16ELi32ELi32ELi8ELi32ELi8ELi8ELi32ELc84ELc67EKS2_S3_S2_EEvlllT_PT11_llS6_llS4_PT12_llPT13_lli
		.amdhsa_group_segment_fixed_size 8192
		.amdhsa_private_segment_fixed_size 0
		.amdhsa_kernarg_size 156
		.amdhsa_user_sgpr_count 6
		.amdhsa_user_sgpr_private_segment_buffer 1
		.amdhsa_user_sgpr_dispatch_ptr 0
		.amdhsa_user_sgpr_queue_ptr 0
		.amdhsa_user_sgpr_kernarg_segment_ptr 1
		.amdhsa_user_sgpr_dispatch_id 0
		.amdhsa_user_sgpr_flat_scratch_init 0
		.amdhsa_user_sgpr_private_segment_size 0
		.amdhsa_wavefront_size32 1
		.amdhsa_uses_dynamic_stack 0
		.amdhsa_system_sgpr_private_segment_wavefront_offset 0
		.amdhsa_system_sgpr_workgroup_id_x 1
		.amdhsa_system_sgpr_workgroup_id_y 1
		.amdhsa_system_sgpr_workgroup_id_z 1
		.amdhsa_system_sgpr_workgroup_info 0
		.amdhsa_system_vgpr_workitem_id 1
		.amdhsa_next_free_vgpr 162
		.amdhsa_next_free_sgpr 52
		.amdhsa_reserve_vcc 1
		.amdhsa_reserve_flat_scratch 0
		.amdhsa_float_round_mode_32 0
		.amdhsa_float_round_mode_16_64 0
		.amdhsa_float_denorm_mode_32 3
		.amdhsa_float_denorm_mode_16_64 3
		.amdhsa_dx10_clamp 1
		.amdhsa_ieee_mode 1
		.amdhsa_fp16_overflow 0
		.amdhsa_workgroup_processor_mode 1
		.amdhsa_memory_ordered 1
		.amdhsa_forward_progress 1
		.amdhsa_shared_vgpr_count 0
		.amdhsa_exception_fp_ieee_invalid_op 0
		.amdhsa_exception_fp_denorm_src 0
		.amdhsa_exception_fp_ieee_div_zero 0
		.amdhsa_exception_fp_ieee_overflow 0
		.amdhsa_exception_fp_ieee_underflow 0
		.amdhsa_exception_fp_ieee_inexact 0
		.amdhsa_exception_int_div_zero 0
	.end_amdhsa_kernel
	.section	.text._ZN12_GLOBAL__N_127rocblas_gemm_batched_kernelI19rocblas_complex_numIdELi16ELi16ELi32ELi32ELi8ELi32ELi8ELi8ELi32ELc84ELc67EKS2_S3_S2_EEvlllT_PT11_llS6_llS4_PT12_llPT13_lli,"axG",@progbits,_ZN12_GLOBAL__N_127rocblas_gemm_batched_kernelI19rocblas_complex_numIdELi16ELi16ELi32ELi32ELi8ELi32ELi8ELi8ELi32ELc84ELc67EKS2_S3_S2_EEvlllT_PT11_llS6_llS4_PT12_llPT13_lli,comdat
.Lfunc_end135:
	.size	_ZN12_GLOBAL__N_127rocblas_gemm_batched_kernelI19rocblas_complex_numIdELi16ELi16ELi32ELi32ELi8ELi32ELi8ELi8ELi32ELc84ELc67EKS2_S3_S2_EEvlllT_PT11_llS6_llS4_PT12_llPT13_lli, .Lfunc_end135-_ZN12_GLOBAL__N_127rocblas_gemm_batched_kernelI19rocblas_complex_numIdELi16ELi16ELi32ELi32ELi8ELi32ELi8ELi8ELi32ELc84ELc67EKS2_S3_S2_EEvlllT_PT11_llS6_llS4_PT12_llPT13_lli
                                        ; -- End function
	.set _ZN12_GLOBAL__N_127rocblas_gemm_batched_kernelI19rocblas_complex_numIdELi16ELi16ELi32ELi32ELi8ELi32ELi8ELi8ELi32ELc84ELc67EKS2_S3_S2_EEvlllT_PT11_llS6_llS4_PT12_llPT13_lli.num_vgpr, 162
	.set _ZN12_GLOBAL__N_127rocblas_gemm_batched_kernelI19rocblas_complex_numIdELi16ELi16ELi32ELi32ELi8ELi32ELi8ELi8ELi32ELc84ELc67EKS2_S3_S2_EEvlllT_PT11_llS6_llS4_PT12_llPT13_lli.num_agpr, 0
	.set _ZN12_GLOBAL__N_127rocblas_gemm_batched_kernelI19rocblas_complex_numIdELi16ELi16ELi32ELi32ELi8ELi32ELi8ELi8ELi32ELc84ELc67EKS2_S3_S2_EEvlllT_PT11_llS6_llS4_PT12_llPT13_lli.numbered_sgpr, 52
	.set _ZN12_GLOBAL__N_127rocblas_gemm_batched_kernelI19rocblas_complex_numIdELi16ELi16ELi32ELi32ELi8ELi32ELi8ELi8ELi32ELc84ELc67EKS2_S3_S2_EEvlllT_PT11_llS6_llS4_PT12_llPT13_lli.num_named_barrier, 0
	.set _ZN12_GLOBAL__N_127rocblas_gemm_batched_kernelI19rocblas_complex_numIdELi16ELi16ELi32ELi32ELi8ELi32ELi8ELi8ELi32ELc84ELc67EKS2_S3_S2_EEvlllT_PT11_llS6_llS4_PT12_llPT13_lli.private_seg_size, 0
	.set _ZN12_GLOBAL__N_127rocblas_gemm_batched_kernelI19rocblas_complex_numIdELi16ELi16ELi32ELi32ELi8ELi32ELi8ELi8ELi32ELc84ELc67EKS2_S3_S2_EEvlllT_PT11_llS6_llS4_PT12_llPT13_lli.uses_vcc, 1
	.set _ZN12_GLOBAL__N_127rocblas_gemm_batched_kernelI19rocblas_complex_numIdELi16ELi16ELi32ELi32ELi8ELi32ELi8ELi8ELi32ELc84ELc67EKS2_S3_S2_EEvlllT_PT11_llS6_llS4_PT12_llPT13_lli.uses_flat_scratch, 0
	.set _ZN12_GLOBAL__N_127rocblas_gemm_batched_kernelI19rocblas_complex_numIdELi16ELi16ELi32ELi32ELi8ELi32ELi8ELi8ELi32ELc84ELc67EKS2_S3_S2_EEvlllT_PT11_llS6_llS4_PT12_llPT13_lli.has_dyn_sized_stack, 0
	.set _ZN12_GLOBAL__N_127rocblas_gemm_batched_kernelI19rocblas_complex_numIdELi16ELi16ELi32ELi32ELi8ELi32ELi8ELi8ELi32ELc84ELc67EKS2_S3_S2_EEvlllT_PT11_llS6_llS4_PT12_llPT13_lli.has_recursion, 0
	.set _ZN12_GLOBAL__N_127rocblas_gemm_batched_kernelI19rocblas_complex_numIdELi16ELi16ELi32ELi32ELi8ELi32ELi8ELi8ELi32ELc84ELc67EKS2_S3_S2_EEvlllT_PT11_llS6_llS4_PT12_llPT13_lli.has_indirect_call, 0
	.section	.AMDGPU.csdata,"",@progbits
; Kernel info:
; codeLenInByte = 3560
; TotalNumSgprs: 54
; NumVgprs: 162
; ScratchSize: 0
; MemoryBound: 0
; FloatMode: 240
; IeeeMode: 1
; LDSByteSize: 8192 bytes/workgroup (compile time only)
; SGPRBlocks: 0
; VGPRBlocks: 20
; NumSGPRsForWavesPerEU: 54
; NumVGPRsForWavesPerEU: 162
; Occupancy: 5
; WaveLimiterHint : 1
; COMPUTE_PGM_RSRC2:SCRATCH_EN: 0
; COMPUTE_PGM_RSRC2:USER_SGPR: 6
; COMPUTE_PGM_RSRC2:TRAP_HANDLER: 0
; COMPUTE_PGM_RSRC2:TGID_X_EN: 1
; COMPUTE_PGM_RSRC2:TGID_Y_EN: 1
; COMPUTE_PGM_RSRC2:TGID_Z_EN: 1
; COMPUTE_PGM_RSRC2:TIDIG_COMP_CNT: 1
	.section	.text._ZN12_GLOBAL__N_135rocblas_gemm_batched_general_kernelI19rocblas_complex_numIdELi16ELi16ELi32ELi32ELi8ELi32ELi8ELi8ELi32ELc78ELc78EKS2_S3_S2_EEvlllT_PT11_llS6_llS4_PT12_llPT13_lli,"axG",@progbits,_ZN12_GLOBAL__N_135rocblas_gemm_batched_general_kernelI19rocblas_complex_numIdELi16ELi16ELi32ELi32ELi8ELi32ELi8ELi8ELi32ELc78ELc78EKS2_S3_S2_EEvlllT_PT11_llS6_llS4_PT12_llPT13_lli,comdat
	.globl	_ZN12_GLOBAL__N_135rocblas_gemm_batched_general_kernelI19rocblas_complex_numIdELi16ELi16ELi32ELi32ELi8ELi32ELi8ELi8ELi32ELc78ELc78EKS2_S3_S2_EEvlllT_PT11_llS6_llS4_PT12_llPT13_lli ; -- Begin function _ZN12_GLOBAL__N_135rocblas_gemm_batched_general_kernelI19rocblas_complex_numIdELi16ELi16ELi32ELi32ELi8ELi32ELi8ELi8ELi32ELc78ELc78EKS2_S3_S2_EEvlllT_PT11_llS6_llS4_PT12_llPT13_lli
	.p2align	8
	.type	_ZN12_GLOBAL__N_135rocblas_gemm_batched_general_kernelI19rocblas_complex_numIdELi16ELi16ELi32ELi32ELi8ELi32ELi8ELi8ELi32ELc78ELc78EKS2_S3_S2_EEvlllT_PT11_llS6_llS4_PT12_llPT13_lli,@function
_ZN12_GLOBAL__N_135rocblas_gemm_batched_general_kernelI19rocblas_complex_numIdELi16ELi16ELi32ELi32ELi8ELi32ELi8ELi8ELi32ELc78ELc78EKS2_S3_S2_EEvlllT_PT11_llS6_llS4_PT12_llPT13_lli: ; @_ZN12_GLOBAL__N_135rocblas_gemm_batched_general_kernelI19rocblas_complex_numIdELi16ELi16ELi32ELi32ELi8ELi32ELi8ELi8ELi32ELc78ELc78EKS2_S3_S2_EEvlllT_PT11_llS6_llS4_PT12_llPT13_lli
; %bb.0:
	s_clause 0x1
	s_load_dwordx16 s[12:27], s[4:5], 0x0
	s_load_dwordx16 s[36:51], s[4:5], 0x40
	s_mov_b32 s0, s7
	v_mov_b32_e32 v2, 0
	s_ashr_i32 s7, s6, 31
	s_ashr_i32 s1, s0, 31
	s_lshl_b64 s[10:11], s[6:7], 5
	s_waitcnt lgkmcnt(0)
	v_cmp_lt_i64_e64 s2, s[16:17], 1
	s_and_b32 vcc_lo, exec_lo, s2
	s_lshl_b64 s[2:3], s[0:1], 5
	s_cbranch_vccnz .LBB136_11
; %bb.1:
	v_lshl_add_u32 v3, v1, 4, v0
	v_mov_b32_e32 v4, s11
	s_mul_i32 s1, s41, s8
	s_mul_hi_u32 s9, s40, s8
	s_mul_i32 s28, s40, s8
	v_lshrrev_b32_e32 v27, 5, v3
	v_and_b32_e32 v7, 31, v3
	v_lshrrev_b32_e32 v11, 3, v3
	s_add_i32 s29, s9, s1
	s_mul_i32 s1, s27, s8
	s_mul_hi_u32 s9, s26, s8
	v_or_b32_e32 v3, s10, v7
	v_lshlrev_b32_e32 v13, 4, v7
	v_mad_u64_u32 v[7:8], null, s24, v27, 0
	v_add_co_u32 v5, s0, v11, s2
	v_add_co_ci_u32_e64 v6, null, 0, s3, s0
	v_cmp_gt_i64_e32 vcc_lo, s[12:13], v[3:4]
	v_mul_lo_u32 v14, s39, v5
	v_mov_b32_e32 v3, v8
	v_mul_lo_u32 v15, s38, v6
	v_mad_u64_u32 v[9:10], null, s38, v5, 0
	v_cmp_gt_i64_e64 s0, s[14:15], v[5:6]
	v_mad_u64_u32 v[3:4], null, s25, v27, v[3:4]
	v_and_b32_e32 v26, 7, v0
	s_lshl_b64 s[28:29], s[28:29], 4
	s_add_i32 s27, s9, s1
	v_add3_u32 v10, v10, v15, v14
	s_mul_i32 s26, s26, s8
	s_lshl_b64 s[6:7], s[6:7], 9
	v_mov_b32_e32 v8, v3
	s_lshl_b64 s[26:27], s[26:27], 4
	v_lshlrev_b64 v[4:5], 4, v[9:10]
	v_lshlrev_b32_e32 v12, 4, v26
	v_lshl_or_b32 v28, v27, 9, v13
	v_lshlrev_b64 v[6:7], 4, v[7:8]
	v_mov_b32_e32 v16, 0
	v_mov_b32_e32 v14, 0
	v_add_co_u32 v3, s1, v4, s28
	v_add_co_ci_u32_e64 v4, null, s29, v5, s1
	s_add_u32 s1, s6, s26
	s_addc_u32 s6, s7, s27
	v_add_co_u32 v5, s1, s1, v6
	v_add_co_ci_u32_e64 v6, null, s6, v7, s1
	v_add_co_u32 v3, s1, v3, v12
	v_add_co_ci_u32_e64 v4, null, 0, v4, s1
	v_add_co_u32 v5, s1, v5, v13
	v_lshl_or_b32 v11, v11, 7, v12
	v_add_co_ci_u32_e64 v9, null, 0, v6, s1
	v_add_co_u32 v6, s1, s36, v3
	v_add_co_ci_u32_e64 v7, null, s37, v4, s1
	v_add_co_u32 v8, s1, s22, v5
	v_add_nc_u32_e32 v29, 0x1000, v11
	v_mov_b32_e32 v20, 0
	v_mov_b32_e32 v18, 0
	;; [unrolled: 1-line block ×6, first 2 shown]
	v_lshlrev_b32_e32 v30, 4, v0
	v_lshl_add_u32 v31, v1, 7, 0x1000
	v_add_co_ci_u32_e64 v9, null, s23, v9, s1
	v_mov_b32_e32 v17, 0
	v_mov_b32_e32 v15, 0
	v_mov_b32_e32 v21, 0
	v_mov_b32_e32 v19, 0
	v_mov_b32_e32 v13, 0
	v_mov_b32_e32 v11, 0
	v_mov_b32_e32 v25, 0
	v_mov_b32_e32 v23, 0
	s_lshl_b64 s[6:7], s[24:25], 7
	s_mov_b64 s[22:23], 0
	s_xor_b32 s1, vcc_lo, -1
	s_xor_b32 s0, s0, -1
	s_branch .LBB136_3
.LBB136_2:                              ;   in Loop: Header=BB136_3 Depth=1
	s_or_b32 exec_lo, exec_lo, s9
	s_waitcnt lgkmcnt(0)
	s_barrier
	buffer_gl0_inv
	ds_read_b128 v[32:35], v31
	ds_read_b128 v[36:39], v31 offset:16
	ds_read_b128 v[40:43], v31 offset:32
	;; [unrolled: 1-line block ×3, first 2 shown]
	ds_read_b128 v[48:51], v30
	s_add_u32 s22, s22, 8
	s_addc_u32 s23, s23, 0
	v_add_co_u32 v6, vcc_lo, 0x80, v6
	v_cmp_lt_i64_e64 s9, s[22:23], s[16:17]
	v_add_co_ci_u32_e64 v7, null, 0, v7, vcc_lo
	v_add_co_u32 v8, vcc_lo, v8, s6
	v_add_co_ci_u32_e64 v9, null, s7, v9, vcc_lo
	s_and_b32 vcc_lo, exec_lo, s9
	s_waitcnt lgkmcnt(0)
	v_mul_f64 v[3:4], v[34:35], v[50:51]
	v_mul_f64 v[52:53], v[32:33], v[50:51]
	v_fma_f64 v[3:4], v[32:33], v[48:49], -v[3:4]
	v_fma_f64 v[52:53], v[34:35], v[48:49], v[52:53]
	v_add_f64 v[3:4], v[22:23], v[3:4]
	v_add_f64 v[52:53], v[52:53], v[24:25]
	ds_read_b128 v[22:25], v30 offset:256
	s_waitcnt lgkmcnt(0)
	v_mul_f64 v[54:55], v[34:35], v[24:25]
	v_fma_f64 v[54:55], v[32:33], v[22:23], -v[54:55]
	v_mul_f64 v[32:33], v[32:33], v[24:25]
	v_fma_f64 v[32:33], v[34:35], v[22:23], v[32:33]
	v_add_f64 v[34:35], v[10:11], v[54:55]
	v_add_f64 v[32:33], v[32:33], v[12:13]
	ds_read_b128 v[10:13], v31 offset:2048
	s_waitcnt lgkmcnt(0)
	v_mul_f64 v[54:55], v[12:13], v[50:51]
	v_mul_f64 v[50:51], v[10:11], v[50:51]
	v_fma_f64 v[54:55], v[10:11], v[48:49], -v[54:55]
	v_fma_f64 v[48:49], v[12:13], v[48:49], v[50:51]
	v_add_f64 v[50:51], v[18:19], v[54:55]
	v_mul_f64 v[18:19], v[12:13], v[24:25]
	v_add_f64 v[48:49], v[48:49], v[20:21]
	v_fma_f64 v[18:19], v[10:11], v[22:23], -v[18:19]
	v_mul_f64 v[10:11], v[10:11], v[24:25]
	v_fma_f64 v[10:11], v[12:13], v[22:23], v[10:11]
	v_add_f64 v[22:23], v[14:15], v[18:19]
	v_add_f64 v[24:25], v[10:11], v[16:17]
	ds_read_b128 v[10:13], v30 offset:512
	s_waitcnt lgkmcnt(0)
	v_mul_f64 v[14:15], v[38:39], v[12:13]
	v_mul_f64 v[16:17], v[36:37], v[12:13]
	v_fma_f64 v[14:15], v[36:37], v[10:11], -v[14:15]
	v_fma_f64 v[16:17], v[38:39], v[10:11], v[16:17]
	v_add_f64 v[3:4], v[3:4], v[14:15]
	v_add_f64 v[52:53], v[16:17], v[52:53]
	ds_read_b128 v[14:17], v30 offset:768
	s_waitcnt lgkmcnt(0)
	v_mul_f64 v[18:19], v[38:39], v[16:17]
	v_mul_f64 v[20:21], v[36:37], v[16:17]
	v_fma_f64 v[18:19], v[36:37], v[14:15], -v[18:19]
	;; [unrolled: 8-line block ×3, first 2 shown]
	v_fma_f64 v[10:11], v[20:21], v[10:11], v[12:13]
	v_mul_f64 v[12:13], v[18:19], v[16:17]
	v_add_f64 v[36:37], v[50:51], v[36:37]
	v_add_f64 v[38:39], v[10:11], v[48:49]
	v_mul_f64 v[10:11], v[20:21], v[16:17]
	v_fma_f64 v[12:13], v[20:21], v[14:15], v[12:13]
	v_fma_f64 v[10:11], v[18:19], v[14:15], -v[10:11]
	v_add_f64 v[24:25], v[12:13], v[24:25]
	v_add_f64 v[22:23], v[22:23], v[10:11]
	ds_read_b128 v[10:13], v30 offset:1024
	s_waitcnt lgkmcnt(0)
	v_mul_f64 v[14:15], v[42:43], v[12:13]
	v_mul_f64 v[16:17], v[40:41], v[12:13]
	v_fma_f64 v[14:15], v[40:41], v[10:11], -v[14:15]
	v_fma_f64 v[16:17], v[42:43], v[10:11], v[16:17]
	v_add_f64 v[3:4], v[3:4], v[14:15]
	v_add_f64 v[48:49], v[16:17], v[52:53]
	ds_read_b128 v[14:17], v30 offset:1280
	s_waitcnt lgkmcnt(0)
	v_mul_f64 v[18:19], v[42:43], v[16:17]
	v_mul_f64 v[20:21], v[40:41], v[16:17]
	v_fma_f64 v[18:19], v[40:41], v[14:15], -v[18:19]
	v_fma_f64 v[20:21], v[42:43], v[14:15], v[20:21]
	;; [unrolled: 8-line block ×3, first 2 shown]
	v_mul_f64 v[12:13], v[18:19], v[16:17]
	v_add_f64 v[36:37], v[36:37], v[40:41]
	v_add_f64 v[38:39], v[10:11], v[38:39]
	v_mul_f64 v[10:11], v[20:21], v[16:17]
	v_fma_f64 v[12:13], v[20:21], v[14:15], v[12:13]
	v_fma_f64 v[10:11], v[18:19], v[14:15], -v[10:11]
	v_add_f64 v[24:25], v[12:13], v[24:25]
	v_add_f64 v[22:23], v[22:23], v[10:11]
	ds_read_b128 v[10:13], v30 offset:1536
	s_waitcnt lgkmcnt(0)
	v_mul_f64 v[14:15], v[46:47], v[12:13]
	v_mul_f64 v[16:17], v[44:45], v[12:13]
	v_fma_f64 v[14:15], v[44:45], v[10:11], -v[14:15]
	v_fma_f64 v[16:17], v[46:47], v[10:11], v[16:17]
	v_add_f64 v[3:4], v[3:4], v[14:15]
	v_add_f64 v[40:41], v[16:17], v[48:49]
	ds_read_b128 v[14:17], v30 offset:1792
	s_waitcnt lgkmcnt(0)
	v_mul_f64 v[18:19], v[46:47], v[16:17]
	v_mul_f64 v[20:21], v[44:45], v[16:17]
	v_fma_f64 v[18:19], v[44:45], v[14:15], -v[18:19]
	v_fma_f64 v[20:21], v[46:47], v[14:15], v[20:21]
	;; [unrolled: 8-line block ×3, first 2 shown]
	v_mul_f64 v[12:13], v[18:19], v[16:17]
	v_add_f64 v[36:37], v[36:37], v[42:43]
	v_add_f64 v[38:39], v[10:11], v[38:39]
	v_mul_f64 v[10:11], v[20:21], v[16:17]
	v_fma_f64 v[12:13], v[20:21], v[14:15], v[12:13]
	v_fma_f64 v[10:11], v[18:19], v[14:15], -v[10:11]
	v_add_f64 v[24:25], v[12:13], v[24:25]
	v_add_f64 v[22:23], v[22:23], v[10:11]
	ds_read_b128 v[10:13], v31 offset:64
	ds_read_b128 v[14:17], v30 offset:2048
	s_waitcnt lgkmcnt(0)
	v_mul_f64 v[18:19], v[12:13], v[16:17]
	v_mul_f64 v[20:21], v[10:11], v[16:17]
	v_fma_f64 v[18:19], v[10:11], v[14:15], -v[18:19]
	v_fma_f64 v[20:21], v[12:13], v[14:15], v[20:21]
	v_add_f64 v[3:4], v[3:4], v[18:19]
	v_add_f64 v[40:41], v[20:21], v[40:41]
	ds_read_b128 v[18:21], v30 offset:2304
	s_waitcnt lgkmcnt(0)
	v_mul_f64 v[42:43], v[12:13], v[20:21]
	v_fma_f64 v[42:43], v[10:11], v[18:19], -v[42:43]
	v_mul_f64 v[10:11], v[10:11], v[20:21]
	v_add_f64 v[34:35], v[34:35], v[42:43]
	v_fma_f64 v[10:11], v[12:13], v[18:19], v[10:11]
	v_add_f64 v[32:33], v[10:11], v[32:33]
	ds_read_b128 v[10:13], v31 offset:2112
	s_waitcnt lgkmcnt(0)
	v_mul_f64 v[42:43], v[12:13], v[16:17]
	v_mul_f64 v[16:17], v[10:11], v[16:17]
	v_fma_f64 v[42:43], v[10:11], v[14:15], -v[42:43]
	v_fma_f64 v[14:15], v[12:13], v[14:15], v[16:17]
	v_add_f64 v[36:37], v[36:37], v[42:43]
	v_add_f64 v[38:39], v[14:15], v[38:39]
	v_mul_f64 v[14:15], v[12:13], v[20:21]
	v_fma_f64 v[14:15], v[10:11], v[18:19], -v[14:15]
	v_mul_f64 v[10:11], v[10:11], v[20:21]
	v_add_f64 v[22:23], v[22:23], v[14:15]
	v_fma_f64 v[10:11], v[12:13], v[18:19], v[10:11]
	v_add_f64 v[24:25], v[10:11], v[24:25]
	ds_read_b128 v[10:13], v31 offset:80
	ds_read_b128 v[14:17], v30 offset:2560
	s_waitcnt lgkmcnt(0)
	v_mul_f64 v[18:19], v[12:13], v[16:17]
	v_mul_f64 v[20:21], v[10:11], v[16:17]
	v_fma_f64 v[18:19], v[10:11], v[14:15], -v[18:19]
	v_fma_f64 v[20:21], v[12:13], v[14:15], v[20:21]
	v_add_f64 v[3:4], v[3:4], v[18:19]
	v_add_f64 v[40:41], v[20:21], v[40:41]
	ds_read_b128 v[18:21], v30 offset:2816
	s_waitcnt lgkmcnt(0)
	v_mul_f64 v[42:43], v[12:13], v[20:21]
	v_fma_f64 v[42:43], v[10:11], v[18:19], -v[42:43]
	v_mul_f64 v[10:11], v[10:11], v[20:21]
	v_add_f64 v[34:35], v[34:35], v[42:43]
	v_fma_f64 v[10:11], v[12:13], v[18:19], v[10:11]
	v_add_f64 v[32:33], v[10:11], v[32:33]
	ds_read_b128 v[10:13], v31 offset:2128
	s_waitcnt lgkmcnt(0)
	v_mul_f64 v[42:43], v[12:13], v[16:17]
	v_mul_f64 v[16:17], v[10:11], v[16:17]
	v_fma_f64 v[42:43], v[10:11], v[14:15], -v[42:43]
	v_fma_f64 v[14:15], v[12:13], v[14:15], v[16:17]
	v_add_f64 v[36:37], v[36:37], v[42:43]
	v_add_f64 v[38:39], v[14:15], v[38:39]
	v_mul_f64 v[14:15], v[12:13], v[20:21]
	v_fma_f64 v[14:15], v[10:11], v[18:19], -v[14:15]
	v_mul_f64 v[10:11], v[10:11], v[20:21]
	v_add_f64 v[22:23], v[22:23], v[14:15]
	v_fma_f64 v[10:11], v[12:13], v[18:19], v[10:11]
	;; [unrolled: 31-line block ×3, first 2 shown]
	v_add_f64 v[52:53], v[10:11], v[24:25]
	ds_read_b128 v[10:13], v31 offset:112
	ds_read_b128 v[14:17], v30 offset:3584
	;; [unrolled: 1-line block ×4, first 2 shown]
	s_waitcnt lgkmcnt(0)
	s_barrier
	buffer_gl0_inv
	v_mul_f64 v[18:19], v[12:13], v[16:17]
	v_mul_f64 v[20:21], v[10:11], v[16:17]
	v_fma_f64 v[18:19], v[10:11], v[14:15], -v[18:19]
	v_fma_f64 v[20:21], v[12:13], v[14:15], v[20:21]
	v_add_f64 v[22:23], v[3:4], v[18:19]
	v_mul_f64 v[3:4], v[12:13], v[34:35]
	v_add_f64 v[24:25], v[20:21], v[40:41]
	v_fma_f64 v[3:4], v[10:11], v[32:33], -v[3:4]
	v_mul_f64 v[10:11], v[10:11], v[34:35]
	v_fma_f64 v[12:13], v[12:13], v[32:33], v[10:11]
	v_add_f64 v[10:11], v[42:43], v[3:4]
	v_mul_f64 v[3:4], v[38:39], v[16:17]
	v_mul_f64 v[16:17], v[36:37], v[16:17]
	v_add_f64 v[12:13], v[12:13], v[44:45]
	v_fma_f64 v[3:4], v[36:37], v[14:15], -v[3:4]
	v_fma_f64 v[14:15], v[38:39], v[14:15], v[16:17]
	v_add_f64 v[18:19], v[46:47], v[3:4]
	v_add_f64 v[20:21], v[14:15], v[48:49]
	v_mul_f64 v[3:4], v[38:39], v[34:35]
	v_mul_f64 v[14:15], v[36:37], v[34:35]
	v_fma_f64 v[3:4], v[36:37], v[32:33], -v[3:4]
	v_fma_f64 v[16:17], v[38:39], v[32:33], v[14:15]
	v_add_f64 v[14:15], v[50:51], v[3:4]
	v_add_f64 v[16:17], v[16:17], v[52:53]
	s_cbranch_vccz .LBB136_12
.LBB136_3:                              ; =>This Inner Loop Header: Depth=1
	v_add_co_u32 v3, s9, v27, s22
	v_add_co_ci_u32_e64 v4, null, 0, s23, s9
	v_cmp_le_i64_e32 vcc_lo, s[16:17], v[3:4]
	s_or_b32 s9, s1, vcc_lo
	s_and_saveexec_b32 s24, s9
	s_xor_b32 s9, exec_lo, s24
	s_cbranch_execz .LBB136_5
; %bb.4:                                ;   in Loop: Header=BB136_3 Depth=1
	v_mov_b32_e32 v3, v2
	v_mov_b32_e32 v4, v2
	;; [unrolled: 1-line block ×3, first 2 shown]
	ds_write_b128 v28, v[2:5]
.LBB136_5:                              ;   in Loop: Header=BB136_3 Depth=1
	s_andn2_saveexec_b32 s9, s9
	s_cbranch_execz .LBB136_7
; %bb.6:                                ;   in Loop: Header=BB136_3 Depth=1
	global_load_dwordx4 v[32:35], v[8:9], off
	s_waitcnt vmcnt(0)
	ds_write2_b64 v28, v[32:33], v[34:35] offset1:1
.LBB136_7:                              ;   in Loop: Header=BB136_3 Depth=1
	s_or_b32 exec_lo, exec_lo, s9
	v_add_co_u32 v3, s9, v26, s22
	v_add_co_ci_u32_e64 v4, null, 0, s23, s9
	v_cmp_le_i64_e32 vcc_lo, s[16:17], v[3:4]
	s_or_b32 s9, vcc_lo, s0
	s_and_saveexec_b32 s24, s9
	s_xor_b32 s9, exec_lo, s24
	s_cbranch_execz .LBB136_9
; %bb.8:                                ;   in Loop: Header=BB136_3 Depth=1
	v_mov_b32_e32 v3, v2
	v_mov_b32_e32 v4, v2
	;; [unrolled: 1-line block ×3, first 2 shown]
	ds_write_b128 v29, v[2:5]
.LBB136_9:                              ;   in Loop: Header=BB136_3 Depth=1
	s_andn2_saveexec_b32 s9, s9
	s_cbranch_execz .LBB136_2
; %bb.10:                               ;   in Loop: Header=BB136_3 Depth=1
	global_load_dwordx4 v[32:35], v[6:7], off
	s_waitcnt vmcnt(0)
	ds_write2_b64 v29, v[32:33], v[34:35] offset1:1
	s_branch .LBB136_2
.LBB136_11:
	v_mov_b32_e32 v22, 0
	v_mov_b32_e32 v24, 0
	;; [unrolled: 1-line block ×16, first 2 shown]
.LBB136_12:
	s_clause 0x1
	s_load_dwordx2 s[0:1], s[4:5], 0x90
	s_load_dwordx4 s[4:7], s[4:5], 0x80
	v_cmp_neq_f64_e64 s9, s[42:43], 0
	v_cmp_neq_f64_e64 s16, s[44:45], 0
	v_add_co_u32 v1, s2, s2, v1
	v_add_co_ci_u32_e64 v2, null, s3, 0, s2
	s_waitcnt lgkmcnt(0)
	s_mul_i32 s1, s1, s8
	s_mul_hi_u32 s17, s0, s8
	s_mul_i32 s0, s0, s8
	s_add_i32 s1, s17, s1
	s_lshl_b64 s[0:1], s[0:1], 4
	s_add_u32 s3, s4, s0
	v_cmp_gt_i64_e64 s0, s[14:15], v[1:2]
	s_addc_u32 s4, s5, s1
	s_or_b32 s1, s9, s16
	s_and_b32 vcc_lo, exec_lo, s1
	s_mov_b32 s1, -1
	s_cbranch_vccnz .LBB136_24
; %bb.13:
	s_and_saveexec_b32 s5, s0
	s_cbranch_execz .LBB136_23
; %bb.14:
	v_mul_lo_u32 v5, v2, s6
	v_mul_lo_u32 v6, v1, s7
	v_mad_u64_u32 v[3:4], null, v1, s6, 0
	v_add3_u32 v4, v4, v6, v5
	v_add_co_u32 v5, s1, s10, v0
	v_add_co_ci_u32_e64 v6, null, s11, 0, s1
	v_lshlrev_b64 v[7:8], 4, v[3:4]
	v_cmp_gt_i64_e32 vcc_lo, s[12:13], v[5:6]
	v_lshlrev_b64 v[3:4], 4, v[5:6]
	v_add_co_u32 v7, s1, s3, v7
	v_add_co_ci_u32_e64 v8, null, s4, v8, s1
	s_and_saveexec_b32 s2, vcc_lo
	s_cbranch_execz .LBB136_16
; %bb.15:
	v_mul_f64 v[26:27], s[20:21], v[24:25]
	v_mul_f64 v[28:29], s[18:19], v[24:25]
	v_add_co_u32 v30, s1, v7, v3
	v_add_co_ci_u32_e64 v31, null, v8, v4, s1
	v_fma_f64 v[26:27], s[18:19], v[22:23], -v[26:27]
	v_fma_f64 v[28:29], s[20:21], v[22:23], v[28:29]
	global_store_dwordx4 v[30:31], v[26:29], off
.LBB136_16:
	s_or_b32 exec_lo, exec_lo, s2
	v_add_co_u32 v5, s1, v5, 16
	v_add_co_ci_u32_e64 v6, null, 0, v6, s1
	v_cmp_gt_i64_e64 s1, s[12:13], v[5:6]
	s_and_saveexec_b32 s9, s1
	s_cbranch_execz .LBB136_18
; %bb.17:
	v_mul_f64 v[5:6], s[20:21], v[12:13]
	v_mul_f64 v[28:29], s[18:19], v[12:13]
	v_fma_f64 v[26:27], s[18:19], v[10:11], -v[5:6]
	v_fma_f64 v[28:29], s[20:21], v[10:11], v[28:29]
	v_add_co_u32 v5, s2, v7, v3
	v_add_co_ci_u32_e64 v6, null, v8, v4, s2
	global_store_dwordx4 v[5:6], v[26:29], off offset:256
.LBB136_18:
	s_or_b32 exec_lo, exec_lo, s9
	v_add_co_u32 v5, s2, v1, 16
	v_add_co_ci_u32_e64 v6, null, 0, v2, s2
	v_cmp_gt_i64_e64 s2, s[14:15], v[5:6]
	s_and_b32 exec_lo, exec_lo, s2
	s_cbranch_execz .LBB136_23
; %bb.19:
	s_lshl_b64 s[16:17], s[6:7], 8
	v_add_co_u32 v5, s2, v7, s16
	v_add_co_ci_u32_e64 v6, null, s17, v8, s2
	v_add_co_u32 v3, s2, v5, v3
	v_add_co_ci_u32_e64 v4, null, v6, v4, s2
	s_and_saveexec_b32 s2, vcc_lo
	s_cbranch_execz .LBB136_21
; %bb.20:
	v_mul_f64 v[5:6], s[20:21], v[20:21]
	v_mul_f64 v[7:8], s[18:19], v[20:21]
	v_fma_f64 v[5:6], s[18:19], v[18:19], -v[5:6]
	v_fma_f64 v[7:8], s[20:21], v[18:19], v[7:8]
	global_store_dwordx4 v[3:4], v[5:8], off
.LBB136_21:
	s_or_b32 exec_lo, exec_lo, s2
	s_and_b32 exec_lo, exec_lo, s1
	s_cbranch_execz .LBB136_23
; %bb.22:
	v_mul_f64 v[5:6], s[20:21], v[16:17]
	v_mul_f64 v[7:8], s[18:19], v[16:17]
	v_fma_f64 v[5:6], s[18:19], v[14:15], -v[5:6]
	v_fma_f64 v[7:8], s[20:21], v[14:15], v[7:8]
	global_store_dwordx4 v[3:4], v[5:8], off offset:256
.LBB136_23:
	s_or_b32 exec_lo, exec_lo, s5
	s_mov_b32 s1, 0
.LBB136_24:
	s_andn2_b32 vcc_lo, exec_lo, s1
	s_cbranch_vccnz .LBB136_35
; %bb.25:
	s_and_saveexec_b32 s1, s0
	s_cbranch_execz .LBB136_35
; %bb.26:
	v_mul_lo_u32 v5, v2, s48
	v_mul_lo_u32 v6, v1, s49
	v_mad_u64_u32 v[3:4], null, v1, s48, 0
	v_mul_lo_u32 v9, v2, s6
	v_mul_lo_u32 v26, v1, s7
	v_mad_u64_u32 v[7:8], null, v1, s6, 0
	s_mul_i32 s0, s51, s8
	s_mul_hi_u32 s1, s50, s8
	v_add3_u32 v4, v4, v6, v5
	s_add_i32 s1, s1, s0
	s_mul_i32 s0, s50, s8
	v_add_co_u32 v5, s2, s10, v0
	v_add3_u32 v8, v8, v26, v9
	v_lshlrev_b64 v[3:4], 4, v[3:4]
	s_lshl_b64 s[0:1], s[0:1], 4
	v_add_co_ci_u32_e64 v6, null, s11, 0, s2
	v_lshlrev_b64 v[8:9], 4, v[7:8]
	s_add_u32 s0, s46, s0
	s_addc_u32 s1, s47, s1
	v_add_co_u32 v0, s0, s0, v3
	v_add_co_ci_u32_e64 v7, null, s1, v4, s0
	v_add_co_u32 v8, s0, s3, v8
	v_cmp_gt_i64_e32 vcc_lo, s[12:13], v[5:6]
	v_lshlrev_b64 v[3:4], 4, v[5:6]
	v_add_co_ci_u32_e64 v9, null, s4, v9, s0
	s_and_saveexec_b32 s1, vcc_lo
	s_cbranch_execz .LBB136_28
; %bb.27:
	v_add_co_u32 v26, s0, v0, v3
	v_add_co_ci_u32_e64 v27, null, v7, v4, s0
	v_mul_f64 v[30:31], s[20:21], v[24:25]
	v_mul_f64 v[24:25], s[18:19], v[24:25]
	global_load_dwordx4 v[26:29], v[26:27], off
	v_fma_f64 v[30:31], s[18:19], v[22:23], -v[30:31]
	v_fma_f64 v[24:25], s[20:21], v[22:23], v[24:25]
	s_waitcnt vmcnt(0)
	v_mul_f64 v[32:33], s[44:45], v[28:29]
	v_mul_f64 v[28:29], s[42:43], v[28:29]
	v_fma_f64 v[22:23], s[42:43], v[26:27], -v[32:33]
	v_fma_f64 v[26:27], s[44:45], v[26:27], v[28:29]
	v_add_f64 v[22:23], v[30:31], v[22:23]
	v_add_f64 v[24:25], v[24:25], v[26:27]
	v_add_co_u32 v26, s0, v8, v3
	v_add_co_ci_u32_e64 v27, null, v9, v4, s0
	global_store_dwordx4 v[26:27], v[22:25], off
.LBB136_28:
	s_or_b32 exec_lo, exec_lo, s1
	v_add_co_u32 v5, s0, v5, 16
	v_add_co_ci_u32_e64 v6, null, 0, v6, s0
	v_cmp_gt_i64_e64 s0, s[12:13], v[5:6]
	s_and_saveexec_b32 s2, s0
	s_cbranch_execz .LBB136_30
; %bb.29:
	v_add_co_u32 v5, s1, v0, v3
	v_add_co_ci_u32_e64 v6, null, v7, v4, s1
	global_load_dwordx4 v[22:25], v[5:6], off offset:256
	v_mul_f64 v[5:6], s[20:21], v[12:13]
	v_mul_f64 v[12:13], s[18:19], v[12:13]
	v_fma_f64 v[5:6], s[18:19], v[10:11], -v[5:6]
	v_fma_f64 v[12:13], s[20:21], v[10:11], v[12:13]
	s_waitcnt vmcnt(0)
	v_mul_f64 v[26:27], s[44:45], v[24:25]
	v_mul_f64 v[24:25], s[42:43], v[24:25]
	v_fma_f64 v[10:11], s[42:43], v[22:23], -v[26:27]
	v_fma_f64 v[22:23], s[44:45], v[22:23], v[24:25]
	v_add_f64 v[10:11], v[5:6], v[10:11]
	v_add_f64 v[12:13], v[12:13], v[22:23]
	v_add_co_u32 v5, s1, v8, v3
	v_add_co_ci_u32_e64 v6, null, v9, v4, s1
	global_store_dwordx4 v[5:6], v[10:13], off offset:256
.LBB136_30:
	s_or_b32 exec_lo, exec_lo, s2
	v_add_co_u32 v1, s1, v1, 16
	v_add_co_ci_u32_e64 v2, null, 0, v2, s1
	v_cmp_gt_i64_e64 s1, s[14:15], v[1:2]
	s_and_b32 exec_lo, exec_lo, s1
	s_cbranch_execz .LBB136_35
; %bb.31:
	s_lshl_b64 s[2:3], s[48:49], 8
	v_add_co_u32 v0, s1, v0, s2
	v_add_co_ci_u32_e64 v1, null, s3, v7, s1
	s_lshl_b64 s[2:3], s[6:7], 8
	v_add_co_u32 v2, s1, v8, s2
	v_add_co_ci_u32_e64 v7, null, s3, v9, s1
	v_add_co_u32 v5, s1, v0, v3
	v_add_co_ci_u32_e64 v6, null, v1, v4, s1
	;; [unrolled: 2-line block ×3, first 2 shown]
	s_and_saveexec_b32 s1, vcc_lo
	s_cbranch_execz .LBB136_33
; %bb.32:
	global_load_dwordx4 v[7:10], v[5:6], off
	v_mul_f64 v[2:3], s[20:21], v[20:21]
	v_mul_f64 v[11:12], s[18:19], v[20:21]
	v_fma_f64 v[2:3], s[18:19], v[18:19], -v[2:3]
	v_fma_f64 v[11:12], s[20:21], v[18:19], v[11:12]
	s_waitcnt vmcnt(0)
	v_mul_f64 v[20:21], s[44:45], v[9:10]
	v_mul_f64 v[9:10], s[42:43], v[9:10]
	v_fma_f64 v[18:19], s[42:43], v[7:8], -v[20:21]
	v_fma_f64 v[9:10], s[44:45], v[7:8], v[9:10]
	v_add_f64 v[7:8], v[2:3], v[18:19]
	v_add_f64 v[9:10], v[11:12], v[9:10]
	global_store_dwordx4 v[0:1], v[7:10], off
.LBB136_33:
	s_or_b32 exec_lo, exec_lo, s1
	s_and_b32 exec_lo, exec_lo, s0
	s_cbranch_execz .LBB136_35
; %bb.34:
	global_load_dwordx4 v[2:5], v[5:6], off offset:256
	v_mul_f64 v[6:7], s[20:21], v[16:17]
	v_mul_f64 v[8:9], s[18:19], v[16:17]
	v_fma_f64 v[6:7], s[18:19], v[14:15], -v[6:7]
	v_fma_f64 v[8:9], s[20:21], v[14:15], v[8:9]
	s_waitcnt vmcnt(0)
	v_mul_f64 v[10:11], s[44:45], v[4:5]
	v_mul_f64 v[4:5], s[42:43], v[4:5]
	v_fma_f64 v[10:11], s[42:43], v[2:3], -v[10:11]
	v_fma_f64 v[4:5], s[44:45], v[2:3], v[4:5]
	v_add_f64 v[2:3], v[6:7], v[10:11]
	v_add_f64 v[4:5], v[8:9], v[4:5]
	global_store_dwordx4 v[0:1], v[2:5], off offset:256
.LBB136_35:
	s_endpgm
	.section	.rodata,"a",@progbits
	.p2align	6, 0x0
	.amdhsa_kernel _ZN12_GLOBAL__N_135rocblas_gemm_batched_general_kernelI19rocblas_complex_numIdELi16ELi16ELi32ELi32ELi8ELi32ELi8ELi8ELi32ELc78ELc78EKS2_S3_S2_EEvlllT_PT11_llS6_llS4_PT12_llPT13_lli
		.amdhsa_group_segment_fixed_size 8192
		.amdhsa_private_segment_fixed_size 0
		.amdhsa_kernarg_size 156
		.amdhsa_user_sgpr_count 6
		.amdhsa_user_sgpr_private_segment_buffer 1
		.amdhsa_user_sgpr_dispatch_ptr 0
		.amdhsa_user_sgpr_queue_ptr 0
		.amdhsa_user_sgpr_kernarg_segment_ptr 1
		.amdhsa_user_sgpr_dispatch_id 0
		.amdhsa_user_sgpr_flat_scratch_init 0
		.amdhsa_user_sgpr_private_segment_size 0
		.amdhsa_wavefront_size32 1
		.amdhsa_uses_dynamic_stack 0
		.amdhsa_system_sgpr_private_segment_wavefront_offset 0
		.amdhsa_system_sgpr_workgroup_id_x 1
		.amdhsa_system_sgpr_workgroup_id_y 1
		.amdhsa_system_sgpr_workgroup_id_z 1
		.amdhsa_system_sgpr_workgroup_info 0
		.amdhsa_system_vgpr_workitem_id 1
		.amdhsa_next_free_vgpr 56
		.amdhsa_next_free_sgpr 52
		.amdhsa_reserve_vcc 1
		.amdhsa_reserve_flat_scratch 0
		.amdhsa_float_round_mode_32 0
		.amdhsa_float_round_mode_16_64 0
		.amdhsa_float_denorm_mode_32 3
		.amdhsa_float_denorm_mode_16_64 3
		.amdhsa_dx10_clamp 1
		.amdhsa_ieee_mode 1
		.amdhsa_fp16_overflow 0
		.amdhsa_workgroup_processor_mode 1
		.amdhsa_memory_ordered 1
		.amdhsa_forward_progress 1
		.amdhsa_shared_vgpr_count 0
		.amdhsa_exception_fp_ieee_invalid_op 0
		.amdhsa_exception_fp_denorm_src 0
		.amdhsa_exception_fp_ieee_div_zero 0
		.amdhsa_exception_fp_ieee_overflow 0
		.amdhsa_exception_fp_ieee_underflow 0
		.amdhsa_exception_fp_ieee_inexact 0
		.amdhsa_exception_int_div_zero 0
	.end_amdhsa_kernel
	.section	.text._ZN12_GLOBAL__N_135rocblas_gemm_batched_general_kernelI19rocblas_complex_numIdELi16ELi16ELi32ELi32ELi8ELi32ELi8ELi8ELi32ELc78ELc78EKS2_S3_S2_EEvlllT_PT11_llS6_llS4_PT12_llPT13_lli,"axG",@progbits,_ZN12_GLOBAL__N_135rocblas_gemm_batched_general_kernelI19rocblas_complex_numIdELi16ELi16ELi32ELi32ELi8ELi32ELi8ELi8ELi32ELc78ELc78EKS2_S3_S2_EEvlllT_PT11_llS6_llS4_PT12_llPT13_lli,comdat
.Lfunc_end136:
	.size	_ZN12_GLOBAL__N_135rocblas_gemm_batched_general_kernelI19rocblas_complex_numIdELi16ELi16ELi32ELi32ELi8ELi32ELi8ELi8ELi32ELc78ELc78EKS2_S3_S2_EEvlllT_PT11_llS6_llS4_PT12_llPT13_lli, .Lfunc_end136-_ZN12_GLOBAL__N_135rocblas_gemm_batched_general_kernelI19rocblas_complex_numIdELi16ELi16ELi32ELi32ELi8ELi32ELi8ELi8ELi32ELc78ELc78EKS2_S3_S2_EEvlllT_PT11_llS6_llS4_PT12_llPT13_lli
                                        ; -- End function
	.set _ZN12_GLOBAL__N_135rocblas_gemm_batched_general_kernelI19rocblas_complex_numIdELi16ELi16ELi32ELi32ELi8ELi32ELi8ELi8ELi32ELc78ELc78EKS2_S3_S2_EEvlllT_PT11_llS6_llS4_PT12_llPT13_lli.num_vgpr, 56
	.set _ZN12_GLOBAL__N_135rocblas_gemm_batched_general_kernelI19rocblas_complex_numIdELi16ELi16ELi32ELi32ELi8ELi32ELi8ELi8ELi32ELc78ELc78EKS2_S3_S2_EEvlllT_PT11_llS6_llS4_PT12_llPT13_lli.num_agpr, 0
	.set _ZN12_GLOBAL__N_135rocblas_gemm_batched_general_kernelI19rocblas_complex_numIdELi16ELi16ELi32ELi32ELi8ELi32ELi8ELi8ELi32ELc78ELc78EKS2_S3_S2_EEvlllT_PT11_llS6_llS4_PT12_llPT13_lli.numbered_sgpr, 52
	.set _ZN12_GLOBAL__N_135rocblas_gemm_batched_general_kernelI19rocblas_complex_numIdELi16ELi16ELi32ELi32ELi8ELi32ELi8ELi8ELi32ELc78ELc78EKS2_S3_S2_EEvlllT_PT11_llS6_llS4_PT12_llPT13_lli.num_named_barrier, 0
	.set _ZN12_GLOBAL__N_135rocblas_gemm_batched_general_kernelI19rocblas_complex_numIdELi16ELi16ELi32ELi32ELi8ELi32ELi8ELi8ELi32ELc78ELc78EKS2_S3_S2_EEvlllT_PT11_llS6_llS4_PT12_llPT13_lli.private_seg_size, 0
	.set _ZN12_GLOBAL__N_135rocblas_gemm_batched_general_kernelI19rocblas_complex_numIdELi16ELi16ELi32ELi32ELi8ELi32ELi8ELi8ELi32ELc78ELc78EKS2_S3_S2_EEvlllT_PT11_llS6_llS4_PT12_llPT13_lli.uses_vcc, 1
	.set _ZN12_GLOBAL__N_135rocblas_gemm_batched_general_kernelI19rocblas_complex_numIdELi16ELi16ELi32ELi32ELi8ELi32ELi8ELi8ELi32ELc78ELc78EKS2_S3_S2_EEvlllT_PT11_llS6_llS4_PT12_llPT13_lli.uses_flat_scratch, 0
	.set _ZN12_GLOBAL__N_135rocblas_gemm_batched_general_kernelI19rocblas_complex_numIdELi16ELi16ELi32ELi32ELi8ELi32ELi8ELi8ELi32ELc78ELc78EKS2_S3_S2_EEvlllT_PT11_llS6_llS4_PT12_llPT13_lli.has_dyn_sized_stack, 0
	.set _ZN12_GLOBAL__N_135rocblas_gemm_batched_general_kernelI19rocblas_complex_numIdELi16ELi16ELi32ELi32ELi8ELi32ELi8ELi8ELi32ELc78ELc78EKS2_S3_S2_EEvlllT_PT11_llS6_llS4_PT12_llPT13_lli.has_recursion, 0
	.set _ZN12_GLOBAL__N_135rocblas_gemm_batched_general_kernelI19rocblas_complex_numIdELi16ELi16ELi32ELi32ELi8ELi32ELi8ELi8ELi32ELc78ELc78EKS2_S3_S2_EEvlllT_PT11_llS6_llS4_PT12_llPT13_lli.has_indirect_call, 0
	.section	.AMDGPU.csdata,"",@progbits
; Kernel info:
; codeLenInByte = 4048
; TotalNumSgprs: 54
; NumVgprs: 56
; ScratchSize: 0
; MemoryBound: 0
; FloatMode: 240
; IeeeMode: 1
; LDSByteSize: 8192 bytes/workgroup (compile time only)
; SGPRBlocks: 0
; VGPRBlocks: 6
; NumSGPRsForWavesPerEU: 54
; NumVGPRsForWavesPerEU: 56
; Occupancy: 16
; WaveLimiterHint : 0
; COMPUTE_PGM_RSRC2:SCRATCH_EN: 0
; COMPUTE_PGM_RSRC2:USER_SGPR: 6
; COMPUTE_PGM_RSRC2:TRAP_HANDLER: 0
; COMPUTE_PGM_RSRC2:TGID_X_EN: 1
; COMPUTE_PGM_RSRC2:TGID_Y_EN: 1
; COMPUTE_PGM_RSRC2:TGID_Z_EN: 1
; COMPUTE_PGM_RSRC2:TIDIG_COMP_CNT: 1
	.section	.text._ZN12_GLOBAL__N_135rocblas_gemm_batched_general_kernelI19rocblas_complex_numIdELi16ELi16ELi32ELi32ELi8ELi32ELi8ELi8ELi32ELc84ELc78EKS2_S3_S2_EEvlllT_PT11_llS6_llS4_PT12_llPT13_lli,"axG",@progbits,_ZN12_GLOBAL__N_135rocblas_gemm_batched_general_kernelI19rocblas_complex_numIdELi16ELi16ELi32ELi32ELi8ELi32ELi8ELi8ELi32ELc84ELc78EKS2_S3_S2_EEvlllT_PT11_llS6_llS4_PT12_llPT13_lli,comdat
	.globl	_ZN12_GLOBAL__N_135rocblas_gemm_batched_general_kernelI19rocblas_complex_numIdELi16ELi16ELi32ELi32ELi8ELi32ELi8ELi8ELi32ELc84ELc78EKS2_S3_S2_EEvlllT_PT11_llS6_llS4_PT12_llPT13_lli ; -- Begin function _ZN12_GLOBAL__N_135rocblas_gemm_batched_general_kernelI19rocblas_complex_numIdELi16ELi16ELi32ELi32ELi8ELi32ELi8ELi8ELi32ELc84ELc78EKS2_S3_S2_EEvlllT_PT11_llS6_llS4_PT12_llPT13_lli
	.p2align	8
	.type	_ZN12_GLOBAL__N_135rocblas_gemm_batched_general_kernelI19rocblas_complex_numIdELi16ELi16ELi32ELi32ELi8ELi32ELi8ELi8ELi32ELc84ELc78EKS2_S3_S2_EEvlllT_PT11_llS6_llS4_PT12_llPT13_lli,@function
_ZN12_GLOBAL__N_135rocblas_gemm_batched_general_kernelI19rocblas_complex_numIdELi16ELi16ELi32ELi32ELi8ELi32ELi8ELi8ELi32ELc84ELc78EKS2_S3_S2_EEvlllT_PT11_llS6_llS4_PT12_llPT13_lli: ; @_ZN12_GLOBAL__N_135rocblas_gemm_batched_general_kernelI19rocblas_complex_numIdELi16ELi16ELi32ELi32ELi8ELi32ELi8ELi8ELi32ELc84ELc78EKS2_S3_S2_EEvlllT_PT11_llS6_llS4_PT12_llPT13_lli
; %bb.0:
	s_clause 0x1
	s_load_dwordx16 s[12:27], s[4:5], 0x0
	s_load_dwordx16 s[36:51], s[4:5], 0x40
	s_mov_b32 s0, s7
	v_mov_b32_e32 v2, 0
	s_ashr_i32 s7, s6, 31
	s_ashr_i32 s1, s0, 31
	s_lshl_b64 s[10:11], s[6:7], 5
	s_waitcnt lgkmcnt(0)
	v_cmp_lt_i64_e64 s2, s[16:17], 1
	s_and_b32 vcc_lo, exec_lo, s2
	s_lshl_b64 s[2:3], s[0:1], 5
	s_cbranch_vccnz .LBB137_11
; %bb.1:
	v_lshl_add_u32 v3, v1, 4, v0
	v_and_b32_e32 v26, 7, v0
	v_mov_b32_e32 v4, s11
	s_mul_hi_u32 s6, s40, s8
	v_mov_b32_e32 v16, 0
	v_lshrrev_b32_e32 v8, 3, v3
	v_and_b32_e32 v7, 31, v3
	v_lshrrev_b32_e32 v27, 5, v3
	v_lshlrev_b32_e32 v10, 4, v26
	v_mov_b32_e32 v14, 0
	v_add_co_u32 v5, s0, v8, s2
	v_or_b32_e32 v3, s10, v7
	v_lshlrev_b32_e32 v9, 4, v7
	v_add_co_ci_u32_e64 v6, null, 0, s3, s0
	v_add_co_u32 v7, s1, s10, v7
	v_cmp_gt_i64_e32 vcc_lo, s[12:13], v[3:4]
	v_lshl_or_b32 v28, v27, 9, v9
	v_cmp_gt_i64_e64 s0, s[14:15], v[5:6]
	v_mul_lo_u32 v9, s39, v5
	v_mul_lo_u32 v6, s38, v6
	v_mad_u64_u32 v[3:4], null, s38, v5, 0
	v_lshl_or_b32 v5, v8, 7, v10
	v_add_co_ci_u32_e64 v8, null, s11, 0, s1
	s_mul_i32 s1, s41, s8
	v_mov_b32_e32 v20, 0
	v_add_nc_u32_e32 v29, 0x1000, v5
	v_add3_u32 v4, v4, v6, v9
	v_mul_lo_u32 v9, s25, v7
	v_mul_lo_u32 v8, s24, v8
	v_mad_u64_u32 v[5:6], null, s24, v7, 0
	v_lshlrev_b64 v[3:4], 4, v[3:4]
	s_add_i32 s7, s6, s1
	s_mul_i32 s6, s40, s8
	v_mov_b32_e32 v18, 0
	s_lshl_b64 s[6:7], s[6:7], 4
	v_mov_b32_e32 v12, 0
	v_add3_u32 v6, v6, v8, v9
	v_add_co_u32 v7, s1, v3, s6
	v_add_co_ci_u32_e64 v8, null, s7, v4, s1
	s_mul_i32 s1, s27, s8
	s_mul_hi_u32 s6, s26, s8
	v_lshlrev_b64 v[3:4], 4, v[5:6]
	s_add_i32 s7, s6, s1
	s_mul_i32 s6, s26, s8
	v_add_co_u32 v5, s1, v7, v10
	s_lshl_b64 s[6:7], s[6:7], 4
	v_add_co_ci_u32_e64 v7, null, 0, v8, s1
	v_add_co_u32 v3, s1, v3, s6
	v_lshlrev_b32_e32 v8, 4, v27
	v_add_co_ci_u32_e64 v4, null, s7, v4, s1
	v_add_co_u32 v6, s1, s36, v5
	v_add_co_ci_u32_e64 v7, null, s37, v7, s1
	v_add_co_u32 v3, s1, v3, v8
	v_add_co_ci_u32_e64 v4, null, 0, v4, s1
	v_mov_b32_e32 v10, 0
	v_add_co_u32 v8, s1, s22, v3
	v_mov_b32_e32 v24, 0
	v_mov_b32_e32 v22, 0
	v_lshlrev_b32_e32 v30, 4, v0
	v_lshl_add_u32 v31, v1, 7, 0x1000
	v_mov_b32_e32 v17, 0
	v_mov_b32_e32 v15, 0
	v_mov_b32_e32 v21, 0
	v_mov_b32_e32 v19, 0
	v_mov_b32_e32 v13, 0
	v_mov_b32_e32 v11, 0
	v_mov_b32_e32 v25, 0
	v_mov_b32_e32 v23, 0
	v_add_co_ci_u32_e64 v9, null, s23, v4, s1
	s_mov_b64 s[6:7], 0
	s_xor_b32 s1, vcc_lo, -1
	s_xor_b32 s0, s0, -1
	s_branch .LBB137_3
.LBB137_2:                              ;   in Loop: Header=BB137_3 Depth=1
	s_or_b32 exec_lo, exec_lo, s9
	s_waitcnt lgkmcnt(0)
	s_barrier
	buffer_gl0_inv
	ds_read_b128 v[32:35], v31
	ds_read_b128 v[36:39], v31 offset:16
	ds_read_b128 v[40:43], v31 offset:32
	;; [unrolled: 1-line block ×3, first 2 shown]
	ds_read_b128 v[48:51], v30
	s_add_u32 s6, s6, 8
	s_addc_u32 s7, s7, 0
	v_add_co_u32 v6, vcc_lo, 0x80, v6
	v_cmp_lt_i64_e64 s9, s[6:7], s[16:17]
	v_add_co_ci_u32_e64 v7, null, 0, v7, vcc_lo
	v_add_co_u32 v8, vcc_lo, 0x80, v8
	v_add_co_ci_u32_e64 v9, null, 0, v9, vcc_lo
	s_and_b32 vcc_lo, exec_lo, s9
	s_waitcnt lgkmcnt(0)
	v_mul_f64 v[3:4], v[34:35], v[50:51]
	v_mul_f64 v[52:53], v[32:33], v[50:51]
	v_fma_f64 v[3:4], v[32:33], v[48:49], -v[3:4]
	v_fma_f64 v[52:53], v[34:35], v[48:49], v[52:53]
	v_add_f64 v[3:4], v[22:23], v[3:4]
	v_add_f64 v[52:53], v[52:53], v[24:25]
	ds_read_b128 v[22:25], v30 offset:256
	s_waitcnt lgkmcnt(0)
	v_mul_f64 v[54:55], v[34:35], v[24:25]
	v_fma_f64 v[54:55], v[32:33], v[22:23], -v[54:55]
	v_mul_f64 v[32:33], v[32:33], v[24:25]
	v_fma_f64 v[32:33], v[34:35], v[22:23], v[32:33]
	v_add_f64 v[34:35], v[10:11], v[54:55]
	v_add_f64 v[32:33], v[32:33], v[12:13]
	ds_read_b128 v[10:13], v31 offset:2048
	s_waitcnt lgkmcnt(0)
	v_mul_f64 v[54:55], v[12:13], v[50:51]
	v_mul_f64 v[50:51], v[10:11], v[50:51]
	v_fma_f64 v[54:55], v[10:11], v[48:49], -v[54:55]
	v_fma_f64 v[48:49], v[12:13], v[48:49], v[50:51]
	v_add_f64 v[50:51], v[18:19], v[54:55]
	v_mul_f64 v[18:19], v[12:13], v[24:25]
	v_add_f64 v[48:49], v[48:49], v[20:21]
	v_fma_f64 v[18:19], v[10:11], v[22:23], -v[18:19]
	v_mul_f64 v[10:11], v[10:11], v[24:25]
	v_fma_f64 v[10:11], v[12:13], v[22:23], v[10:11]
	v_add_f64 v[22:23], v[14:15], v[18:19]
	v_add_f64 v[24:25], v[10:11], v[16:17]
	ds_read_b128 v[10:13], v30 offset:512
	s_waitcnt lgkmcnt(0)
	v_mul_f64 v[14:15], v[38:39], v[12:13]
	v_mul_f64 v[16:17], v[36:37], v[12:13]
	v_fma_f64 v[14:15], v[36:37], v[10:11], -v[14:15]
	v_fma_f64 v[16:17], v[38:39], v[10:11], v[16:17]
	v_add_f64 v[3:4], v[3:4], v[14:15]
	v_add_f64 v[52:53], v[16:17], v[52:53]
	ds_read_b128 v[14:17], v30 offset:768
	s_waitcnt lgkmcnt(0)
	v_mul_f64 v[18:19], v[38:39], v[16:17]
	v_mul_f64 v[20:21], v[36:37], v[16:17]
	v_fma_f64 v[18:19], v[36:37], v[14:15], -v[18:19]
	;; [unrolled: 8-line block ×3, first 2 shown]
	v_fma_f64 v[10:11], v[20:21], v[10:11], v[12:13]
	v_mul_f64 v[12:13], v[18:19], v[16:17]
	v_add_f64 v[36:37], v[50:51], v[36:37]
	v_add_f64 v[38:39], v[10:11], v[48:49]
	v_mul_f64 v[10:11], v[20:21], v[16:17]
	v_fma_f64 v[12:13], v[20:21], v[14:15], v[12:13]
	v_fma_f64 v[10:11], v[18:19], v[14:15], -v[10:11]
	v_add_f64 v[24:25], v[12:13], v[24:25]
	v_add_f64 v[22:23], v[22:23], v[10:11]
	ds_read_b128 v[10:13], v30 offset:1024
	s_waitcnt lgkmcnt(0)
	v_mul_f64 v[14:15], v[42:43], v[12:13]
	v_mul_f64 v[16:17], v[40:41], v[12:13]
	v_fma_f64 v[14:15], v[40:41], v[10:11], -v[14:15]
	v_fma_f64 v[16:17], v[42:43], v[10:11], v[16:17]
	v_add_f64 v[3:4], v[3:4], v[14:15]
	v_add_f64 v[48:49], v[16:17], v[52:53]
	ds_read_b128 v[14:17], v30 offset:1280
	s_waitcnt lgkmcnt(0)
	v_mul_f64 v[18:19], v[42:43], v[16:17]
	v_mul_f64 v[20:21], v[40:41], v[16:17]
	v_fma_f64 v[18:19], v[40:41], v[14:15], -v[18:19]
	v_fma_f64 v[20:21], v[42:43], v[14:15], v[20:21]
	v_add_f64 v[34:35], v[34:35], v[18:19]
	v_add_f64 v[32:33], v[20:21], v[32:33]
	ds_read_b128 v[18:21], v31 offset:2080
	s_waitcnt lgkmcnt(0)
	v_mul_f64 v[40:41], v[20:21], v[12:13]
	v_mul_f64 v[12:13], v[18:19], v[12:13]
	v_fma_f64 v[40:41], v[18:19], v[10:11], -v[40:41]
	v_fma_f64 v[10:11], v[20:21], v[10:11], v[12:13]
	v_mul_f64 v[12:13], v[18:19], v[16:17]
	v_add_f64 v[36:37], v[36:37], v[40:41]
	v_add_f64 v[38:39], v[10:11], v[38:39]
	v_mul_f64 v[10:11], v[20:21], v[16:17]
	v_fma_f64 v[12:13], v[20:21], v[14:15], v[12:13]
	v_fma_f64 v[10:11], v[18:19], v[14:15], -v[10:11]
	v_add_f64 v[24:25], v[12:13], v[24:25]
	v_add_f64 v[22:23], v[22:23], v[10:11]
	ds_read_b128 v[10:13], v30 offset:1536
	s_waitcnt lgkmcnt(0)
	v_mul_f64 v[14:15], v[46:47], v[12:13]
	v_mul_f64 v[16:17], v[44:45], v[12:13]
	v_fma_f64 v[14:15], v[44:45], v[10:11], -v[14:15]
	v_fma_f64 v[16:17], v[46:47], v[10:11], v[16:17]
	v_add_f64 v[3:4], v[3:4], v[14:15]
	v_add_f64 v[40:41], v[16:17], v[48:49]
	ds_read_b128 v[14:17], v30 offset:1792
	s_waitcnt lgkmcnt(0)
	v_mul_f64 v[18:19], v[46:47], v[16:17]
	v_mul_f64 v[20:21], v[44:45], v[16:17]
	v_fma_f64 v[18:19], v[44:45], v[14:15], -v[18:19]
	v_fma_f64 v[20:21], v[46:47], v[14:15], v[20:21]
	;; [unrolled: 8-line block ×3, first 2 shown]
	v_mul_f64 v[12:13], v[18:19], v[16:17]
	v_add_f64 v[36:37], v[36:37], v[42:43]
	v_add_f64 v[38:39], v[10:11], v[38:39]
	v_mul_f64 v[10:11], v[20:21], v[16:17]
	v_fma_f64 v[12:13], v[20:21], v[14:15], v[12:13]
	v_fma_f64 v[10:11], v[18:19], v[14:15], -v[10:11]
	v_add_f64 v[24:25], v[12:13], v[24:25]
	v_add_f64 v[22:23], v[22:23], v[10:11]
	ds_read_b128 v[10:13], v31 offset:64
	ds_read_b128 v[14:17], v30 offset:2048
	s_waitcnt lgkmcnt(0)
	v_mul_f64 v[18:19], v[12:13], v[16:17]
	v_mul_f64 v[20:21], v[10:11], v[16:17]
	v_fma_f64 v[18:19], v[10:11], v[14:15], -v[18:19]
	v_fma_f64 v[20:21], v[12:13], v[14:15], v[20:21]
	v_add_f64 v[3:4], v[3:4], v[18:19]
	v_add_f64 v[40:41], v[20:21], v[40:41]
	ds_read_b128 v[18:21], v30 offset:2304
	s_waitcnt lgkmcnt(0)
	v_mul_f64 v[42:43], v[12:13], v[20:21]
	v_fma_f64 v[42:43], v[10:11], v[18:19], -v[42:43]
	v_mul_f64 v[10:11], v[10:11], v[20:21]
	v_add_f64 v[34:35], v[34:35], v[42:43]
	v_fma_f64 v[10:11], v[12:13], v[18:19], v[10:11]
	v_add_f64 v[32:33], v[10:11], v[32:33]
	ds_read_b128 v[10:13], v31 offset:2112
	s_waitcnt lgkmcnt(0)
	v_mul_f64 v[42:43], v[12:13], v[16:17]
	v_mul_f64 v[16:17], v[10:11], v[16:17]
	v_fma_f64 v[42:43], v[10:11], v[14:15], -v[42:43]
	v_fma_f64 v[14:15], v[12:13], v[14:15], v[16:17]
	v_add_f64 v[36:37], v[36:37], v[42:43]
	v_add_f64 v[38:39], v[14:15], v[38:39]
	v_mul_f64 v[14:15], v[12:13], v[20:21]
	v_fma_f64 v[14:15], v[10:11], v[18:19], -v[14:15]
	v_mul_f64 v[10:11], v[10:11], v[20:21]
	v_add_f64 v[22:23], v[22:23], v[14:15]
	v_fma_f64 v[10:11], v[12:13], v[18:19], v[10:11]
	v_add_f64 v[24:25], v[10:11], v[24:25]
	ds_read_b128 v[10:13], v31 offset:80
	ds_read_b128 v[14:17], v30 offset:2560
	s_waitcnt lgkmcnt(0)
	v_mul_f64 v[18:19], v[12:13], v[16:17]
	v_mul_f64 v[20:21], v[10:11], v[16:17]
	v_fma_f64 v[18:19], v[10:11], v[14:15], -v[18:19]
	v_fma_f64 v[20:21], v[12:13], v[14:15], v[20:21]
	v_add_f64 v[3:4], v[3:4], v[18:19]
	v_add_f64 v[40:41], v[20:21], v[40:41]
	ds_read_b128 v[18:21], v30 offset:2816
	s_waitcnt lgkmcnt(0)
	v_mul_f64 v[42:43], v[12:13], v[20:21]
	v_fma_f64 v[42:43], v[10:11], v[18:19], -v[42:43]
	v_mul_f64 v[10:11], v[10:11], v[20:21]
	v_add_f64 v[34:35], v[34:35], v[42:43]
	v_fma_f64 v[10:11], v[12:13], v[18:19], v[10:11]
	v_add_f64 v[32:33], v[10:11], v[32:33]
	ds_read_b128 v[10:13], v31 offset:2128
	s_waitcnt lgkmcnt(0)
	v_mul_f64 v[42:43], v[12:13], v[16:17]
	v_mul_f64 v[16:17], v[10:11], v[16:17]
	v_fma_f64 v[42:43], v[10:11], v[14:15], -v[42:43]
	v_fma_f64 v[14:15], v[12:13], v[14:15], v[16:17]
	v_add_f64 v[36:37], v[36:37], v[42:43]
	v_add_f64 v[38:39], v[14:15], v[38:39]
	v_mul_f64 v[14:15], v[12:13], v[20:21]
	v_fma_f64 v[14:15], v[10:11], v[18:19], -v[14:15]
	v_mul_f64 v[10:11], v[10:11], v[20:21]
	v_add_f64 v[22:23], v[22:23], v[14:15]
	v_fma_f64 v[10:11], v[12:13], v[18:19], v[10:11]
	;; [unrolled: 31-line block ×3, first 2 shown]
	v_add_f64 v[52:53], v[10:11], v[24:25]
	ds_read_b128 v[10:13], v31 offset:112
	ds_read_b128 v[14:17], v30 offset:3584
	;; [unrolled: 1-line block ×4, first 2 shown]
	s_waitcnt lgkmcnt(0)
	s_barrier
	buffer_gl0_inv
	v_mul_f64 v[18:19], v[12:13], v[16:17]
	v_mul_f64 v[20:21], v[10:11], v[16:17]
	v_fma_f64 v[18:19], v[10:11], v[14:15], -v[18:19]
	v_fma_f64 v[20:21], v[12:13], v[14:15], v[20:21]
	v_add_f64 v[22:23], v[3:4], v[18:19]
	v_mul_f64 v[3:4], v[12:13], v[34:35]
	v_add_f64 v[24:25], v[20:21], v[40:41]
	v_fma_f64 v[3:4], v[10:11], v[32:33], -v[3:4]
	v_mul_f64 v[10:11], v[10:11], v[34:35]
	v_fma_f64 v[12:13], v[12:13], v[32:33], v[10:11]
	v_add_f64 v[10:11], v[42:43], v[3:4]
	v_mul_f64 v[3:4], v[38:39], v[16:17]
	v_mul_f64 v[16:17], v[36:37], v[16:17]
	v_add_f64 v[12:13], v[12:13], v[44:45]
	v_fma_f64 v[3:4], v[36:37], v[14:15], -v[3:4]
	v_fma_f64 v[14:15], v[38:39], v[14:15], v[16:17]
	v_add_f64 v[18:19], v[46:47], v[3:4]
	v_add_f64 v[20:21], v[14:15], v[48:49]
	v_mul_f64 v[3:4], v[38:39], v[34:35]
	v_mul_f64 v[14:15], v[36:37], v[34:35]
	v_fma_f64 v[3:4], v[36:37], v[32:33], -v[3:4]
	v_fma_f64 v[16:17], v[38:39], v[32:33], v[14:15]
	v_add_f64 v[14:15], v[50:51], v[3:4]
	v_add_f64 v[16:17], v[16:17], v[52:53]
	s_cbranch_vccz .LBB137_12
.LBB137_3:                              ; =>This Inner Loop Header: Depth=1
	v_add_co_u32 v3, s9, v27, s6
	v_add_co_ci_u32_e64 v4, null, 0, s7, s9
	v_cmp_le_i64_e32 vcc_lo, s[16:17], v[3:4]
	s_or_b32 s9, s1, vcc_lo
	s_and_saveexec_b32 s22, s9
	s_xor_b32 s9, exec_lo, s22
	s_cbranch_execz .LBB137_5
; %bb.4:                                ;   in Loop: Header=BB137_3 Depth=1
	v_mov_b32_e32 v3, v2
	v_mov_b32_e32 v4, v2
	;; [unrolled: 1-line block ×3, first 2 shown]
	ds_write_b128 v28, v[2:5]
.LBB137_5:                              ;   in Loop: Header=BB137_3 Depth=1
	s_andn2_saveexec_b32 s9, s9
	s_cbranch_execz .LBB137_7
; %bb.6:                                ;   in Loop: Header=BB137_3 Depth=1
	global_load_dwordx4 v[32:35], v[8:9], off
	s_waitcnt vmcnt(0)
	ds_write2_b64 v28, v[32:33], v[34:35] offset1:1
.LBB137_7:                              ;   in Loop: Header=BB137_3 Depth=1
	s_or_b32 exec_lo, exec_lo, s9
	v_add_co_u32 v3, s9, v26, s6
	v_add_co_ci_u32_e64 v4, null, 0, s7, s9
	v_cmp_le_i64_e32 vcc_lo, s[16:17], v[3:4]
	s_or_b32 s9, vcc_lo, s0
	s_and_saveexec_b32 s22, s9
	s_xor_b32 s9, exec_lo, s22
	s_cbranch_execz .LBB137_9
; %bb.8:                                ;   in Loop: Header=BB137_3 Depth=1
	v_mov_b32_e32 v3, v2
	v_mov_b32_e32 v4, v2
	;; [unrolled: 1-line block ×3, first 2 shown]
	ds_write_b128 v29, v[2:5]
.LBB137_9:                              ;   in Loop: Header=BB137_3 Depth=1
	s_andn2_saveexec_b32 s9, s9
	s_cbranch_execz .LBB137_2
; %bb.10:                               ;   in Loop: Header=BB137_3 Depth=1
	global_load_dwordx4 v[32:35], v[6:7], off
	s_waitcnt vmcnt(0)
	ds_write2_b64 v29, v[32:33], v[34:35] offset1:1
	s_branch .LBB137_2
.LBB137_11:
	v_mov_b32_e32 v22, 0
	v_mov_b32_e32 v24, 0
	v_mov_b32_e32 v10, 0
	v_mov_b32_e32 v12, 0
	v_mov_b32_e32 v18, 0
	v_mov_b32_e32 v20, 0
	v_mov_b32_e32 v14, 0
	v_mov_b32_e32 v16, 0
	v_mov_b32_e32 v23, 0
	v_mov_b32_e32 v25, 0
	v_mov_b32_e32 v11, 0
	v_mov_b32_e32 v13, 0
	v_mov_b32_e32 v19, 0
	v_mov_b32_e32 v21, 0
	v_mov_b32_e32 v15, 0
	v_mov_b32_e32 v17, 0
.LBB137_12:
	s_clause 0x1
	s_load_dwordx2 s[0:1], s[4:5], 0x90
	s_load_dwordx4 s[4:7], s[4:5], 0x80
	v_cmp_neq_f64_e64 s9, s[42:43], 0
	v_cmp_neq_f64_e64 s16, s[44:45], 0
	v_add_co_u32 v1, s2, s2, v1
	v_add_co_ci_u32_e64 v2, null, s3, 0, s2
	s_waitcnt lgkmcnt(0)
	s_mul_i32 s1, s1, s8
	s_mul_hi_u32 s17, s0, s8
	s_mul_i32 s0, s0, s8
	s_add_i32 s1, s17, s1
	s_lshl_b64 s[0:1], s[0:1], 4
	s_add_u32 s3, s4, s0
	v_cmp_gt_i64_e64 s0, s[14:15], v[1:2]
	s_addc_u32 s4, s5, s1
	s_or_b32 s1, s9, s16
	s_and_b32 vcc_lo, exec_lo, s1
	s_mov_b32 s1, -1
	s_cbranch_vccnz .LBB137_24
; %bb.13:
	s_and_saveexec_b32 s5, s0
	s_cbranch_execz .LBB137_23
; %bb.14:
	v_mul_lo_u32 v5, v2, s6
	v_mul_lo_u32 v6, v1, s7
	v_mad_u64_u32 v[3:4], null, v1, s6, 0
	v_add3_u32 v4, v4, v6, v5
	v_add_co_u32 v5, s1, s10, v0
	v_add_co_ci_u32_e64 v6, null, s11, 0, s1
	v_lshlrev_b64 v[7:8], 4, v[3:4]
	v_cmp_gt_i64_e32 vcc_lo, s[12:13], v[5:6]
	v_lshlrev_b64 v[3:4], 4, v[5:6]
	v_add_co_u32 v7, s1, s3, v7
	v_add_co_ci_u32_e64 v8, null, s4, v8, s1
	s_and_saveexec_b32 s2, vcc_lo
	s_cbranch_execz .LBB137_16
; %bb.15:
	v_mul_f64 v[26:27], s[20:21], v[24:25]
	v_mul_f64 v[28:29], s[18:19], v[24:25]
	v_add_co_u32 v30, s1, v7, v3
	v_add_co_ci_u32_e64 v31, null, v8, v4, s1
	v_fma_f64 v[26:27], s[18:19], v[22:23], -v[26:27]
	v_fma_f64 v[28:29], s[20:21], v[22:23], v[28:29]
	global_store_dwordx4 v[30:31], v[26:29], off
.LBB137_16:
	s_or_b32 exec_lo, exec_lo, s2
	v_add_co_u32 v5, s1, v5, 16
	v_add_co_ci_u32_e64 v6, null, 0, v6, s1
	v_cmp_gt_i64_e64 s1, s[12:13], v[5:6]
	s_and_saveexec_b32 s9, s1
	s_cbranch_execz .LBB137_18
; %bb.17:
	v_mul_f64 v[5:6], s[20:21], v[12:13]
	v_mul_f64 v[28:29], s[18:19], v[12:13]
	v_fma_f64 v[26:27], s[18:19], v[10:11], -v[5:6]
	v_fma_f64 v[28:29], s[20:21], v[10:11], v[28:29]
	v_add_co_u32 v5, s2, v7, v3
	v_add_co_ci_u32_e64 v6, null, v8, v4, s2
	global_store_dwordx4 v[5:6], v[26:29], off offset:256
.LBB137_18:
	s_or_b32 exec_lo, exec_lo, s9
	v_add_co_u32 v5, s2, v1, 16
	v_add_co_ci_u32_e64 v6, null, 0, v2, s2
	v_cmp_gt_i64_e64 s2, s[14:15], v[5:6]
	s_and_b32 exec_lo, exec_lo, s2
	s_cbranch_execz .LBB137_23
; %bb.19:
	s_lshl_b64 s[16:17], s[6:7], 8
	v_add_co_u32 v5, s2, v7, s16
	v_add_co_ci_u32_e64 v6, null, s17, v8, s2
	v_add_co_u32 v3, s2, v5, v3
	v_add_co_ci_u32_e64 v4, null, v6, v4, s2
	s_and_saveexec_b32 s2, vcc_lo
	s_cbranch_execz .LBB137_21
; %bb.20:
	v_mul_f64 v[5:6], s[20:21], v[20:21]
	v_mul_f64 v[7:8], s[18:19], v[20:21]
	v_fma_f64 v[5:6], s[18:19], v[18:19], -v[5:6]
	v_fma_f64 v[7:8], s[20:21], v[18:19], v[7:8]
	global_store_dwordx4 v[3:4], v[5:8], off
.LBB137_21:
	s_or_b32 exec_lo, exec_lo, s2
	s_and_b32 exec_lo, exec_lo, s1
	s_cbranch_execz .LBB137_23
; %bb.22:
	v_mul_f64 v[5:6], s[20:21], v[16:17]
	v_mul_f64 v[7:8], s[18:19], v[16:17]
	v_fma_f64 v[5:6], s[18:19], v[14:15], -v[5:6]
	v_fma_f64 v[7:8], s[20:21], v[14:15], v[7:8]
	global_store_dwordx4 v[3:4], v[5:8], off offset:256
.LBB137_23:
	s_or_b32 exec_lo, exec_lo, s5
	s_mov_b32 s1, 0
.LBB137_24:
	s_andn2_b32 vcc_lo, exec_lo, s1
	s_cbranch_vccnz .LBB137_35
; %bb.25:
	s_and_saveexec_b32 s1, s0
	s_cbranch_execz .LBB137_35
; %bb.26:
	v_mul_lo_u32 v5, v2, s48
	v_mul_lo_u32 v6, v1, s49
	v_mad_u64_u32 v[3:4], null, v1, s48, 0
	v_mul_lo_u32 v9, v2, s6
	v_mul_lo_u32 v26, v1, s7
	v_mad_u64_u32 v[7:8], null, v1, s6, 0
	s_mul_i32 s0, s51, s8
	s_mul_hi_u32 s1, s50, s8
	v_add3_u32 v4, v4, v6, v5
	s_add_i32 s1, s1, s0
	s_mul_i32 s0, s50, s8
	v_add_co_u32 v5, s2, s10, v0
	v_add3_u32 v8, v8, v26, v9
	v_lshlrev_b64 v[3:4], 4, v[3:4]
	s_lshl_b64 s[0:1], s[0:1], 4
	v_add_co_ci_u32_e64 v6, null, s11, 0, s2
	v_lshlrev_b64 v[8:9], 4, v[7:8]
	s_add_u32 s0, s46, s0
	s_addc_u32 s1, s47, s1
	v_add_co_u32 v0, s0, s0, v3
	v_add_co_ci_u32_e64 v7, null, s1, v4, s0
	v_add_co_u32 v8, s0, s3, v8
	v_cmp_gt_i64_e32 vcc_lo, s[12:13], v[5:6]
	v_lshlrev_b64 v[3:4], 4, v[5:6]
	v_add_co_ci_u32_e64 v9, null, s4, v9, s0
	s_and_saveexec_b32 s1, vcc_lo
	s_cbranch_execz .LBB137_28
; %bb.27:
	v_add_co_u32 v26, s0, v0, v3
	v_add_co_ci_u32_e64 v27, null, v7, v4, s0
	v_mul_f64 v[30:31], s[20:21], v[24:25]
	v_mul_f64 v[24:25], s[18:19], v[24:25]
	global_load_dwordx4 v[26:29], v[26:27], off
	v_fma_f64 v[30:31], s[18:19], v[22:23], -v[30:31]
	v_fma_f64 v[24:25], s[20:21], v[22:23], v[24:25]
	s_waitcnt vmcnt(0)
	v_mul_f64 v[32:33], s[44:45], v[28:29]
	v_mul_f64 v[28:29], s[42:43], v[28:29]
	v_fma_f64 v[22:23], s[42:43], v[26:27], -v[32:33]
	v_fma_f64 v[26:27], s[44:45], v[26:27], v[28:29]
	v_add_f64 v[22:23], v[30:31], v[22:23]
	v_add_f64 v[24:25], v[24:25], v[26:27]
	v_add_co_u32 v26, s0, v8, v3
	v_add_co_ci_u32_e64 v27, null, v9, v4, s0
	global_store_dwordx4 v[26:27], v[22:25], off
.LBB137_28:
	s_or_b32 exec_lo, exec_lo, s1
	v_add_co_u32 v5, s0, v5, 16
	v_add_co_ci_u32_e64 v6, null, 0, v6, s0
	v_cmp_gt_i64_e64 s0, s[12:13], v[5:6]
	s_and_saveexec_b32 s2, s0
	s_cbranch_execz .LBB137_30
; %bb.29:
	v_add_co_u32 v5, s1, v0, v3
	v_add_co_ci_u32_e64 v6, null, v7, v4, s1
	global_load_dwordx4 v[22:25], v[5:6], off offset:256
	v_mul_f64 v[5:6], s[20:21], v[12:13]
	v_mul_f64 v[12:13], s[18:19], v[12:13]
	v_fma_f64 v[5:6], s[18:19], v[10:11], -v[5:6]
	v_fma_f64 v[12:13], s[20:21], v[10:11], v[12:13]
	s_waitcnt vmcnt(0)
	v_mul_f64 v[26:27], s[44:45], v[24:25]
	v_mul_f64 v[24:25], s[42:43], v[24:25]
	v_fma_f64 v[10:11], s[42:43], v[22:23], -v[26:27]
	v_fma_f64 v[22:23], s[44:45], v[22:23], v[24:25]
	v_add_f64 v[10:11], v[5:6], v[10:11]
	v_add_f64 v[12:13], v[12:13], v[22:23]
	v_add_co_u32 v5, s1, v8, v3
	v_add_co_ci_u32_e64 v6, null, v9, v4, s1
	global_store_dwordx4 v[5:6], v[10:13], off offset:256
.LBB137_30:
	s_or_b32 exec_lo, exec_lo, s2
	v_add_co_u32 v1, s1, v1, 16
	v_add_co_ci_u32_e64 v2, null, 0, v2, s1
	v_cmp_gt_i64_e64 s1, s[14:15], v[1:2]
	s_and_b32 exec_lo, exec_lo, s1
	s_cbranch_execz .LBB137_35
; %bb.31:
	s_lshl_b64 s[2:3], s[48:49], 8
	v_add_co_u32 v0, s1, v0, s2
	v_add_co_ci_u32_e64 v1, null, s3, v7, s1
	s_lshl_b64 s[2:3], s[6:7], 8
	v_add_co_u32 v2, s1, v8, s2
	v_add_co_ci_u32_e64 v7, null, s3, v9, s1
	v_add_co_u32 v5, s1, v0, v3
	v_add_co_ci_u32_e64 v6, null, v1, v4, s1
	;; [unrolled: 2-line block ×3, first 2 shown]
	s_and_saveexec_b32 s1, vcc_lo
	s_cbranch_execz .LBB137_33
; %bb.32:
	global_load_dwordx4 v[7:10], v[5:6], off
	v_mul_f64 v[2:3], s[20:21], v[20:21]
	v_mul_f64 v[11:12], s[18:19], v[20:21]
	v_fma_f64 v[2:3], s[18:19], v[18:19], -v[2:3]
	v_fma_f64 v[11:12], s[20:21], v[18:19], v[11:12]
	s_waitcnt vmcnt(0)
	v_mul_f64 v[20:21], s[44:45], v[9:10]
	v_mul_f64 v[9:10], s[42:43], v[9:10]
	v_fma_f64 v[18:19], s[42:43], v[7:8], -v[20:21]
	v_fma_f64 v[9:10], s[44:45], v[7:8], v[9:10]
	v_add_f64 v[7:8], v[2:3], v[18:19]
	v_add_f64 v[9:10], v[11:12], v[9:10]
	global_store_dwordx4 v[0:1], v[7:10], off
.LBB137_33:
	s_or_b32 exec_lo, exec_lo, s1
	s_and_b32 exec_lo, exec_lo, s0
	s_cbranch_execz .LBB137_35
; %bb.34:
	global_load_dwordx4 v[2:5], v[5:6], off offset:256
	v_mul_f64 v[6:7], s[20:21], v[16:17]
	v_mul_f64 v[8:9], s[18:19], v[16:17]
	v_fma_f64 v[6:7], s[18:19], v[14:15], -v[6:7]
	v_fma_f64 v[8:9], s[20:21], v[14:15], v[8:9]
	s_waitcnt vmcnt(0)
	v_mul_f64 v[10:11], s[44:45], v[4:5]
	v_mul_f64 v[4:5], s[42:43], v[4:5]
	v_fma_f64 v[10:11], s[42:43], v[2:3], -v[10:11]
	v_fma_f64 v[4:5], s[44:45], v[2:3], v[4:5]
	v_add_f64 v[2:3], v[6:7], v[10:11]
	v_add_f64 v[4:5], v[8:9], v[4:5]
	global_store_dwordx4 v[0:1], v[2:5], off offset:256
.LBB137_35:
	s_endpgm
	.section	.rodata,"a",@progbits
	.p2align	6, 0x0
	.amdhsa_kernel _ZN12_GLOBAL__N_135rocblas_gemm_batched_general_kernelI19rocblas_complex_numIdELi16ELi16ELi32ELi32ELi8ELi32ELi8ELi8ELi32ELc84ELc78EKS2_S3_S2_EEvlllT_PT11_llS6_llS4_PT12_llPT13_lli
		.amdhsa_group_segment_fixed_size 8192
		.amdhsa_private_segment_fixed_size 0
		.amdhsa_kernarg_size 156
		.amdhsa_user_sgpr_count 6
		.amdhsa_user_sgpr_private_segment_buffer 1
		.amdhsa_user_sgpr_dispatch_ptr 0
		.amdhsa_user_sgpr_queue_ptr 0
		.amdhsa_user_sgpr_kernarg_segment_ptr 1
		.amdhsa_user_sgpr_dispatch_id 0
		.amdhsa_user_sgpr_flat_scratch_init 0
		.amdhsa_user_sgpr_private_segment_size 0
		.amdhsa_wavefront_size32 1
		.amdhsa_uses_dynamic_stack 0
		.amdhsa_system_sgpr_private_segment_wavefront_offset 0
		.amdhsa_system_sgpr_workgroup_id_x 1
		.amdhsa_system_sgpr_workgroup_id_y 1
		.amdhsa_system_sgpr_workgroup_id_z 1
		.amdhsa_system_sgpr_workgroup_info 0
		.amdhsa_system_vgpr_workitem_id 1
		.amdhsa_next_free_vgpr 56
		.amdhsa_next_free_sgpr 52
		.amdhsa_reserve_vcc 1
		.amdhsa_reserve_flat_scratch 0
		.amdhsa_float_round_mode_32 0
		.amdhsa_float_round_mode_16_64 0
		.amdhsa_float_denorm_mode_32 3
		.amdhsa_float_denorm_mode_16_64 3
		.amdhsa_dx10_clamp 1
		.amdhsa_ieee_mode 1
		.amdhsa_fp16_overflow 0
		.amdhsa_workgroup_processor_mode 1
		.amdhsa_memory_ordered 1
		.amdhsa_forward_progress 1
		.amdhsa_shared_vgpr_count 0
		.amdhsa_exception_fp_ieee_invalid_op 0
		.amdhsa_exception_fp_denorm_src 0
		.amdhsa_exception_fp_ieee_div_zero 0
		.amdhsa_exception_fp_ieee_overflow 0
		.amdhsa_exception_fp_ieee_underflow 0
		.amdhsa_exception_fp_ieee_inexact 0
		.amdhsa_exception_int_div_zero 0
	.end_amdhsa_kernel
	.section	.text._ZN12_GLOBAL__N_135rocblas_gemm_batched_general_kernelI19rocblas_complex_numIdELi16ELi16ELi32ELi32ELi8ELi32ELi8ELi8ELi32ELc84ELc78EKS2_S3_S2_EEvlllT_PT11_llS6_llS4_PT12_llPT13_lli,"axG",@progbits,_ZN12_GLOBAL__N_135rocblas_gemm_batched_general_kernelI19rocblas_complex_numIdELi16ELi16ELi32ELi32ELi8ELi32ELi8ELi8ELi32ELc84ELc78EKS2_S3_S2_EEvlllT_PT11_llS6_llS4_PT12_llPT13_lli,comdat
.Lfunc_end137:
	.size	_ZN12_GLOBAL__N_135rocblas_gemm_batched_general_kernelI19rocblas_complex_numIdELi16ELi16ELi32ELi32ELi8ELi32ELi8ELi8ELi32ELc84ELc78EKS2_S3_S2_EEvlllT_PT11_llS6_llS4_PT12_llPT13_lli, .Lfunc_end137-_ZN12_GLOBAL__N_135rocblas_gemm_batched_general_kernelI19rocblas_complex_numIdELi16ELi16ELi32ELi32ELi8ELi32ELi8ELi8ELi32ELc84ELc78EKS2_S3_S2_EEvlllT_PT11_llS6_llS4_PT12_llPT13_lli
                                        ; -- End function
	.set _ZN12_GLOBAL__N_135rocblas_gemm_batched_general_kernelI19rocblas_complex_numIdELi16ELi16ELi32ELi32ELi8ELi32ELi8ELi8ELi32ELc84ELc78EKS2_S3_S2_EEvlllT_PT11_llS6_llS4_PT12_llPT13_lli.num_vgpr, 56
	.set _ZN12_GLOBAL__N_135rocblas_gemm_batched_general_kernelI19rocblas_complex_numIdELi16ELi16ELi32ELi32ELi8ELi32ELi8ELi8ELi32ELc84ELc78EKS2_S3_S2_EEvlllT_PT11_llS6_llS4_PT12_llPT13_lli.num_agpr, 0
	.set _ZN12_GLOBAL__N_135rocblas_gemm_batched_general_kernelI19rocblas_complex_numIdELi16ELi16ELi32ELi32ELi8ELi32ELi8ELi8ELi32ELc84ELc78EKS2_S3_S2_EEvlllT_PT11_llS6_llS4_PT12_llPT13_lli.numbered_sgpr, 52
	.set _ZN12_GLOBAL__N_135rocblas_gemm_batched_general_kernelI19rocblas_complex_numIdELi16ELi16ELi32ELi32ELi8ELi32ELi8ELi8ELi32ELc84ELc78EKS2_S3_S2_EEvlllT_PT11_llS6_llS4_PT12_llPT13_lli.num_named_barrier, 0
	.set _ZN12_GLOBAL__N_135rocblas_gemm_batched_general_kernelI19rocblas_complex_numIdELi16ELi16ELi32ELi32ELi8ELi32ELi8ELi8ELi32ELc84ELc78EKS2_S3_S2_EEvlllT_PT11_llS6_llS4_PT12_llPT13_lli.private_seg_size, 0
	.set _ZN12_GLOBAL__N_135rocblas_gemm_batched_general_kernelI19rocblas_complex_numIdELi16ELi16ELi32ELi32ELi8ELi32ELi8ELi8ELi32ELc84ELc78EKS2_S3_S2_EEvlllT_PT11_llS6_llS4_PT12_llPT13_lli.uses_vcc, 1
	.set _ZN12_GLOBAL__N_135rocblas_gemm_batched_general_kernelI19rocblas_complex_numIdELi16ELi16ELi32ELi32ELi8ELi32ELi8ELi8ELi32ELc84ELc78EKS2_S3_S2_EEvlllT_PT11_llS6_llS4_PT12_llPT13_lli.uses_flat_scratch, 0
	.set _ZN12_GLOBAL__N_135rocblas_gemm_batched_general_kernelI19rocblas_complex_numIdELi16ELi16ELi32ELi32ELi8ELi32ELi8ELi8ELi32ELc84ELc78EKS2_S3_S2_EEvlllT_PT11_llS6_llS4_PT12_llPT13_lli.has_dyn_sized_stack, 0
	.set _ZN12_GLOBAL__N_135rocblas_gemm_batched_general_kernelI19rocblas_complex_numIdELi16ELi16ELi32ELi32ELi8ELi32ELi8ELi8ELi32ELc84ELc78EKS2_S3_S2_EEvlllT_PT11_llS6_llS4_PT12_llPT13_lli.has_recursion, 0
	.set _ZN12_GLOBAL__N_135rocblas_gemm_batched_general_kernelI19rocblas_complex_numIdELi16ELi16ELi32ELi32ELi8ELi32ELi8ELi8ELi32ELc84ELc78EKS2_S3_S2_EEvlllT_PT11_llS6_llS4_PT12_llPT13_lli.has_indirect_call, 0
	.section	.AMDGPU.csdata,"",@progbits
; Kernel info:
; codeLenInByte = 4064
; TotalNumSgprs: 54
; NumVgprs: 56
; ScratchSize: 0
; MemoryBound: 0
; FloatMode: 240
; IeeeMode: 1
; LDSByteSize: 8192 bytes/workgroup (compile time only)
; SGPRBlocks: 0
; VGPRBlocks: 6
; NumSGPRsForWavesPerEU: 54
; NumVGPRsForWavesPerEU: 56
; Occupancy: 16
; WaveLimiterHint : 0
; COMPUTE_PGM_RSRC2:SCRATCH_EN: 0
; COMPUTE_PGM_RSRC2:USER_SGPR: 6
; COMPUTE_PGM_RSRC2:TRAP_HANDLER: 0
; COMPUTE_PGM_RSRC2:TGID_X_EN: 1
; COMPUTE_PGM_RSRC2:TGID_Y_EN: 1
; COMPUTE_PGM_RSRC2:TGID_Z_EN: 1
; COMPUTE_PGM_RSRC2:TIDIG_COMP_CNT: 1
	.section	.text._ZN12_GLOBAL__N_135rocblas_gemm_batched_general_kernelI19rocblas_complex_numIdELi16ELi16ELi32ELi32ELi8ELi32ELi8ELi8ELi32ELc78ELc84EKS2_S3_S2_EEvlllT_PT11_llS6_llS4_PT12_llPT13_lli,"axG",@progbits,_ZN12_GLOBAL__N_135rocblas_gemm_batched_general_kernelI19rocblas_complex_numIdELi16ELi16ELi32ELi32ELi8ELi32ELi8ELi8ELi32ELc78ELc84EKS2_S3_S2_EEvlllT_PT11_llS6_llS4_PT12_llPT13_lli,comdat
	.globl	_ZN12_GLOBAL__N_135rocblas_gemm_batched_general_kernelI19rocblas_complex_numIdELi16ELi16ELi32ELi32ELi8ELi32ELi8ELi8ELi32ELc78ELc84EKS2_S3_S2_EEvlllT_PT11_llS6_llS4_PT12_llPT13_lli ; -- Begin function _ZN12_GLOBAL__N_135rocblas_gemm_batched_general_kernelI19rocblas_complex_numIdELi16ELi16ELi32ELi32ELi8ELi32ELi8ELi8ELi32ELc78ELc84EKS2_S3_S2_EEvlllT_PT11_llS6_llS4_PT12_llPT13_lli
	.p2align	8
	.type	_ZN12_GLOBAL__N_135rocblas_gemm_batched_general_kernelI19rocblas_complex_numIdELi16ELi16ELi32ELi32ELi8ELi32ELi8ELi8ELi32ELc78ELc84EKS2_S3_S2_EEvlllT_PT11_llS6_llS4_PT12_llPT13_lli,@function
_ZN12_GLOBAL__N_135rocblas_gemm_batched_general_kernelI19rocblas_complex_numIdELi16ELi16ELi32ELi32ELi8ELi32ELi8ELi8ELi32ELc78ELc84EKS2_S3_S2_EEvlllT_PT11_llS6_llS4_PT12_llPT13_lli: ; @_ZN12_GLOBAL__N_135rocblas_gemm_batched_general_kernelI19rocblas_complex_numIdELi16ELi16ELi32ELi32ELi8ELi32ELi8ELi8ELi32ELc78ELc84EKS2_S3_S2_EEvlllT_PT11_llS6_llS4_PT12_llPT13_lli
; %bb.0:
	s_clause 0x1
	s_load_dwordx16 s[12:27], s[4:5], 0x0
	s_load_dwordx16 s[36:51], s[4:5], 0x40
	s_mov_b32 s28, s7
	v_mov_b32_e32 v2, 0
	s_ashr_i32 s7, s6, 31
	s_ashr_i32 s29, s28, 31
	s_lshl_b64 s[10:11], s[6:7], 5
	s_lshl_b64 s[2:3], s[28:29], 5
	s_waitcnt lgkmcnt(0)
	v_cmp_lt_i64_e64 s0, s[16:17], 1
	s_and_b32 vcc_lo, exec_lo, s0
	s_cbranch_vccnz .LBB138_11
; %bb.1:
	v_lshl_add_u32 v3, v1, 4, v0
	v_and_b32_e32 v26, 7, v0
	v_mov_b32_e32 v4, s11
	s_mul_i32 s1, s41, s8
	s_mul_hi_u32 s9, s40, s8
	v_and_b32_e32 v7, 31, v3
	v_lshrrev_b32_e32 v10, 3, v3
	v_mad_u64_u32 v[5:6], null, s38, v26, 0
	v_lshrrev_b32_e32 v27, 5, v3
	v_or_b32_e32 v3, s10, v7
	v_lshlrev_b32_e32 v11, 4, v7
	v_add_co_u32 v7, s0, v10, s2
	v_add_co_ci_u32_e64 v8, null, 0, s3, s0
	v_cmp_gt_i64_e32 vcc_lo, s[12:13], v[3:4]
	v_mad_u64_u32 v[3:4], null, s39, v26, v[6:7]
	v_cmp_gt_i64_e64 s0, s[14:15], v[7:8]
	v_mad_u64_u32 v[7:8], null, s24, v27, 0
	v_lshlrev_b32_e32 v9, 4, v26
	s_add_i32 s31, s9, s1
	s_mul_i32 s30, s40, s8
	v_mov_b32_e32 v6, v3
	s_lshl_b64 s[30:31], s[30:31], 4
	v_lshl_or_b32 v9, v10, 7, v9
	v_mov_b32_e32 v3, v8
	s_lshl_b64 s[28:29], s[28:29], 9
	v_lshlrev_b64 v[4:5], 4, v[5:6]
	s_add_u32 s1, s28, s30
	v_add_nc_u32_e32 v29, 0x1000, v9
	s_addc_u32 s9, s29, s31
	s_lshl_b64 s[28:29], s[6:7], 9
	s_lshl_b64 s[6:7], s[38:39], 7
	v_mad_u64_u32 v[8:9], null, s25, v27, v[3:4]
	v_add_co_u32 v6, s1, s1, v4
	v_add_co_ci_u32_e64 v5, null, s9, v5, s1
	s_mul_i32 s1, s27, s8
	s_mul_hi_u32 s9, s26, s8
	s_mul_i32 s26, s26, s8
	s_add_i32 s27, s9, s1
	v_lshlrev_b64 v[3:4], 4, v[7:8]
	s_lshl_b64 s[26:27], s[26:27], 4
	v_lshlrev_b32_e32 v9, 4, v10
	s_add_u32 s1, s28, s26
	s_addc_u32 s9, s29, s27
	v_lshl_or_b32 v28, v27, 9, v11
	v_add_co_u32 v3, s1, s1, v3
	v_add_co_ci_u32_e64 v4, null, s9, v4, s1
	v_add_co_u32 v6, s1, v6, v9
	v_add_co_ci_u32_e64 v5, null, 0, v5, s1
	;; [unrolled: 2-line block ×4, first 2 shown]
	v_add_co_u32 v8, s1, s22, v3
	v_mov_b32_e32 v16, 0
	v_mov_b32_e32 v14, 0
	;; [unrolled: 1-line block ×8, first 2 shown]
	v_lshlrev_b32_e32 v30, 4, v0
	v_lshl_add_u32 v31, v1, 7, 0x1000
	v_add_co_ci_u32_e64 v9, null, s23, v4, s1
	v_mov_b32_e32 v17, 0
	v_mov_b32_e32 v15, 0
	;; [unrolled: 1-line block ×8, first 2 shown]
	s_lshl_b64 s[22:23], s[24:25], 7
	s_mov_b64 s[24:25], 0
	s_xor_b32 s1, vcc_lo, -1
	s_xor_b32 s0, s0, -1
	s_branch .LBB138_3
.LBB138_2:                              ;   in Loop: Header=BB138_3 Depth=1
	s_or_b32 exec_lo, exec_lo, s9
	s_waitcnt lgkmcnt(0)
	s_barrier
	buffer_gl0_inv
	ds_read_b128 v[32:35], v31
	ds_read_b128 v[36:39], v31 offset:16
	ds_read_b128 v[40:43], v31 offset:32
	;; [unrolled: 1-line block ×3, first 2 shown]
	ds_read_b128 v[48:51], v30
	s_add_u32 s24, s24, 8
	s_addc_u32 s25, s25, 0
	v_add_co_u32 v6, vcc_lo, v6, s6
	v_cmp_lt_i64_e64 s9, s[24:25], s[16:17]
	v_add_co_ci_u32_e64 v7, null, s7, v7, vcc_lo
	v_add_co_u32 v8, vcc_lo, v8, s22
	v_add_co_ci_u32_e64 v9, null, s23, v9, vcc_lo
	s_and_b32 vcc_lo, exec_lo, s9
	s_waitcnt lgkmcnt(0)
	v_mul_f64 v[3:4], v[34:35], v[50:51]
	v_mul_f64 v[52:53], v[32:33], v[50:51]
	v_fma_f64 v[3:4], v[32:33], v[48:49], -v[3:4]
	v_fma_f64 v[52:53], v[34:35], v[48:49], v[52:53]
	v_add_f64 v[3:4], v[22:23], v[3:4]
	v_add_f64 v[52:53], v[52:53], v[24:25]
	ds_read_b128 v[22:25], v30 offset:256
	s_waitcnt lgkmcnt(0)
	v_mul_f64 v[54:55], v[34:35], v[24:25]
	v_fma_f64 v[54:55], v[32:33], v[22:23], -v[54:55]
	v_mul_f64 v[32:33], v[32:33], v[24:25]
	v_fma_f64 v[32:33], v[34:35], v[22:23], v[32:33]
	v_add_f64 v[34:35], v[10:11], v[54:55]
	v_add_f64 v[32:33], v[32:33], v[12:13]
	ds_read_b128 v[10:13], v31 offset:2048
	s_waitcnt lgkmcnt(0)
	v_mul_f64 v[54:55], v[12:13], v[50:51]
	v_mul_f64 v[50:51], v[10:11], v[50:51]
	v_fma_f64 v[54:55], v[10:11], v[48:49], -v[54:55]
	v_fma_f64 v[48:49], v[12:13], v[48:49], v[50:51]
	v_add_f64 v[50:51], v[18:19], v[54:55]
	v_mul_f64 v[18:19], v[12:13], v[24:25]
	v_add_f64 v[48:49], v[48:49], v[20:21]
	v_fma_f64 v[18:19], v[10:11], v[22:23], -v[18:19]
	v_mul_f64 v[10:11], v[10:11], v[24:25]
	v_fma_f64 v[10:11], v[12:13], v[22:23], v[10:11]
	v_add_f64 v[22:23], v[14:15], v[18:19]
	v_add_f64 v[24:25], v[10:11], v[16:17]
	ds_read_b128 v[10:13], v30 offset:512
	s_waitcnt lgkmcnt(0)
	v_mul_f64 v[14:15], v[38:39], v[12:13]
	v_mul_f64 v[16:17], v[36:37], v[12:13]
	v_fma_f64 v[14:15], v[36:37], v[10:11], -v[14:15]
	v_fma_f64 v[16:17], v[38:39], v[10:11], v[16:17]
	v_add_f64 v[3:4], v[3:4], v[14:15]
	v_add_f64 v[52:53], v[16:17], v[52:53]
	ds_read_b128 v[14:17], v30 offset:768
	s_waitcnt lgkmcnt(0)
	v_mul_f64 v[18:19], v[38:39], v[16:17]
	v_mul_f64 v[20:21], v[36:37], v[16:17]
	v_fma_f64 v[18:19], v[36:37], v[14:15], -v[18:19]
	;; [unrolled: 8-line block ×3, first 2 shown]
	v_fma_f64 v[10:11], v[20:21], v[10:11], v[12:13]
	v_mul_f64 v[12:13], v[18:19], v[16:17]
	v_add_f64 v[36:37], v[50:51], v[36:37]
	v_add_f64 v[38:39], v[10:11], v[48:49]
	v_mul_f64 v[10:11], v[20:21], v[16:17]
	v_fma_f64 v[12:13], v[20:21], v[14:15], v[12:13]
	v_fma_f64 v[10:11], v[18:19], v[14:15], -v[10:11]
	v_add_f64 v[24:25], v[12:13], v[24:25]
	v_add_f64 v[22:23], v[22:23], v[10:11]
	ds_read_b128 v[10:13], v30 offset:1024
	s_waitcnt lgkmcnt(0)
	v_mul_f64 v[14:15], v[42:43], v[12:13]
	v_mul_f64 v[16:17], v[40:41], v[12:13]
	v_fma_f64 v[14:15], v[40:41], v[10:11], -v[14:15]
	v_fma_f64 v[16:17], v[42:43], v[10:11], v[16:17]
	v_add_f64 v[3:4], v[3:4], v[14:15]
	v_add_f64 v[48:49], v[16:17], v[52:53]
	ds_read_b128 v[14:17], v30 offset:1280
	s_waitcnt lgkmcnt(0)
	v_mul_f64 v[18:19], v[42:43], v[16:17]
	v_mul_f64 v[20:21], v[40:41], v[16:17]
	v_fma_f64 v[18:19], v[40:41], v[14:15], -v[18:19]
	v_fma_f64 v[20:21], v[42:43], v[14:15], v[20:21]
	;; [unrolled: 8-line block ×3, first 2 shown]
	v_mul_f64 v[12:13], v[18:19], v[16:17]
	v_add_f64 v[36:37], v[36:37], v[40:41]
	v_add_f64 v[38:39], v[10:11], v[38:39]
	v_mul_f64 v[10:11], v[20:21], v[16:17]
	v_fma_f64 v[12:13], v[20:21], v[14:15], v[12:13]
	v_fma_f64 v[10:11], v[18:19], v[14:15], -v[10:11]
	v_add_f64 v[24:25], v[12:13], v[24:25]
	v_add_f64 v[22:23], v[22:23], v[10:11]
	ds_read_b128 v[10:13], v30 offset:1536
	s_waitcnt lgkmcnt(0)
	v_mul_f64 v[14:15], v[46:47], v[12:13]
	v_mul_f64 v[16:17], v[44:45], v[12:13]
	v_fma_f64 v[14:15], v[44:45], v[10:11], -v[14:15]
	v_fma_f64 v[16:17], v[46:47], v[10:11], v[16:17]
	v_add_f64 v[3:4], v[3:4], v[14:15]
	v_add_f64 v[40:41], v[16:17], v[48:49]
	ds_read_b128 v[14:17], v30 offset:1792
	s_waitcnt lgkmcnt(0)
	v_mul_f64 v[18:19], v[46:47], v[16:17]
	v_mul_f64 v[20:21], v[44:45], v[16:17]
	v_fma_f64 v[18:19], v[44:45], v[14:15], -v[18:19]
	v_fma_f64 v[20:21], v[46:47], v[14:15], v[20:21]
	;; [unrolled: 8-line block ×3, first 2 shown]
	v_mul_f64 v[12:13], v[18:19], v[16:17]
	v_add_f64 v[36:37], v[36:37], v[42:43]
	v_add_f64 v[38:39], v[10:11], v[38:39]
	v_mul_f64 v[10:11], v[20:21], v[16:17]
	v_fma_f64 v[12:13], v[20:21], v[14:15], v[12:13]
	v_fma_f64 v[10:11], v[18:19], v[14:15], -v[10:11]
	v_add_f64 v[24:25], v[12:13], v[24:25]
	v_add_f64 v[22:23], v[22:23], v[10:11]
	ds_read_b128 v[10:13], v31 offset:64
	ds_read_b128 v[14:17], v30 offset:2048
	s_waitcnt lgkmcnt(0)
	v_mul_f64 v[18:19], v[12:13], v[16:17]
	v_mul_f64 v[20:21], v[10:11], v[16:17]
	v_fma_f64 v[18:19], v[10:11], v[14:15], -v[18:19]
	v_fma_f64 v[20:21], v[12:13], v[14:15], v[20:21]
	v_add_f64 v[3:4], v[3:4], v[18:19]
	v_add_f64 v[40:41], v[20:21], v[40:41]
	ds_read_b128 v[18:21], v30 offset:2304
	s_waitcnt lgkmcnt(0)
	v_mul_f64 v[42:43], v[12:13], v[20:21]
	v_fma_f64 v[42:43], v[10:11], v[18:19], -v[42:43]
	v_mul_f64 v[10:11], v[10:11], v[20:21]
	v_add_f64 v[34:35], v[34:35], v[42:43]
	v_fma_f64 v[10:11], v[12:13], v[18:19], v[10:11]
	v_add_f64 v[32:33], v[10:11], v[32:33]
	ds_read_b128 v[10:13], v31 offset:2112
	s_waitcnt lgkmcnt(0)
	v_mul_f64 v[42:43], v[12:13], v[16:17]
	v_mul_f64 v[16:17], v[10:11], v[16:17]
	v_fma_f64 v[42:43], v[10:11], v[14:15], -v[42:43]
	v_fma_f64 v[14:15], v[12:13], v[14:15], v[16:17]
	v_add_f64 v[36:37], v[36:37], v[42:43]
	v_add_f64 v[38:39], v[14:15], v[38:39]
	v_mul_f64 v[14:15], v[12:13], v[20:21]
	v_fma_f64 v[14:15], v[10:11], v[18:19], -v[14:15]
	v_mul_f64 v[10:11], v[10:11], v[20:21]
	v_add_f64 v[22:23], v[22:23], v[14:15]
	v_fma_f64 v[10:11], v[12:13], v[18:19], v[10:11]
	v_add_f64 v[24:25], v[10:11], v[24:25]
	ds_read_b128 v[10:13], v31 offset:80
	ds_read_b128 v[14:17], v30 offset:2560
	s_waitcnt lgkmcnt(0)
	v_mul_f64 v[18:19], v[12:13], v[16:17]
	v_mul_f64 v[20:21], v[10:11], v[16:17]
	v_fma_f64 v[18:19], v[10:11], v[14:15], -v[18:19]
	v_fma_f64 v[20:21], v[12:13], v[14:15], v[20:21]
	v_add_f64 v[3:4], v[3:4], v[18:19]
	v_add_f64 v[40:41], v[20:21], v[40:41]
	ds_read_b128 v[18:21], v30 offset:2816
	s_waitcnt lgkmcnt(0)
	v_mul_f64 v[42:43], v[12:13], v[20:21]
	v_fma_f64 v[42:43], v[10:11], v[18:19], -v[42:43]
	v_mul_f64 v[10:11], v[10:11], v[20:21]
	v_add_f64 v[34:35], v[34:35], v[42:43]
	v_fma_f64 v[10:11], v[12:13], v[18:19], v[10:11]
	v_add_f64 v[32:33], v[10:11], v[32:33]
	ds_read_b128 v[10:13], v31 offset:2128
	s_waitcnt lgkmcnt(0)
	v_mul_f64 v[42:43], v[12:13], v[16:17]
	v_mul_f64 v[16:17], v[10:11], v[16:17]
	v_fma_f64 v[42:43], v[10:11], v[14:15], -v[42:43]
	v_fma_f64 v[14:15], v[12:13], v[14:15], v[16:17]
	v_add_f64 v[36:37], v[36:37], v[42:43]
	v_add_f64 v[38:39], v[14:15], v[38:39]
	v_mul_f64 v[14:15], v[12:13], v[20:21]
	v_fma_f64 v[14:15], v[10:11], v[18:19], -v[14:15]
	v_mul_f64 v[10:11], v[10:11], v[20:21]
	v_add_f64 v[22:23], v[22:23], v[14:15]
	v_fma_f64 v[10:11], v[12:13], v[18:19], v[10:11]
	;; [unrolled: 31-line block ×3, first 2 shown]
	v_add_f64 v[52:53], v[10:11], v[24:25]
	ds_read_b128 v[10:13], v31 offset:112
	ds_read_b128 v[14:17], v30 offset:3584
	;; [unrolled: 1-line block ×4, first 2 shown]
	s_waitcnt lgkmcnt(0)
	s_barrier
	buffer_gl0_inv
	v_mul_f64 v[18:19], v[12:13], v[16:17]
	v_mul_f64 v[20:21], v[10:11], v[16:17]
	v_fma_f64 v[18:19], v[10:11], v[14:15], -v[18:19]
	v_fma_f64 v[20:21], v[12:13], v[14:15], v[20:21]
	v_add_f64 v[22:23], v[3:4], v[18:19]
	v_mul_f64 v[3:4], v[12:13], v[34:35]
	v_add_f64 v[24:25], v[20:21], v[40:41]
	v_fma_f64 v[3:4], v[10:11], v[32:33], -v[3:4]
	v_mul_f64 v[10:11], v[10:11], v[34:35]
	v_fma_f64 v[12:13], v[12:13], v[32:33], v[10:11]
	v_add_f64 v[10:11], v[42:43], v[3:4]
	v_mul_f64 v[3:4], v[38:39], v[16:17]
	v_mul_f64 v[16:17], v[36:37], v[16:17]
	v_add_f64 v[12:13], v[12:13], v[44:45]
	v_fma_f64 v[3:4], v[36:37], v[14:15], -v[3:4]
	v_fma_f64 v[14:15], v[38:39], v[14:15], v[16:17]
	v_add_f64 v[18:19], v[46:47], v[3:4]
	v_add_f64 v[20:21], v[14:15], v[48:49]
	v_mul_f64 v[3:4], v[38:39], v[34:35]
	v_mul_f64 v[14:15], v[36:37], v[34:35]
	v_fma_f64 v[3:4], v[36:37], v[32:33], -v[3:4]
	v_fma_f64 v[16:17], v[38:39], v[32:33], v[14:15]
	v_add_f64 v[14:15], v[50:51], v[3:4]
	v_add_f64 v[16:17], v[16:17], v[52:53]
	s_cbranch_vccz .LBB138_12
.LBB138_3:                              ; =>This Inner Loop Header: Depth=1
	v_add_co_u32 v3, s9, v27, s24
	v_add_co_ci_u32_e64 v4, null, 0, s25, s9
	v_cmp_le_i64_e32 vcc_lo, s[16:17], v[3:4]
	s_or_b32 s9, s1, vcc_lo
	s_and_saveexec_b32 s26, s9
	s_xor_b32 s9, exec_lo, s26
	s_cbranch_execz .LBB138_5
; %bb.4:                                ;   in Loop: Header=BB138_3 Depth=1
	v_mov_b32_e32 v3, v2
	v_mov_b32_e32 v4, v2
	;; [unrolled: 1-line block ×3, first 2 shown]
	ds_write_b128 v28, v[2:5]
.LBB138_5:                              ;   in Loop: Header=BB138_3 Depth=1
	s_andn2_saveexec_b32 s9, s9
	s_cbranch_execz .LBB138_7
; %bb.6:                                ;   in Loop: Header=BB138_3 Depth=1
	global_load_dwordx4 v[32:35], v[8:9], off
	s_waitcnt vmcnt(0)
	ds_write2_b64 v28, v[32:33], v[34:35] offset1:1
.LBB138_7:                              ;   in Loop: Header=BB138_3 Depth=1
	s_or_b32 exec_lo, exec_lo, s9
	v_add_co_u32 v3, s9, v26, s24
	v_add_co_ci_u32_e64 v4, null, 0, s25, s9
	v_cmp_le_i64_e32 vcc_lo, s[16:17], v[3:4]
	s_or_b32 s9, vcc_lo, s0
	s_and_saveexec_b32 s26, s9
	s_xor_b32 s9, exec_lo, s26
	s_cbranch_execz .LBB138_9
; %bb.8:                                ;   in Loop: Header=BB138_3 Depth=1
	v_mov_b32_e32 v3, v2
	v_mov_b32_e32 v4, v2
	;; [unrolled: 1-line block ×3, first 2 shown]
	ds_write_b128 v29, v[2:5]
.LBB138_9:                              ;   in Loop: Header=BB138_3 Depth=1
	s_andn2_saveexec_b32 s9, s9
	s_cbranch_execz .LBB138_2
; %bb.10:                               ;   in Loop: Header=BB138_3 Depth=1
	global_load_dwordx4 v[32:35], v[6:7], off
	s_waitcnt vmcnt(0)
	ds_write2_b64 v29, v[32:33], v[34:35] offset1:1
	s_branch .LBB138_2
.LBB138_11:
	v_mov_b32_e32 v22, 0
	v_mov_b32_e32 v24, 0
	;; [unrolled: 1-line block ×16, first 2 shown]
.LBB138_12:
	s_clause 0x1
	s_load_dwordx2 s[0:1], s[4:5], 0x90
	s_load_dwordx4 s[4:7], s[4:5], 0x80
	v_cmp_neq_f64_e64 s9, s[42:43], 0
	v_cmp_neq_f64_e64 s16, s[44:45], 0
	v_add_co_u32 v1, s2, s2, v1
	v_add_co_ci_u32_e64 v2, null, s3, 0, s2
	s_waitcnt lgkmcnt(0)
	s_mul_i32 s1, s1, s8
	s_mul_hi_u32 s17, s0, s8
	s_mul_i32 s0, s0, s8
	s_add_i32 s1, s17, s1
	s_lshl_b64 s[0:1], s[0:1], 4
	s_add_u32 s3, s4, s0
	v_cmp_gt_i64_e64 s0, s[14:15], v[1:2]
	s_addc_u32 s4, s5, s1
	s_or_b32 s1, s9, s16
	s_and_b32 vcc_lo, exec_lo, s1
	s_mov_b32 s1, -1
	s_cbranch_vccnz .LBB138_24
; %bb.13:
	s_and_saveexec_b32 s5, s0
	s_cbranch_execz .LBB138_23
; %bb.14:
	v_mul_lo_u32 v5, v2, s6
	v_mul_lo_u32 v6, v1, s7
	v_mad_u64_u32 v[3:4], null, v1, s6, 0
	v_add3_u32 v4, v4, v6, v5
	v_add_co_u32 v5, s1, s10, v0
	v_add_co_ci_u32_e64 v6, null, s11, 0, s1
	v_lshlrev_b64 v[7:8], 4, v[3:4]
	v_cmp_gt_i64_e32 vcc_lo, s[12:13], v[5:6]
	v_lshlrev_b64 v[3:4], 4, v[5:6]
	v_add_co_u32 v7, s1, s3, v7
	v_add_co_ci_u32_e64 v8, null, s4, v8, s1
	s_and_saveexec_b32 s2, vcc_lo
	s_cbranch_execz .LBB138_16
; %bb.15:
	v_mul_f64 v[26:27], s[20:21], v[24:25]
	v_mul_f64 v[28:29], s[18:19], v[24:25]
	v_add_co_u32 v30, s1, v7, v3
	v_add_co_ci_u32_e64 v31, null, v8, v4, s1
	v_fma_f64 v[26:27], s[18:19], v[22:23], -v[26:27]
	v_fma_f64 v[28:29], s[20:21], v[22:23], v[28:29]
	global_store_dwordx4 v[30:31], v[26:29], off
.LBB138_16:
	s_or_b32 exec_lo, exec_lo, s2
	v_add_co_u32 v5, s1, v5, 16
	v_add_co_ci_u32_e64 v6, null, 0, v6, s1
	v_cmp_gt_i64_e64 s1, s[12:13], v[5:6]
	s_and_saveexec_b32 s9, s1
	s_cbranch_execz .LBB138_18
; %bb.17:
	v_mul_f64 v[5:6], s[20:21], v[12:13]
	v_mul_f64 v[28:29], s[18:19], v[12:13]
	v_fma_f64 v[26:27], s[18:19], v[10:11], -v[5:6]
	v_fma_f64 v[28:29], s[20:21], v[10:11], v[28:29]
	v_add_co_u32 v5, s2, v7, v3
	v_add_co_ci_u32_e64 v6, null, v8, v4, s2
	global_store_dwordx4 v[5:6], v[26:29], off offset:256
.LBB138_18:
	s_or_b32 exec_lo, exec_lo, s9
	v_add_co_u32 v5, s2, v1, 16
	v_add_co_ci_u32_e64 v6, null, 0, v2, s2
	v_cmp_gt_i64_e64 s2, s[14:15], v[5:6]
	s_and_b32 exec_lo, exec_lo, s2
	s_cbranch_execz .LBB138_23
; %bb.19:
	s_lshl_b64 s[16:17], s[6:7], 8
	v_add_co_u32 v5, s2, v7, s16
	v_add_co_ci_u32_e64 v6, null, s17, v8, s2
	v_add_co_u32 v3, s2, v5, v3
	v_add_co_ci_u32_e64 v4, null, v6, v4, s2
	s_and_saveexec_b32 s2, vcc_lo
	s_cbranch_execz .LBB138_21
; %bb.20:
	v_mul_f64 v[5:6], s[20:21], v[20:21]
	v_mul_f64 v[7:8], s[18:19], v[20:21]
	v_fma_f64 v[5:6], s[18:19], v[18:19], -v[5:6]
	v_fma_f64 v[7:8], s[20:21], v[18:19], v[7:8]
	global_store_dwordx4 v[3:4], v[5:8], off
.LBB138_21:
	s_or_b32 exec_lo, exec_lo, s2
	s_and_b32 exec_lo, exec_lo, s1
	s_cbranch_execz .LBB138_23
; %bb.22:
	v_mul_f64 v[5:6], s[20:21], v[16:17]
	v_mul_f64 v[7:8], s[18:19], v[16:17]
	v_fma_f64 v[5:6], s[18:19], v[14:15], -v[5:6]
	v_fma_f64 v[7:8], s[20:21], v[14:15], v[7:8]
	global_store_dwordx4 v[3:4], v[5:8], off offset:256
.LBB138_23:
	s_or_b32 exec_lo, exec_lo, s5
	s_mov_b32 s1, 0
.LBB138_24:
	s_andn2_b32 vcc_lo, exec_lo, s1
	s_cbranch_vccnz .LBB138_35
; %bb.25:
	s_and_saveexec_b32 s1, s0
	s_cbranch_execz .LBB138_35
; %bb.26:
	v_mul_lo_u32 v5, v2, s48
	v_mul_lo_u32 v6, v1, s49
	v_mad_u64_u32 v[3:4], null, v1, s48, 0
	v_mul_lo_u32 v9, v2, s6
	v_mul_lo_u32 v26, v1, s7
	v_mad_u64_u32 v[7:8], null, v1, s6, 0
	s_mul_i32 s0, s51, s8
	s_mul_hi_u32 s1, s50, s8
	v_add3_u32 v4, v4, v6, v5
	s_add_i32 s1, s1, s0
	s_mul_i32 s0, s50, s8
	v_add_co_u32 v5, s2, s10, v0
	v_add3_u32 v8, v8, v26, v9
	v_lshlrev_b64 v[3:4], 4, v[3:4]
	s_lshl_b64 s[0:1], s[0:1], 4
	v_add_co_ci_u32_e64 v6, null, s11, 0, s2
	v_lshlrev_b64 v[8:9], 4, v[7:8]
	s_add_u32 s0, s46, s0
	s_addc_u32 s1, s47, s1
	v_add_co_u32 v0, s0, s0, v3
	v_add_co_ci_u32_e64 v7, null, s1, v4, s0
	v_add_co_u32 v8, s0, s3, v8
	v_cmp_gt_i64_e32 vcc_lo, s[12:13], v[5:6]
	v_lshlrev_b64 v[3:4], 4, v[5:6]
	v_add_co_ci_u32_e64 v9, null, s4, v9, s0
	s_and_saveexec_b32 s1, vcc_lo
	s_cbranch_execz .LBB138_28
; %bb.27:
	v_add_co_u32 v26, s0, v0, v3
	v_add_co_ci_u32_e64 v27, null, v7, v4, s0
	v_mul_f64 v[30:31], s[20:21], v[24:25]
	v_mul_f64 v[24:25], s[18:19], v[24:25]
	global_load_dwordx4 v[26:29], v[26:27], off
	v_fma_f64 v[30:31], s[18:19], v[22:23], -v[30:31]
	v_fma_f64 v[24:25], s[20:21], v[22:23], v[24:25]
	s_waitcnt vmcnt(0)
	v_mul_f64 v[32:33], s[44:45], v[28:29]
	v_mul_f64 v[28:29], s[42:43], v[28:29]
	v_fma_f64 v[22:23], s[42:43], v[26:27], -v[32:33]
	v_fma_f64 v[26:27], s[44:45], v[26:27], v[28:29]
	v_add_f64 v[22:23], v[30:31], v[22:23]
	v_add_f64 v[24:25], v[24:25], v[26:27]
	v_add_co_u32 v26, s0, v8, v3
	v_add_co_ci_u32_e64 v27, null, v9, v4, s0
	global_store_dwordx4 v[26:27], v[22:25], off
.LBB138_28:
	s_or_b32 exec_lo, exec_lo, s1
	v_add_co_u32 v5, s0, v5, 16
	v_add_co_ci_u32_e64 v6, null, 0, v6, s0
	v_cmp_gt_i64_e64 s0, s[12:13], v[5:6]
	s_and_saveexec_b32 s2, s0
	s_cbranch_execz .LBB138_30
; %bb.29:
	v_add_co_u32 v5, s1, v0, v3
	v_add_co_ci_u32_e64 v6, null, v7, v4, s1
	global_load_dwordx4 v[22:25], v[5:6], off offset:256
	v_mul_f64 v[5:6], s[20:21], v[12:13]
	v_mul_f64 v[12:13], s[18:19], v[12:13]
	v_fma_f64 v[5:6], s[18:19], v[10:11], -v[5:6]
	v_fma_f64 v[12:13], s[20:21], v[10:11], v[12:13]
	s_waitcnt vmcnt(0)
	v_mul_f64 v[26:27], s[44:45], v[24:25]
	v_mul_f64 v[24:25], s[42:43], v[24:25]
	v_fma_f64 v[10:11], s[42:43], v[22:23], -v[26:27]
	v_fma_f64 v[22:23], s[44:45], v[22:23], v[24:25]
	v_add_f64 v[10:11], v[5:6], v[10:11]
	v_add_f64 v[12:13], v[12:13], v[22:23]
	v_add_co_u32 v5, s1, v8, v3
	v_add_co_ci_u32_e64 v6, null, v9, v4, s1
	global_store_dwordx4 v[5:6], v[10:13], off offset:256
.LBB138_30:
	s_or_b32 exec_lo, exec_lo, s2
	v_add_co_u32 v1, s1, v1, 16
	v_add_co_ci_u32_e64 v2, null, 0, v2, s1
	v_cmp_gt_i64_e64 s1, s[14:15], v[1:2]
	s_and_b32 exec_lo, exec_lo, s1
	s_cbranch_execz .LBB138_35
; %bb.31:
	s_lshl_b64 s[2:3], s[48:49], 8
	v_add_co_u32 v0, s1, v0, s2
	v_add_co_ci_u32_e64 v1, null, s3, v7, s1
	s_lshl_b64 s[2:3], s[6:7], 8
	v_add_co_u32 v2, s1, v8, s2
	v_add_co_ci_u32_e64 v7, null, s3, v9, s1
	v_add_co_u32 v5, s1, v0, v3
	v_add_co_ci_u32_e64 v6, null, v1, v4, s1
	;; [unrolled: 2-line block ×3, first 2 shown]
	s_and_saveexec_b32 s1, vcc_lo
	s_cbranch_execz .LBB138_33
; %bb.32:
	global_load_dwordx4 v[7:10], v[5:6], off
	v_mul_f64 v[2:3], s[20:21], v[20:21]
	v_mul_f64 v[11:12], s[18:19], v[20:21]
	v_fma_f64 v[2:3], s[18:19], v[18:19], -v[2:3]
	v_fma_f64 v[11:12], s[20:21], v[18:19], v[11:12]
	s_waitcnt vmcnt(0)
	v_mul_f64 v[20:21], s[44:45], v[9:10]
	v_mul_f64 v[9:10], s[42:43], v[9:10]
	v_fma_f64 v[18:19], s[42:43], v[7:8], -v[20:21]
	v_fma_f64 v[9:10], s[44:45], v[7:8], v[9:10]
	v_add_f64 v[7:8], v[2:3], v[18:19]
	v_add_f64 v[9:10], v[11:12], v[9:10]
	global_store_dwordx4 v[0:1], v[7:10], off
.LBB138_33:
	s_or_b32 exec_lo, exec_lo, s1
	s_and_b32 exec_lo, exec_lo, s0
	s_cbranch_execz .LBB138_35
; %bb.34:
	global_load_dwordx4 v[2:5], v[5:6], off offset:256
	v_mul_f64 v[6:7], s[20:21], v[16:17]
	v_mul_f64 v[8:9], s[18:19], v[16:17]
	v_fma_f64 v[6:7], s[18:19], v[14:15], -v[6:7]
	v_fma_f64 v[8:9], s[20:21], v[14:15], v[8:9]
	s_waitcnt vmcnt(0)
	v_mul_f64 v[10:11], s[44:45], v[4:5]
	v_mul_f64 v[4:5], s[42:43], v[4:5]
	v_fma_f64 v[10:11], s[42:43], v[2:3], -v[10:11]
	v_fma_f64 v[4:5], s[44:45], v[2:3], v[4:5]
	v_add_f64 v[2:3], v[6:7], v[10:11]
	v_add_f64 v[4:5], v[8:9], v[4:5]
	global_store_dwordx4 v[0:1], v[2:5], off offset:256
.LBB138_35:
	s_endpgm
	.section	.rodata,"a",@progbits
	.p2align	6, 0x0
	.amdhsa_kernel _ZN12_GLOBAL__N_135rocblas_gemm_batched_general_kernelI19rocblas_complex_numIdELi16ELi16ELi32ELi32ELi8ELi32ELi8ELi8ELi32ELc78ELc84EKS2_S3_S2_EEvlllT_PT11_llS6_llS4_PT12_llPT13_lli
		.amdhsa_group_segment_fixed_size 8192
		.amdhsa_private_segment_fixed_size 0
		.amdhsa_kernarg_size 156
		.amdhsa_user_sgpr_count 6
		.amdhsa_user_sgpr_private_segment_buffer 1
		.amdhsa_user_sgpr_dispatch_ptr 0
		.amdhsa_user_sgpr_queue_ptr 0
		.amdhsa_user_sgpr_kernarg_segment_ptr 1
		.amdhsa_user_sgpr_dispatch_id 0
		.amdhsa_user_sgpr_flat_scratch_init 0
		.amdhsa_user_sgpr_private_segment_size 0
		.amdhsa_wavefront_size32 1
		.amdhsa_uses_dynamic_stack 0
		.amdhsa_system_sgpr_private_segment_wavefront_offset 0
		.amdhsa_system_sgpr_workgroup_id_x 1
		.amdhsa_system_sgpr_workgroup_id_y 1
		.amdhsa_system_sgpr_workgroup_id_z 1
		.amdhsa_system_sgpr_workgroup_info 0
		.amdhsa_system_vgpr_workitem_id 1
		.amdhsa_next_free_vgpr 56
		.amdhsa_next_free_sgpr 52
		.amdhsa_reserve_vcc 1
		.amdhsa_reserve_flat_scratch 0
		.amdhsa_float_round_mode_32 0
		.amdhsa_float_round_mode_16_64 0
		.amdhsa_float_denorm_mode_32 3
		.amdhsa_float_denorm_mode_16_64 3
		.amdhsa_dx10_clamp 1
		.amdhsa_ieee_mode 1
		.amdhsa_fp16_overflow 0
		.amdhsa_workgroup_processor_mode 1
		.amdhsa_memory_ordered 1
		.amdhsa_forward_progress 1
		.amdhsa_shared_vgpr_count 0
		.amdhsa_exception_fp_ieee_invalid_op 0
		.amdhsa_exception_fp_denorm_src 0
		.amdhsa_exception_fp_ieee_div_zero 0
		.amdhsa_exception_fp_ieee_overflow 0
		.amdhsa_exception_fp_ieee_underflow 0
		.amdhsa_exception_fp_ieee_inexact 0
		.amdhsa_exception_int_div_zero 0
	.end_amdhsa_kernel
	.section	.text._ZN12_GLOBAL__N_135rocblas_gemm_batched_general_kernelI19rocblas_complex_numIdELi16ELi16ELi32ELi32ELi8ELi32ELi8ELi8ELi32ELc78ELc84EKS2_S3_S2_EEvlllT_PT11_llS6_llS4_PT12_llPT13_lli,"axG",@progbits,_ZN12_GLOBAL__N_135rocblas_gemm_batched_general_kernelI19rocblas_complex_numIdELi16ELi16ELi32ELi32ELi8ELi32ELi8ELi8ELi32ELc78ELc84EKS2_S3_S2_EEvlllT_PT11_llS6_llS4_PT12_llPT13_lli,comdat
.Lfunc_end138:
	.size	_ZN12_GLOBAL__N_135rocblas_gemm_batched_general_kernelI19rocblas_complex_numIdELi16ELi16ELi32ELi32ELi8ELi32ELi8ELi8ELi32ELc78ELc84EKS2_S3_S2_EEvlllT_PT11_llS6_llS4_PT12_llPT13_lli, .Lfunc_end138-_ZN12_GLOBAL__N_135rocblas_gemm_batched_general_kernelI19rocblas_complex_numIdELi16ELi16ELi32ELi32ELi8ELi32ELi8ELi8ELi32ELc78ELc84EKS2_S3_S2_EEvlllT_PT11_llS6_llS4_PT12_llPT13_lli
                                        ; -- End function
	.set _ZN12_GLOBAL__N_135rocblas_gemm_batched_general_kernelI19rocblas_complex_numIdELi16ELi16ELi32ELi32ELi8ELi32ELi8ELi8ELi32ELc78ELc84EKS2_S3_S2_EEvlllT_PT11_llS6_llS4_PT12_llPT13_lli.num_vgpr, 56
	.set _ZN12_GLOBAL__N_135rocblas_gemm_batched_general_kernelI19rocblas_complex_numIdELi16ELi16ELi32ELi32ELi8ELi32ELi8ELi8ELi32ELc78ELc84EKS2_S3_S2_EEvlllT_PT11_llS6_llS4_PT12_llPT13_lli.num_agpr, 0
	.set _ZN12_GLOBAL__N_135rocblas_gemm_batched_general_kernelI19rocblas_complex_numIdELi16ELi16ELi32ELi32ELi8ELi32ELi8ELi8ELi32ELc78ELc84EKS2_S3_S2_EEvlllT_PT11_llS6_llS4_PT12_llPT13_lli.numbered_sgpr, 52
	.set _ZN12_GLOBAL__N_135rocblas_gemm_batched_general_kernelI19rocblas_complex_numIdELi16ELi16ELi32ELi32ELi8ELi32ELi8ELi8ELi32ELc78ELc84EKS2_S3_S2_EEvlllT_PT11_llS6_llS4_PT12_llPT13_lli.num_named_barrier, 0
	.set _ZN12_GLOBAL__N_135rocblas_gemm_batched_general_kernelI19rocblas_complex_numIdELi16ELi16ELi32ELi32ELi8ELi32ELi8ELi8ELi32ELc78ELc84EKS2_S3_S2_EEvlllT_PT11_llS6_llS4_PT12_llPT13_lli.private_seg_size, 0
	.set _ZN12_GLOBAL__N_135rocblas_gemm_batched_general_kernelI19rocblas_complex_numIdELi16ELi16ELi32ELi32ELi8ELi32ELi8ELi8ELi32ELc78ELc84EKS2_S3_S2_EEvlllT_PT11_llS6_llS4_PT12_llPT13_lli.uses_vcc, 1
	.set _ZN12_GLOBAL__N_135rocblas_gemm_batched_general_kernelI19rocblas_complex_numIdELi16ELi16ELi32ELi32ELi8ELi32ELi8ELi8ELi32ELc78ELc84EKS2_S3_S2_EEvlllT_PT11_llS6_llS4_PT12_llPT13_lli.uses_flat_scratch, 0
	.set _ZN12_GLOBAL__N_135rocblas_gemm_batched_general_kernelI19rocblas_complex_numIdELi16ELi16ELi32ELi32ELi8ELi32ELi8ELi8ELi32ELc78ELc84EKS2_S3_S2_EEvlllT_PT11_llS6_llS4_PT12_llPT13_lli.has_dyn_sized_stack, 0
	.set _ZN12_GLOBAL__N_135rocblas_gemm_batched_general_kernelI19rocblas_complex_numIdELi16ELi16ELi32ELi32ELi8ELi32ELi8ELi8ELi32ELc78ELc84EKS2_S3_S2_EEvlllT_PT11_llS6_llS4_PT12_llPT13_lli.has_recursion, 0
	.set _ZN12_GLOBAL__N_135rocblas_gemm_batched_general_kernelI19rocblas_complex_numIdELi16ELi16ELi32ELi32ELi8ELi32ELi8ELi8ELi32ELc78ELc84EKS2_S3_S2_EEvlllT_PT11_llS6_llS4_PT12_llPT13_lli.has_indirect_call, 0
	.section	.AMDGPU.csdata,"",@progbits
; Kernel info:
; codeLenInByte = 4048
; TotalNumSgprs: 54
; NumVgprs: 56
; ScratchSize: 0
; MemoryBound: 0
; FloatMode: 240
; IeeeMode: 1
; LDSByteSize: 8192 bytes/workgroup (compile time only)
; SGPRBlocks: 0
; VGPRBlocks: 6
; NumSGPRsForWavesPerEU: 54
; NumVGPRsForWavesPerEU: 56
; Occupancy: 16
; WaveLimiterHint : 0
; COMPUTE_PGM_RSRC2:SCRATCH_EN: 0
; COMPUTE_PGM_RSRC2:USER_SGPR: 6
; COMPUTE_PGM_RSRC2:TRAP_HANDLER: 0
; COMPUTE_PGM_RSRC2:TGID_X_EN: 1
; COMPUTE_PGM_RSRC2:TGID_Y_EN: 1
; COMPUTE_PGM_RSRC2:TGID_Z_EN: 1
; COMPUTE_PGM_RSRC2:TIDIG_COMP_CNT: 1
	.section	.text._ZN12_GLOBAL__N_135rocblas_gemm_batched_general_kernelI19rocblas_complex_numIdELi16ELi16ELi32ELi32ELi8ELi32ELi8ELi8ELi32ELc84ELc84EKS2_S3_S2_EEvlllT_PT11_llS6_llS4_PT12_llPT13_lli,"axG",@progbits,_ZN12_GLOBAL__N_135rocblas_gemm_batched_general_kernelI19rocblas_complex_numIdELi16ELi16ELi32ELi32ELi8ELi32ELi8ELi8ELi32ELc84ELc84EKS2_S3_S2_EEvlllT_PT11_llS6_llS4_PT12_llPT13_lli,comdat
	.globl	_ZN12_GLOBAL__N_135rocblas_gemm_batched_general_kernelI19rocblas_complex_numIdELi16ELi16ELi32ELi32ELi8ELi32ELi8ELi8ELi32ELc84ELc84EKS2_S3_S2_EEvlllT_PT11_llS6_llS4_PT12_llPT13_lli ; -- Begin function _ZN12_GLOBAL__N_135rocblas_gemm_batched_general_kernelI19rocblas_complex_numIdELi16ELi16ELi32ELi32ELi8ELi32ELi8ELi8ELi32ELc84ELc84EKS2_S3_S2_EEvlllT_PT11_llS6_llS4_PT12_llPT13_lli
	.p2align	8
	.type	_ZN12_GLOBAL__N_135rocblas_gemm_batched_general_kernelI19rocblas_complex_numIdELi16ELi16ELi32ELi32ELi8ELi32ELi8ELi8ELi32ELc84ELc84EKS2_S3_S2_EEvlllT_PT11_llS6_llS4_PT12_llPT13_lli,@function
_ZN12_GLOBAL__N_135rocblas_gemm_batched_general_kernelI19rocblas_complex_numIdELi16ELi16ELi32ELi32ELi8ELi32ELi8ELi8ELi32ELc84ELc84EKS2_S3_S2_EEvlllT_PT11_llS6_llS4_PT12_llPT13_lli: ; @_ZN12_GLOBAL__N_135rocblas_gemm_batched_general_kernelI19rocblas_complex_numIdELi16ELi16ELi32ELi32ELi8ELi32ELi8ELi8ELi32ELc84ELc84EKS2_S3_S2_EEvlllT_PT11_llS6_llS4_PT12_llPT13_lli
; %bb.0:
	s_clause 0x1
	s_load_dwordx16 s[12:27], s[4:5], 0x0
	s_load_dwordx16 s[36:51], s[4:5], 0x40
	s_mov_b32 s28, s7
	v_mov_b32_e32 v2, 0
	s_ashr_i32 s7, s6, 31
	s_ashr_i32 s29, s28, 31
	s_lshl_b64 s[10:11], s[6:7], 5
	s_lshl_b64 s[2:3], s[28:29], 5
	s_waitcnt lgkmcnt(0)
	v_cmp_lt_i64_e64 s0, s[16:17], 1
	s_and_b32 vcc_lo, exec_lo, s0
	s_cbranch_vccnz .LBB139_11
; %bb.1:
	v_lshl_add_u32 v3, v1, 4, v0
	v_and_b32_e32 v26, 7, v0
	v_mov_b32_e32 v4, s11
	s_mul_i32 s1, s41, s8
	s_mul_hi_u32 s6, s40, s8
	v_and_b32_e32 v9, 31, v3
	v_mad_u64_u32 v[5:6], null, s38, v26, 0
	v_lshrrev_b32_e32 v27, 5, v3
	v_lshrrev_b32_e32 v10, 3, v3
	v_or_b32_e32 v3, s10, v9
	v_lshlrev_b32_e32 v11, 4, v26
	s_add_i32 s7, s6, s1
	v_lshlrev_b32_e32 v12, 4, v9
	v_add_co_u32 v7, s0, v10, s2
	v_cmp_gt_i64_e32 vcc_lo, s[12:13], v[3:4]
	v_mov_b32_e32 v3, v6
	v_add_co_ci_u32_e64 v8, null, 0, s3, s0
	v_lshl_or_b32 v6, v10, 7, v11
	s_mul_i32 s6, s40, s8
	v_mad_u64_u32 v[3:4], null, s39, v26, v[3:4]
	v_cmp_gt_i64_e64 s0, s[14:15], v[7:8]
	v_add_co_u32 v7, s1, s10, v9
	v_add_nc_u32_e32 v29, 0x1000, v6
	v_add_co_ci_u32_e64 v8, null, s11, 0, s1
	v_mov_b32_e32 v6, v3
	v_mul_lo_u32 v9, s25, v7
	s_lshl_b64 s[6:7], s[6:7], 4
	v_mul_lo_u32 v8, s24, v8
	s_lshl_b64 s[28:29], s[28:29], 9
	v_lshlrev_b64 v[3:4], 4, v[5:6]
	v_mad_u64_u32 v[5:6], null, s24, v7, 0
	s_add_u32 s1, s28, s6
	s_addc_u32 s6, s29, s7
	v_lshlrev_b32_e32 v7, 4, v10
	v_add_co_u32 v3, s1, s1, v3
	v_add_co_ci_u32_e64 v4, null, s6, v4, s1
	v_add3_u32 v6, v6, v8, v9
	v_add_co_u32 v7, s1, v3, v7
	v_add_co_ci_u32_e64 v8, null, 0, v4, s1
	s_mul_i32 s1, s27, s8
	s_mul_hi_u32 s6, s26, s8
	v_lshlrev_b64 v[3:4], 4, v[5:6]
	s_add_i32 s7, s6, s1
	s_mul_i32 s6, s26, s8
	v_add_co_u32 v6, s1, s36, v7
	s_lshl_b64 s[6:7], s[6:7], 4
	v_add_co_ci_u32_e64 v7, null, s37, v8, s1
	v_lshlrev_b32_e32 v5, 4, v27
	v_add_co_u32 v3, s1, v3, s6
	v_add_co_ci_u32_e64 v4, null, s7, v4, s1
	v_lshl_or_b32 v28, v27, 9, v12
	v_add_co_u32 v3, s1, v3, v5
	v_add_co_ci_u32_e64 v4, null, 0, v4, s1
	v_mov_b32_e32 v16, 0
	v_add_co_u32 v8, s1, s22, v3
	v_mov_b32_e32 v14, 0
	v_mov_b32_e32 v20, 0
	;; [unrolled: 1-line block ×7, first 2 shown]
	v_lshlrev_b32_e32 v30, 4, v0
	v_lshl_add_u32 v31, v1, 7, 0x1000
	v_mov_b32_e32 v17, 0
	v_mov_b32_e32 v15, 0
	;; [unrolled: 1-line block ×8, first 2 shown]
	v_add_co_ci_u32_e64 v9, null, s23, v4, s1
	s_lshl_b64 s[6:7], s[38:39], 7
	s_mov_b64 s[22:23], 0
	s_xor_b32 s1, vcc_lo, -1
	s_xor_b32 s0, s0, -1
	s_branch .LBB139_3
.LBB139_2:                              ;   in Loop: Header=BB139_3 Depth=1
	s_or_b32 exec_lo, exec_lo, s9
	s_waitcnt lgkmcnt(0)
	s_barrier
	buffer_gl0_inv
	ds_read_b128 v[32:35], v31
	ds_read_b128 v[36:39], v31 offset:16
	ds_read_b128 v[40:43], v31 offset:32
	;; [unrolled: 1-line block ×3, first 2 shown]
	ds_read_b128 v[48:51], v30
	s_add_u32 s22, s22, 8
	s_addc_u32 s23, s23, 0
	v_add_co_u32 v6, vcc_lo, v6, s6
	v_cmp_lt_i64_e64 s9, s[22:23], s[16:17]
	v_add_co_ci_u32_e64 v7, null, s7, v7, vcc_lo
	v_add_co_u32 v8, vcc_lo, 0x80, v8
	v_add_co_ci_u32_e64 v9, null, 0, v9, vcc_lo
	s_and_b32 vcc_lo, exec_lo, s9
	s_waitcnt lgkmcnt(0)
	v_mul_f64 v[3:4], v[34:35], v[50:51]
	v_mul_f64 v[52:53], v[32:33], v[50:51]
	v_fma_f64 v[3:4], v[32:33], v[48:49], -v[3:4]
	v_fma_f64 v[52:53], v[34:35], v[48:49], v[52:53]
	v_add_f64 v[3:4], v[22:23], v[3:4]
	v_add_f64 v[52:53], v[52:53], v[24:25]
	ds_read_b128 v[22:25], v30 offset:256
	s_waitcnt lgkmcnt(0)
	v_mul_f64 v[54:55], v[34:35], v[24:25]
	v_fma_f64 v[54:55], v[32:33], v[22:23], -v[54:55]
	v_mul_f64 v[32:33], v[32:33], v[24:25]
	v_fma_f64 v[32:33], v[34:35], v[22:23], v[32:33]
	v_add_f64 v[34:35], v[10:11], v[54:55]
	v_add_f64 v[32:33], v[32:33], v[12:13]
	ds_read_b128 v[10:13], v31 offset:2048
	s_waitcnt lgkmcnt(0)
	v_mul_f64 v[54:55], v[12:13], v[50:51]
	v_mul_f64 v[50:51], v[10:11], v[50:51]
	v_fma_f64 v[54:55], v[10:11], v[48:49], -v[54:55]
	v_fma_f64 v[48:49], v[12:13], v[48:49], v[50:51]
	v_add_f64 v[50:51], v[18:19], v[54:55]
	v_mul_f64 v[18:19], v[12:13], v[24:25]
	v_add_f64 v[48:49], v[48:49], v[20:21]
	v_fma_f64 v[18:19], v[10:11], v[22:23], -v[18:19]
	v_mul_f64 v[10:11], v[10:11], v[24:25]
	v_fma_f64 v[10:11], v[12:13], v[22:23], v[10:11]
	v_add_f64 v[22:23], v[14:15], v[18:19]
	v_add_f64 v[24:25], v[10:11], v[16:17]
	ds_read_b128 v[10:13], v30 offset:512
	s_waitcnt lgkmcnt(0)
	v_mul_f64 v[14:15], v[38:39], v[12:13]
	v_mul_f64 v[16:17], v[36:37], v[12:13]
	v_fma_f64 v[14:15], v[36:37], v[10:11], -v[14:15]
	v_fma_f64 v[16:17], v[38:39], v[10:11], v[16:17]
	v_add_f64 v[3:4], v[3:4], v[14:15]
	v_add_f64 v[52:53], v[16:17], v[52:53]
	ds_read_b128 v[14:17], v30 offset:768
	s_waitcnt lgkmcnt(0)
	v_mul_f64 v[18:19], v[38:39], v[16:17]
	v_mul_f64 v[20:21], v[36:37], v[16:17]
	v_fma_f64 v[18:19], v[36:37], v[14:15], -v[18:19]
	;; [unrolled: 8-line block ×3, first 2 shown]
	v_fma_f64 v[10:11], v[20:21], v[10:11], v[12:13]
	v_mul_f64 v[12:13], v[18:19], v[16:17]
	v_add_f64 v[36:37], v[50:51], v[36:37]
	v_add_f64 v[38:39], v[10:11], v[48:49]
	v_mul_f64 v[10:11], v[20:21], v[16:17]
	v_fma_f64 v[12:13], v[20:21], v[14:15], v[12:13]
	v_fma_f64 v[10:11], v[18:19], v[14:15], -v[10:11]
	v_add_f64 v[24:25], v[12:13], v[24:25]
	v_add_f64 v[22:23], v[22:23], v[10:11]
	ds_read_b128 v[10:13], v30 offset:1024
	s_waitcnt lgkmcnt(0)
	v_mul_f64 v[14:15], v[42:43], v[12:13]
	v_mul_f64 v[16:17], v[40:41], v[12:13]
	v_fma_f64 v[14:15], v[40:41], v[10:11], -v[14:15]
	v_fma_f64 v[16:17], v[42:43], v[10:11], v[16:17]
	v_add_f64 v[3:4], v[3:4], v[14:15]
	v_add_f64 v[48:49], v[16:17], v[52:53]
	ds_read_b128 v[14:17], v30 offset:1280
	s_waitcnt lgkmcnt(0)
	v_mul_f64 v[18:19], v[42:43], v[16:17]
	v_mul_f64 v[20:21], v[40:41], v[16:17]
	v_fma_f64 v[18:19], v[40:41], v[14:15], -v[18:19]
	v_fma_f64 v[20:21], v[42:43], v[14:15], v[20:21]
	;; [unrolled: 8-line block ×3, first 2 shown]
	v_mul_f64 v[12:13], v[18:19], v[16:17]
	v_add_f64 v[36:37], v[36:37], v[40:41]
	v_add_f64 v[38:39], v[10:11], v[38:39]
	v_mul_f64 v[10:11], v[20:21], v[16:17]
	v_fma_f64 v[12:13], v[20:21], v[14:15], v[12:13]
	v_fma_f64 v[10:11], v[18:19], v[14:15], -v[10:11]
	v_add_f64 v[24:25], v[12:13], v[24:25]
	v_add_f64 v[22:23], v[22:23], v[10:11]
	ds_read_b128 v[10:13], v30 offset:1536
	s_waitcnt lgkmcnt(0)
	v_mul_f64 v[14:15], v[46:47], v[12:13]
	v_mul_f64 v[16:17], v[44:45], v[12:13]
	v_fma_f64 v[14:15], v[44:45], v[10:11], -v[14:15]
	v_fma_f64 v[16:17], v[46:47], v[10:11], v[16:17]
	v_add_f64 v[3:4], v[3:4], v[14:15]
	v_add_f64 v[40:41], v[16:17], v[48:49]
	ds_read_b128 v[14:17], v30 offset:1792
	s_waitcnt lgkmcnt(0)
	v_mul_f64 v[18:19], v[46:47], v[16:17]
	v_mul_f64 v[20:21], v[44:45], v[16:17]
	v_fma_f64 v[18:19], v[44:45], v[14:15], -v[18:19]
	v_fma_f64 v[20:21], v[46:47], v[14:15], v[20:21]
	;; [unrolled: 8-line block ×3, first 2 shown]
	v_mul_f64 v[12:13], v[18:19], v[16:17]
	v_add_f64 v[36:37], v[36:37], v[42:43]
	v_add_f64 v[38:39], v[10:11], v[38:39]
	v_mul_f64 v[10:11], v[20:21], v[16:17]
	v_fma_f64 v[12:13], v[20:21], v[14:15], v[12:13]
	v_fma_f64 v[10:11], v[18:19], v[14:15], -v[10:11]
	v_add_f64 v[24:25], v[12:13], v[24:25]
	v_add_f64 v[22:23], v[22:23], v[10:11]
	ds_read_b128 v[10:13], v31 offset:64
	ds_read_b128 v[14:17], v30 offset:2048
	s_waitcnt lgkmcnt(0)
	v_mul_f64 v[18:19], v[12:13], v[16:17]
	v_mul_f64 v[20:21], v[10:11], v[16:17]
	v_fma_f64 v[18:19], v[10:11], v[14:15], -v[18:19]
	v_fma_f64 v[20:21], v[12:13], v[14:15], v[20:21]
	v_add_f64 v[3:4], v[3:4], v[18:19]
	v_add_f64 v[40:41], v[20:21], v[40:41]
	ds_read_b128 v[18:21], v30 offset:2304
	s_waitcnt lgkmcnt(0)
	v_mul_f64 v[42:43], v[12:13], v[20:21]
	v_fma_f64 v[42:43], v[10:11], v[18:19], -v[42:43]
	v_mul_f64 v[10:11], v[10:11], v[20:21]
	v_add_f64 v[34:35], v[34:35], v[42:43]
	v_fma_f64 v[10:11], v[12:13], v[18:19], v[10:11]
	v_add_f64 v[32:33], v[10:11], v[32:33]
	ds_read_b128 v[10:13], v31 offset:2112
	s_waitcnt lgkmcnt(0)
	v_mul_f64 v[42:43], v[12:13], v[16:17]
	v_mul_f64 v[16:17], v[10:11], v[16:17]
	v_fma_f64 v[42:43], v[10:11], v[14:15], -v[42:43]
	v_fma_f64 v[14:15], v[12:13], v[14:15], v[16:17]
	v_add_f64 v[36:37], v[36:37], v[42:43]
	v_add_f64 v[38:39], v[14:15], v[38:39]
	v_mul_f64 v[14:15], v[12:13], v[20:21]
	v_fma_f64 v[14:15], v[10:11], v[18:19], -v[14:15]
	v_mul_f64 v[10:11], v[10:11], v[20:21]
	v_add_f64 v[22:23], v[22:23], v[14:15]
	v_fma_f64 v[10:11], v[12:13], v[18:19], v[10:11]
	v_add_f64 v[24:25], v[10:11], v[24:25]
	ds_read_b128 v[10:13], v31 offset:80
	ds_read_b128 v[14:17], v30 offset:2560
	s_waitcnt lgkmcnt(0)
	v_mul_f64 v[18:19], v[12:13], v[16:17]
	v_mul_f64 v[20:21], v[10:11], v[16:17]
	v_fma_f64 v[18:19], v[10:11], v[14:15], -v[18:19]
	v_fma_f64 v[20:21], v[12:13], v[14:15], v[20:21]
	v_add_f64 v[3:4], v[3:4], v[18:19]
	v_add_f64 v[40:41], v[20:21], v[40:41]
	ds_read_b128 v[18:21], v30 offset:2816
	s_waitcnt lgkmcnt(0)
	v_mul_f64 v[42:43], v[12:13], v[20:21]
	v_fma_f64 v[42:43], v[10:11], v[18:19], -v[42:43]
	v_mul_f64 v[10:11], v[10:11], v[20:21]
	v_add_f64 v[34:35], v[34:35], v[42:43]
	v_fma_f64 v[10:11], v[12:13], v[18:19], v[10:11]
	v_add_f64 v[32:33], v[10:11], v[32:33]
	ds_read_b128 v[10:13], v31 offset:2128
	s_waitcnt lgkmcnt(0)
	v_mul_f64 v[42:43], v[12:13], v[16:17]
	v_mul_f64 v[16:17], v[10:11], v[16:17]
	v_fma_f64 v[42:43], v[10:11], v[14:15], -v[42:43]
	v_fma_f64 v[14:15], v[12:13], v[14:15], v[16:17]
	v_add_f64 v[36:37], v[36:37], v[42:43]
	v_add_f64 v[38:39], v[14:15], v[38:39]
	v_mul_f64 v[14:15], v[12:13], v[20:21]
	v_fma_f64 v[14:15], v[10:11], v[18:19], -v[14:15]
	v_mul_f64 v[10:11], v[10:11], v[20:21]
	v_add_f64 v[22:23], v[22:23], v[14:15]
	v_fma_f64 v[10:11], v[12:13], v[18:19], v[10:11]
	;; [unrolled: 31-line block ×3, first 2 shown]
	v_add_f64 v[52:53], v[10:11], v[24:25]
	ds_read_b128 v[10:13], v31 offset:112
	ds_read_b128 v[14:17], v30 offset:3584
	;; [unrolled: 1-line block ×4, first 2 shown]
	s_waitcnt lgkmcnt(0)
	s_barrier
	buffer_gl0_inv
	v_mul_f64 v[18:19], v[12:13], v[16:17]
	v_mul_f64 v[20:21], v[10:11], v[16:17]
	v_fma_f64 v[18:19], v[10:11], v[14:15], -v[18:19]
	v_fma_f64 v[20:21], v[12:13], v[14:15], v[20:21]
	v_add_f64 v[22:23], v[3:4], v[18:19]
	v_mul_f64 v[3:4], v[12:13], v[34:35]
	v_add_f64 v[24:25], v[20:21], v[40:41]
	v_fma_f64 v[3:4], v[10:11], v[32:33], -v[3:4]
	v_mul_f64 v[10:11], v[10:11], v[34:35]
	v_fma_f64 v[12:13], v[12:13], v[32:33], v[10:11]
	v_add_f64 v[10:11], v[42:43], v[3:4]
	v_mul_f64 v[3:4], v[38:39], v[16:17]
	v_mul_f64 v[16:17], v[36:37], v[16:17]
	v_add_f64 v[12:13], v[12:13], v[44:45]
	v_fma_f64 v[3:4], v[36:37], v[14:15], -v[3:4]
	v_fma_f64 v[14:15], v[38:39], v[14:15], v[16:17]
	v_add_f64 v[18:19], v[46:47], v[3:4]
	v_add_f64 v[20:21], v[14:15], v[48:49]
	v_mul_f64 v[3:4], v[38:39], v[34:35]
	v_mul_f64 v[14:15], v[36:37], v[34:35]
	v_fma_f64 v[3:4], v[36:37], v[32:33], -v[3:4]
	v_fma_f64 v[16:17], v[38:39], v[32:33], v[14:15]
	v_add_f64 v[14:15], v[50:51], v[3:4]
	v_add_f64 v[16:17], v[16:17], v[52:53]
	s_cbranch_vccz .LBB139_12
.LBB139_3:                              ; =>This Inner Loop Header: Depth=1
	v_add_co_u32 v3, s9, v27, s22
	v_add_co_ci_u32_e64 v4, null, 0, s23, s9
	v_cmp_le_i64_e32 vcc_lo, s[16:17], v[3:4]
	s_or_b32 s9, s1, vcc_lo
	s_and_saveexec_b32 s24, s9
	s_xor_b32 s9, exec_lo, s24
	s_cbranch_execz .LBB139_5
; %bb.4:                                ;   in Loop: Header=BB139_3 Depth=1
	v_mov_b32_e32 v3, v2
	v_mov_b32_e32 v4, v2
	;; [unrolled: 1-line block ×3, first 2 shown]
	ds_write_b128 v28, v[2:5]
.LBB139_5:                              ;   in Loop: Header=BB139_3 Depth=1
	s_andn2_saveexec_b32 s9, s9
	s_cbranch_execz .LBB139_7
; %bb.6:                                ;   in Loop: Header=BB139_3 Depth=1
	global_load_dwordx4 v[32:35], v[8:9], off
	s_waitcnt vmcnt(0)
	ds_write2_b64 v28, v[32:33], v[34:35] offset1:1
.LBB139_7:                              ;   in Loop: Header=BB139_3 Depth=1
	s_or_b32 exec_lo, exec_lo, s9
	v_add_co_u32 v3, s9, v26, s22
	v_add_co_ci_u32_e64 v4, null, 0, s23, s9
	v_cmp_le_i64_e32 vcc_lo, s[16:17], v[3:4]
	s_or_b32 s9, vcc_lo, s0
	s_and_saveexec_b32 s24, s9
	s_xor_b32 s9, exec_lo, s24
	s_cbranch_execz .LBB139_9
; %bb.8:                                ;   in Loop: Header=BB139_3 Depth=1
	v_mov_b32_e32 v3, v2
	v_mov_b32_e32 v4, v2
	;; [unrolled: 1-line block ×3, first 2 shown]
	ds_write_b128 v29, v[2:5]
.LBB139_9:                              ;   in Loop: Header=BB139_3 Depth=1
	s_andn2_saveexec_b32 s9, s9
	s_cbranch_execz .LBB139_2
; %bb.10:                               ;   in Loop: Header=BB139_3 Depth=1
	global_load_dwordx4 v[32:35], v[6:7], off
	s_waitcnt vmcnt(0)
	ds_write2_b64 v29, v[32:33], v[34:35] offset1:1
	s_branch .LBB139_2
.LBB139_11:
	v_mov_b32_e32 v22, 0
	v_mov_b32_e32 v24, 0
	;; [unrolled: 1-line block ×16, first 2 shown]
.LBB139_12:
	s_clause 0x1
	s_load_dwordx2 s[0:1], s[4:5], 0x90
	s_load_dwordx4 s[4:7], s[4:5], 0x80
	v_cmp_neq_f64_e64 s9, s[42:43], 0
	v_cmp_neq_f64_e64 s16, s[44:45], 0
	v_add_co_u32 v1, s2, s2, v1
	v_add_co_ci_u32_e64 v2, null, s3, 0, s2
	s_waitcnt lgkmcnt(0)
	s_mul_i32 s1, s1, s8
	s_mul_hi_u32 s17, s0, s8
	s_mul_i32 s0, s0, s8
	s_add_i32 s1, s17, s1
	s_lshl_b64 s[0:1], s[0:1], 4
	s_add_u32 s3, s4, s0
	v_cmp_gt_i64_e64 s0, s[14:15], v[1:2]
	s_addc_u32 s4, s5, s1
	s_or_b32 s1, s9, s16
	s_and_b32 vcc_lo, exec_lo, s1
	s_mov_b32 s1, -1
	s_cbranch_vccnz .LBB139_24
; %bb.13:
	s_and_saveexec_b32 s5, s0
	s_cbranch_execz .LBB139_23
; %bb.14:
	v_mul_lo_u32 v5, v2, s6
	v_mul_lo_u32 v6, v1, s7
	v_mad_u64_u32 v[3:4], null, v1, s6, 0
	v_add3_u32 v4, v4, v6, v5
	v_add_co_u32 v5, s1, s10, v0
	v_add_co_ci_u32_e64 v6, null, s11, 0, s1
	v_lshlrev_b64 v[7:8], 4, v[3:4]
	v_cmp_gt_i64_e32 vcc_lo, s[12:13], v[5:6]
	v_lshlrev_b64 v[3:4], 4, v[5:6]
	v_add_co_u32 v7, s1, s3, v7
	v_add_co_ci_u32_e64 v8, null, s4, v8, s1
	s_and_saveexec_b32 s2, vcc_lo
	s_cbranch_execz .LBB139_16
; %bb.15:
	v_mul_f64 v[26:27], s[20:21], v[24:25]
	v_mul_f64 v[28:29], s[18:19], v[24:25]
	v_add_co_u32 v30, s1, v7, v3
	v_add_co_ci_u32_e64 v31, null, v8, v4, s1
	v_fma_f64 v[26:27], s[18:19], v[22:23], -v[26:27]
	v_fma_f64 v[28:29], s[20:21], v[22:23], v[28:29]
	global_store_dwordx4 v[30:31], v[26:29], off
.LBB139_16:
	s_or_b32 exec_lo, exec_lo, s2
	v_add_co_u32 v5, s1, v5, 16
	v_add_co_ci_u32_e64 v6, null, 0, v6, s1
	v_cmp_gt_i64_e64 s1, s[12:13], v[5:6]
	s_and_saveexec_b32 s9, s1
	s_cbranch_execz .LBB139_18
; %bb.17:
	v_mul_f64 v[5:6], s[20:21], v[12:13]
	v_mul_f64 v[28:29], s[18:19], v[12:13]
	v_fma_f64 v[26:27], s[18:19], v[10:11], -v[5:6]
	v_fma_f64 v[28:29], s[20:21], v[10:11], v[28:29]
	v_add_co_u32 v5, s2, v7, v3
	v_add_co_ci_u32_e64 v6, null, v8, v4, s2
	global_store_dwordx4 v[5:6], v[26:29], off offset:256
.LBB139_18:
	s_or_b32 exec_lo, exec_lo, s9
	v_add_co_u32 v5, s2, v1, 16
	v_add_co_ci_u32_e64 v6, null, 0, v2, s2
	v_cmp_gt_i64_e64 s2, s[14:15], v[5:6]
	s_and_b32 exec_lo, exec_lo, s2
	s_cbranch_execz .LBB139_23
; %bb.19:
	s_lshl_b64 s[16:17], s[6:7], 8
	v_add_co_u32 v5, s2, v7, s16
	v_add_co_ci_u32_e64 v6, null, s17, v8, s2
	v_add_co_u32 v3, s2, v5, v3
	v_add_co_ci_u32_e64 v4, null, v6, v4, s2
	s_and_saveexec_b32 s2, vcc_lo
	s_cbranch_execz .LBB139_21
; %bb.20:
	v_mul_f64 v[5:6], s[20:21], v[20:21]
	v_mul_f64 v[7:8], s[18:19], v[20:21]
	v_fma_f64 v[5:6], s[18:19], v[18:19], -v[5:6]
	v_fma_f64 v[7:8], s[20:21], v[18:19], v[7:8]
	global_store_dwordx4 v[3:4], v[5:8], off
.LBB139_21:
	s_or_b32 exec_lo, exec_lo, s2
	s_and_b32 exec_lo, exec_lo, s1
	s_cbranch_execz .LBB139_23
; %bb.22:
	v_mul_f64 v[5:6], s[20:21], v[16:17]
	v_mul_f64 v[7:8], s[18:19], v[16:17]
	v_fma_f64 v[5:6], s[18:19], v[14:15], -v[5:6]
	v_fma_f64 v[7:8], s[20:21], v[14:15], v[7:8]
	global_store_dwordx4 v[3:4], v[5:8], off offset:256
.LBB139_23:
	s_or_b32 exec_lo, exec_lo, s5
	s_mov_b32 s1, 0
.LBB139_24:
	s_andn2_b32 vcc_lo, exec_lo, s1
	s_cbranch_vccnz .LBB139_35
; %bb.25:
	s_and_saveexec_b32 s1, s0
	s_cbranch_execz .LBB139_35
; %bb.26:
	v_mul_lo_u32 v5, v2, s48
	v_mul_lo_u32 v6, v1, s49
	v_mad_u64_u32 v[3:4], null, v1, s48, 0
	v_mul_lo_u32 v9, v2, s6
	v_mul_lo_u32 v26, v1, s7
	v_mad_u64_u32 v[7:8], null, v1, s6, 0
	s_mul_i32 s0, s51, s8
	s_mul_hi_u32 s1, s50, s8
	v_add3_u32 v4, v4, v6, v5
	s_add_i32 s1, s1, s0
	s_mul_i32 s0, s50, s8
	v_add_co_u32 v5, s2, s10, v0
	v_add3_u32 v8, v8, v26, v9
	v_lshlrev_b64 v[3:4], 4, v[3:4]
	s_lshl_b64 s[0:1], s[0:1], 4
	v_add_co_ci_u32_e64 v6, null, s11, 0, s2
	v_lshlrev_b64 v[8:9], 4, v[7:8]
	s_add_u32 s0, s46, s0
	s_addc_u32 s1, s47, s1
	v_add_co_u32 v0, s0, s0, v3
	v_add_co_ci_u32_e64 v7, null, s1, v4, s0
	v_add_co_u32 v8, s0, s3, v8
	v_cmp_gt_i64_e32 vcc_lo, s[12:13], v[5:6]
	v_lshlrev_b64 v[3:4], 4, v[5:6]
	v_add_co_ci_u32_e64 v9, null, s4, v9, s0
	s_and_saveexec_b32 s1, vcc_lo
	s_cbranch_execz .LBB139_28
; %bb.27:
	v_add_co_u32 v26, s0, v0, v3
	v_add_co_ci_u32_e64 v27, null, v7, v4, s0
	v_mul_f64 v[30:31], s[20:21], v[24:25]
	v_mul_f64 v[24:25], s[18:19], v[24:25]
	global_load_dwordx4 v[26:29], v[26:27], off
	v_fma_f64 v[30:31], s[18:19], v[22:23], -v[30:31]
	v_fma_f64 v[24:25], s[20:21], v[22:23], v[24:25]
	s_waitcnt vmcnt(0)
	v_mul_f64 v[32:33], s[44:45], v[28:29]
	v_mul_f64 v[28:29], s[42:43], v[28:29]
	v_fma_f64 v[22:23], s[42:43], v[26:27], -v[32:33]
	v_fma_f64 v[26:27], s[44:45], v[26:27], v[28:29]
	v_add_f64 v[22:23], v[30:31], v[22:23]
	v_add_f64 v[24:25], v[24:25], v[26:27]
	v_add_co_u32 v26, s0, v8, v3
	v_add_co_ci_u32_e64 v27, null, v9, v4, s0
	global_store_dwordx4 v[26:27], v[22:25], off
.LBB139_28:
	s_or_b32 exec_lo, exec_lo, s1
	v_add_co_u32 v5, s0, v5, 16
	v_add_co_ci_u32_e64 v6, null, 0, v6, s0
	v_cmp_gt_i64_e64 s0, s[12:13], v[5:6]
	s_and_saveexec_b32 s2, s0
	s_cbranch_execz .LBB139_30
; %bb.29:
	v_add_co_u32 v5, s1, v0, v3
	v_add_co_ci_u32_e64 v6, null, v7, v4, s1
	global_load_dwordx4 v[22:25], v[5:6], off offset:256
	v_mul_f64 v[5:6], s[20:21], v[12:13]
	v_mul_f64 v[12:13], s[18:19], v[12:13]
	v_fma_f64 v[5:6], s[18:19], v[10:11], -v[5:6]
	v_fma_f64 v[12:13], s[20:21], v[10:11], v[12:13]
	s_waitcnt vmcnt(0)
	v_mul_f64 v[26:27], s[44:45], v[24:25]
	v_mul_f64 v[24:25], s[42:43], v[24:25]
	v_fma_f64 v[10:11], s[42:43], v[22:23], -v[26:27]
	v_fma_f64 v[22:23], s[44:45], v[22:23], v[24:25]
	v_add_f64 v[10:11], v[5:6], v[10:11]
	v_add_f64 v[12:13], v[12:13], v[22:23]
	v_add_co_u32 v5, s1, v8, v3
	v_add_co_ci_u32_e64 v6, null, v9, v4, s1
	global_store_dwordx4 v[5:6], v[10:13], off offset:256
.LBB139_30:
	s_or_b32 exec_lo, exec_lo, s2
	v_add_co_u32 v1, s1, v1, 16
	v_add_co_ci_u32_e64 v2, null, 0, v2, s1
	v_cmp_gt_i64_e64 s1, s[14:15], v[1:2]
	s_and_b32 exec_lo, exec_lo, s1
	s_cbranch_execz .LBB139_35
; %bb.31:
	s_lshl_b64 s[2:3], s[48:49], 8
	v_add_co_u32 v0, s1, v0, s2
	v_add_co_ci_u32_e64 v1, null, s3, v7, s1
	s_lshl_b64 s[2:3], s[6:7], 8
	v_add_co_u32 v2, s1, v8, s2
	v_add_co_ci_u32_e64 v7, null, s3, v9, s1
	v_add_co_u32 v5, s1, v0, v3
	v_add_co_ci_u32_e64 v6, null, v1, v4, s1
	;; [unrolled: 2-line block ×3, first 2 shown]
	s_and_saveexec_b32 s1, vcc_lo
	s_cbranch_execz .LBB139_33
; %bb.32:
	global_load_dwordx4 v[7:10], v[5:6], off
	v_mul_f64 v[2:3], s[20:21], v[20:21]
	v_mul_f64 v[11:12], s[18:19], v[20:21]
	v_fma_f64 v[2:3], s[18:19], v[18:19], -v[2:3]
	v_fma_f64 v[11:12], s[20:21], v[18:19], v[11:12]
	s_waitcnt vmcnt(0)
	v_mul_f64 v[20:21], s[44:45], v[9:10]
	v_mul_f64 v[9:10], s[42:43], v[9:10]
	v_fma_f64 v[18:19], s[42:43], v[7:8], -v[20:21]
	v_fma_f64 v[9:10], s[44:45], v[7:8], v[9:10]
	v_add_f64 v[7:8], v[2:3], v[18:19]
	v_add_f64 v[9:10], v[11:12], v[9:10]
	global_store_dwordx4 v[0:1], v[7:10], off
.LBB139_33:
	s_or_b32 exec_lo, exec_lo, s1
	s_and_b32 exec_lo, exec_lo, s0
	s_cbranch_execz .LBB139_35
; %bb.34:
	global_load_dwordx4 v[2:5], v[5:6], off offset:256
	v_mul_f64 v[6:7], s[20:21], v[16:17]
	v_mul_f64 v[8:9], s[18:19], v[16:17]
	v_fma_f64 v[6:7], s[18:19], v[14:15], -v[6:7]
	v_fma_f64 v[8:9], s[20:21], v[14:15], v[8:9]
	s_waitcnt vmcnt(0)
	v_mul_f64 v[10:11], s[44:45], v[4:5]
	v_mul_f64 v[4:5], s[42:43], v[4:5]
	v_fma_f64 v[10:11], s[42:43], v[2:3], -v[10:11]
	v_fma_f64 v[4:5], s[44:45], v[2:3], v[4:5]
	v_add_f64 v[2:3], v[6:7], v[10:11]
	v_add_f64 v[4:5], v[8:9], v[4:5]
	global_store_dwordx4 v[0:1], v[2:5], off offset:256
.LBB139_35:
	s_endpgm
	.section	.rodata,"a",@progbits
	.p2align	6, 0x0
	.amdhsa_kernel _ZN12_GLOBAL__N_135rocblas_gemm_batched_general_kernelI19rocblas_complex_numIdELi16ELi16ELi32ELi32ELi8ELi32ELi8ELi8ELi32ELc84ELc84EKS2_S3_S2_EEvlllT_PT11_llS6_llS4_PT12_llPT13_lli
		.amdhsa_group_segment_fixed_size 8192
		.amdhsa_private_segment_fixed_size 0
		.amdhsa_kernarg_size 156
		.amdhsa_user_sgpr_count 6
		.amdhsa_user_sgpr_private_segment_buffer 1
		.amdhsa_user_sgpr_dispatch_ptr 0
		.amdhsa_user_sgpr_queue_ptr 0
		.amdhsa_user_sgpr_kernarg_segment_ptr 1
		.amdhsa_user_sgpr_dispatch_id 0
		.amdhsa_user_sgpr_flat_scratch_init 0
		.amdhsa_user_sgpr_private_segment_size 0
		.amdhsa_wavefront_size32 1
		.amdhsa_uses_dynamic_stack 0
		.amdhsa_system_sgpr_private_segment_wavefront_offset 0
		.amdhsa_system_sgpr_workgroup_id_x 1
		.amdhsa_system_sgpr_workgroup_id_y 1
		.amdhsa_system_sgpr_workgroup_id_z 1
		.amdhsa_system_sgpr_workgroup_info 0
		.amdhsa_system_vgpr_workitem_id 1
		.amdhsa_next_free_vgpr 56
		.amdhsa_next_free_sgpr 52
		.amdhsa_reserve_vcc 1
		.amdhsa_reserve_flat_scratch 0
		.amdhsa_float_round_mode_32 0
		.amdhsa_float_round_mode_16_64 0
		.amdhsa_float_denorm_mode_32 3
		.amdhsa_float_denorm_mode_16_64 3
		.amdhsa_dx10_clamp 1
		.amdhsa_ieee_mode 1
		.amdhsa_fp16_overflow 0
		.amdhsa_workgroup_processor_mode 1
		.amdhsa_memory_ordered 1
		.amdhsa_forward_progress 1
		.amdhsa_shared_vgpr_count 0
		.amdhsa_exception_fp_ieee_invalid_op 0
		.amdhsa_exception_fp_denorm_src 0
		.amdhsa_exception_fp_ieee_div_zero 0
		.amdhsa_exception_fp_ieee_overflow 0
		.amdhsa_exception_fp_ieee_underflow 0
		.amdhsa_exception_fp_ieee_inexact 0
		.amdhsa_exception_int_div_zero 0
	.end_amdhsa_kernel
	.section	.text._ZN12_GLOBAL__N_135rocblas_gemm_batched_general_kernelI19rocblas_complex_numIdELi16ELi16ELi32ELi32ELi8ELi32ELi8ELi8ELi32ELc84ELc84EKS2_S3_S2_EEvlllT_PT11_llS6_llS4_PT12_llPT13_lli,"axG",@progbits,_ZN12_GLOBAL__N_135rocblas_gemm_batched_general_kernelI19rocblas_complex_numIdELi16ELi16ELi32ELi32ELi8ELi32ELi8ELi8ELi32ELc84ELc84EKS2_S3_S2_EEvlllT_PT11_llS6_llS4_PT12_llPT13_lli,comdat
.Lfunc_end139:
	.size	_ZN12_GLOBAL__N_135rocblas_gemm_batched_general_kernelI19rocblas_complex_numIdELi16ELi16ELi32ELi32ELi8ELi32ELi8ELi8ELi32ELc84ELc84EKS2_S3_S2_EEvlllT_PT11_llS6_llS4_PT12_llPT13_lli, .Lfunc_end139-_ZN12_GLOBAL__N_135rocblas_gemm_batched_general_kernelI19rocblas_complex_numIdELi16ELi16ELi32ELi32ELi8ELi32ELi8ELi8ELi32ELc84ELc84EKS2_S3_S2_EEvlllT_PT11_llS6_llS4_PT12_llPT13_lli
                                        ; -- End function
	.set _ZN12_GLOBAL__N_135rocblas_gemm_batched_general_kernelI19rocblas_complex_numIdELi16ELi16ELi32ELi32ELi8ELi32ELi8ELi8ELi32ELc84ELc84EKS2_S3_S2_EEvlllT_PT11_llS6_llS4_PT12_llPT13_lli.num_vgpr, 56
	.set _ZN12_GLOBAL__N_135rocblas_gemm_batched_general_kernelI19rocblas_complex_numIdELi16ELi16ELi32ELi32ELi8ELi32ELi8ELi8ELi32ELc84ELc84EKS2_S3_S2_EEvlllT_PT11_llS6_llS4_PT12_llPT13_lli.num_agpr, 0
	.set _ZN12_GLOBAL__N_135rocblas_gemm_batched_general_kernelI19rocblas_complex_numIdELi16ELi16ELi32ELi32ELi8ELi32ELi8ELi8ELi32ELc84ELc84EKS2_S3_S2_EEvlllT_PT11_llS6_llS4_PT12_llPT13_lli.numbered_sgpr, 52
	.set _ZN12_GLOBAL__N_135rocblas_gemm_batched_general_kernelI19rocblas_complex_numIdELi16ELi16ELi32ELi32ELi8ELi32ELi8ELi8ELi32ELc84ELc84EKS2_S3_S2_EEvlllT_PT11_llS6_llS4_PT12_llPT13_lli.num_named_barrier, 0
	.set _ZN12_GLOBAL__N_135rocblas_gemm_batched_general_kernelI19rocblas_complex_numIdELi16ELi16ELi32ELi32ELi8ELi32ELi8ELi8ELi32ELc84ELc84EKS2_S3_S2_EEvlllT_PT11_llS6_llS4_PT12_llPT13_lli.private_seg_size, 0
	.set _ZN12_GLOBAL__N_135rocblas_gemm_batched_general_kernelI19rocblas_complex_numIdELi16ELi16ELi32ELi32ELi8ELi32ELi8ELi8ELi32ELc84ELc84EKS2_S3_S2_EEvlllT_PT11_llS6_llS4_PT12_llPT13_lli.uses_vcc, 1
	.set _ZN12_GLOBAL__N_135rocblas_gemm_batched_general_kernelI19rocblas_complex_numIdELi16ELi16ELi32ELi32ELi8ELi32ELi8ELi8ELi32ELc84ELc84EKS2_S3_S2_EEvlllT_PT11_llS6_llS4_PT12_llPT13_lli.uses_flat_scratch, 0
	.set _ZN12_GLOBAL__N_135rocblas_gemm_batched_general_kernelI19rocblas_complex_numIdELi16ELi16ELi32ELi32ELi8ELi32ELi8ELi8ELi32ELc84ELc84EKS2_S3_S2_EEvlllT_PT11_llS6_llS4_PT12_llPT13_lli.has_dyn_sized_stack, 0
	.set _ZN12_GLOBAL__N_135rocblas_gemm_batched_general_kernelI19rocblas_complex_numIdELi16ELi16ELi32ELi32ELi8ELi32ELi8ELi8ELi32ELc84ELc84EKS2_S3_S2_EEvlllT_PT11_llS6_llS4_PT12_llPT13_lli.has_recursion, 0
	.set _ZN12_GLOBAL__N_135rocblas_gemm_batched_general_kernelI19rocblas_complex_numIdELi16ELi16ELi32ELi32ELi8ELi32ELi8ELi8ELi32ELc84ELc84EKS2_S3_S2_EEvlllT_PT11_llS6_llS4_PT12_llPT13_lli.has_indirect_call, 0
	.section	.AMDGPU.csdata,"",@progbits
; Kernel info:
; codeLenInByte = 4072
; TotalNumSgprs: 54
; NumVgprs: 56
; ScratchSize: 0
; MemoryBound: 0
; FloatMode: 240
; IeeeMode: 1
; LDSByteSize: 8192 bytes/workgroup (compile time only)
; SGPRBlocks: 0
; VGPRBlocks: 6
; NumSGPRsForWavesPerEU: 54
; NumVGPRsForWavesPerEU: 56
; Occupancy: 16
; WaveLimiterHint : 0
; COMPUTE_PGM_RSRC2:SCRATCH_EN: 0
; COMPUTE_PGM_RSRC2:USER_SGPR: 6
; COMPUTE_PGM_RSRC2:TRAP_HANDLER: 0
; COMPUTE_PGM_RSRC2:TGID_X_EN: 1
; COMPUTE_PGM_RSRC2:TGID_Y_EN: 1
; COMPUTE_PGM_RSRC2:TGID_Z_EN: 1
; COMPUTE_PGM_RSRC2:TIDIG_COMP_CNT: 1
	.section	.text._ZN12_GLOBAL__N_135rocblas_gemm_batched_general_kernelI19rocblas_complex_numIdELi16ELi16ELi32ELi32ELi8ELi32ELi8ELi8ELi32ELc67ELc67EKS2_S3_S2_EEvlllT_PT11_llS6_llS4_PT12_llPT13_lli,"axG",@progbits,_ZN12_GLOBAL__N_135rocblas_gemm_batched_general_kernelI19rocblas_complex_numIdELi16ELi16ELi32ELi32ELi8ELi32ELi8ELi8ELi32ELc67ELc67EKS2_S3_S2_EEvlllT_PT11_llS6_llS4_PT12_llPT13_lli,comdat
	.globl	_ZN12_GLOBAL__N_135rocblas_gemm_batched_general_kernelI19rocblas_complex_numIdELi16ELi16ELi32ELi32ELi8ELi32ELi8ELi8ELi32ELc67ELc67EKS2_S3_S2_EEvlllT_PT11_llS6_llS4_PT12_llPT13_lli ; -- Begin function _ZN12_GLOBAL__N_135rocblas_gemm_batched_general_kernelI19rocblas_complex_numIdELi16ELi16ELi32ELi32ELi8ELi32ELi8ELi8ELi32ELc67ELc67EKS2_S3_S2_EEvlllT_PT11_llS6_llS4_PT12_llPT13_lli
	.p2align	8
	.type	_ZN12_GLOBAL__N_135rocblas_gemm_batched_general_kernelI19rocblas_complex_numIdELi16ELi16ELi32ELi32ELi8ELi32ELi8ELi8ELi32ELc67ELc67EKS2_S3_S2_EEvlllT_PT11_llS6_llS4_PT12_llPT13_lli,@function
_ZN12_GLOBAL__N_135rocblas_gemm_batched_general_kernelI19rocblas_complex_numIdELi16ELi16ELi32ELi32ELi8ELi32ELi8ELi8ELi32ELc67ELc67EKS2_S3_S2_EEvlllT_PT11_llS6_llS4_PT12_llPT13_lli: ; @_ZN12_GLOBAL__N_135rocblas_gemm_batched_general_kernelI19rocblas_complex_numIdELi16ELi16ELi32ELi32ELi8ELi32ELi8ELi8ELi32ELc67ELc67EKS2_S3_S2_EEvlllT_PT11_llS6_llS4_PT12_llPT13_lli
; %bb.0:
	s_clause 0x1
	s_load_dwordx16 s[12:27], s[4:5], 0x0
	s_load_dwordx16 s[36:51], s[4:5], 0x40
	s_mov_b32 s28, s7
	s_ashr_i32 s7, s6, 31
	s_ashr_i32 s29, s28, 31
	s_lshl_b64 s[10:11], s[6:7], 5
	s_lshl_b64 s[2:3], s[28:29], 5
	s_waitcnt lgkmcnt(0)
	v_cmp_lt_i64_e64 s0, s[16:17], 1
	s_and_b32 vcc_lo, exec_lo, s0
	s_cbranch_vccnz .LBB140_7
; %bb.1:
	v_lshl_add_u32 v2, v1, 4, v0
	v_and_b32_e32 v30, 7, v0
	v_mov_b32_e32 v3, s11
	s_mul_i32 s6, s41, s8
	s_mul_hi_u32 s7, s40, s8
	v_and_b32_e32 v8, 31, v2
	v_mad_u64_u32 v[4:5], null, s38, v30, 0
	v_lshrrev_b32_e32 v9, 3, v2
	v_lshrrev_b32_e32 v31, 5, v2
	v_or_b32_e32 v2, s10, v8
	s_add_i32 s7, s7, s6
	s_mul_i32 s6, s40, s8
	v_add_co_u32 v6, s0, v9, s2
	v_add_co_ci_u32_e64 v7, null, 0, s3, s0
	v_cmp_gt_i64_e64 s0, s[12:13], v[2:3]
	v_mov_b32_e32 v2, v5
	s_lshl_b64 s[6:7], s[6:7], 4
	v_cmp_gt_i64_e64 s1, s[14:15], v[6:7]
	v_lshlrev_b32_e32 v10, 4, v30
	v_lshlrev_b32_e32 v11, 4, v8
	v_mad_u64_u32 v[2:3], null, s39, v30, v[2:3]
	v_add_co_u32 v3, s9, s10, v8
	v_add_co_ci_u32_e64 v6, null, s11, 0, s9
	v_lshl_or_b32 v10, v9, 7, v10
	v_mul_lo_u32 v7, s25, v3
	v_mov_b32_e32 v5, v2
	v_mul_lo_u32 v6, s24, v6
	v_mad_u64_u32 v[2:3], null, s24, v3, 0
	s_lshl_b64 s[24:25], s[28:29], 9
	v_lshlrev_b64 v[4:5], 4, v[4:5]
	s_add_u32 s6, s24, s6
	s_addc_u32 s7, s25, s7
	v_lshl_or_b32 v32, v31, 9, v11
	v_add_nc_u32_e32 v33, 0x1000, v10
	v_add3_u32 v3, v3, v6, v7
	v_add_co_u32 v4, vcc_lo, s6, v4
	v_lshlrev_b32_e32 v6, 4, v9
	v_add_co_ci_u32_e64 v5, null, s7, v5, vcc_lo
	s_mul_i32 s6, s27, s8
	s_mul_hi_u32 s7, s26, s8
	v_lshlrev_b64 v[2:3], 4, v[2:3]
	s_add_i32 s7, s7, s6
	s_mul_i32 s6, s26, s8
	v_add_co_u32 v4, vcc_lo, v4, v6
	s_lshl_b64 s[6:7], s[6:7], 4
	v_add_co_ci_u32_e64 v5, null, 0, v5, vcc_lo
	v_add_co_u32 v2, vcc_lo, v2, s6
	v_lshlrev_b32_e32 v6, 4, v31
	v_add_co_ci_u32_e64 v3, null, s7, v3, vcc_lo
	v_add_co_u32 v4, vcc_lo, s36, v4
	v_add_co_ci_u32_e64 v5, null, s37, v5, vcc_lo
	v_add_co_u32 v2, vcc_lo, v2, v6
	;; [unrolled: 2-line block ×4, first 2 shown]
	v_add_co_ci_u32_e64 v3, null, s23, v3, vcc_lo
	v_mov_b32_e32 v12, 0
	v_add_co_u32 v28, vcc_lo, v2, 8
	v_mov_b32_e32 v10, 0
	v_mov_b32_e32 v16, 0
	;; [unrolled: 1-line block ×7, first 2 shown]
	v_lshlrev_b32_e32 v34, 4, v0
	v_lshl_add_u32 v35, v1, 7, 0x1000
	v_mov_b32_e32 v13, 0
	v_mov_b32_e32 v11, 0
	;; [unrolled: 1-line block ×8, first 2 shown]
	v_add_co_ci_u32_e64 v29, null, 0, v3, vcc_lo
	s_lshl_b64 s[6:7], s[38:39], 7
	s_mov_b64 s[22:23], 0
	s_branch .LBB140_3
.LBB140_2:                              ;   in Loop: Header=BB140_3 Depth=1
	s_or_b32 exec_lo, exec_lo, s9
	ds_write_b128 v33, v[6:9]
	s_waitcnt lgkmcnt(0)
	s_barrier
	buffer_gl0_inv
	ds_read_b128 v[2:5], v35
	ds_read_b128 v[6:9], v34
	ds_read_b128 v[36:39], v34 offset:256
	ds_read_b128 v[40:43], v35 offset:2048
	;; [unrolled: 1-line block ×12, first 2 shown]
	s_add_u32 s22, s22, 8
	s_addc_u32 s23, s23, 0
	v_add_co_u32 v26, vcc_lo, v26, s6
	v_cmp_lt_i64_e64 s9, s[22:23], s[16:17]
	v_add_co_ci_u32_e64 v27, null, s7, v27, vcc_lo
	s_waitcnt lgkmcnt(12)
	v_mul_f64 v[84:85], v[4:5], v[8:9]
	v_mul_f64 v[86:87], v[2:3], v[8:9]
	s_waitcnt lgkmcnt(11)
	v_mul_f64 v[88:89], v[4:5], v[38:39]
	v_mul_f64 v[90:91], v[2:3], v[38:39]
	s_waitcnt lgkmcnt(10)
	v_mul_f64 v[92:93], v[42:43], v[8:9]
	v_mul_f64 v[8:9], v[40:41], v[8:9]
	v_mul_f64 v[94:95], v[42:43], v[38:39]
	v_mul_f64 v[38:39], v[40:41], v[38:39]
	s_waitcnt lgkmcnt(8)
	v_mul_f64 v[96:97], v[46:47], v[50:51]
	v_mul_f64 v[98:99], v[44:45], v[50:51]
	s_waitcnt lgkmcnt(7)
	;; [unrolled: 3-line block ×3, first 2 shown]
	v_mul_f64 v[104:105], v[58:59], v[50:51]
	v_mul_f64 v[50:51], v[56:57], v[50:51]
	;; [unrolled: 1-line block ×4, first 2 shown]
	s_waitcnt lgkmcnt(4)
	v_mul_f64 v[108:109], v[62:63], v[66:67]
	v_mul_f64 v[110:111], v[60:61], v[66:67]
	s_waitcnt lgkmcnt(3)
	v_mul_f64 v[112:113], v[62:63], v[70:71]
	v_mul_f64 v[114:115], v[60:61], v[70:71]
	;; [unrolled: 3-line block ×3, first 2 shown]
	v_fma_f64 v[84:85], v[2:3], v[6:7], -v[84:85]
	v_fma_f64 v[86:87], v[4:5], v[6:7], v[86:87]
	v_fma_f64 v[88:89], v[2:3], v[36:37], -v[88:89]
	v_fma_f64 v[90:91], v[4:5], v[36:37], v[90:91]
	;; [unrolled: 2-line block ×4, first 2 shown]
	v_mul_f64 v[122:123], v[74:75], v[70:71]
	v_mul_f64 v[70:71], v[72:73], v[70:71]
	ds_read_b128 v[2:5], v34 offset:1536
	ds_read_b128 v[6:9], v34 offset:1792
	v_fma_f64 v[96:97], v[44:45], v[48:49], -v[96:97]
	v_fma_f64 v[98:99], v[46:47], v[48:49], v[98:99]
	v_fma_f64 v[100:101], v[44:45], v[52:53], -v[100:101]
	v_fma_f64 v[102:103], v[46:47], v[52:53], v[102:103]
	;; [unrolled: 2-line block ×7, first 2 shown]
	v_add_f64 v[22:23], v[22:23], v[84:85]
	v_add_f64 v[24:25], v[86:87], v[24:25]
	;; [unrolled: 1-line block ×4, first 2 shown]
	s_waitcnt lgkmcnt(1)
	v_mul_f64 v[108:109], v[78:79], v[4:5]
	v_mul_f64 v[110:111], v[76:77], v[4:5]
	s_waitcnt lgkmcnt(0)
	v_mul_f64 v[66:67], v[78:79], v[8:9]
	v_mul_f64 v[112:113], v[76:77], v[8:9]
	v_fma_f64 v[72:73], v[72:73], v[68:69], -v[122:123]
	v_mul_f64 v[114:115], v[82:83], v[4:5]
	v_mul_f64 v[4:5], v[80:81], v[4:5]
	v_fma_f64 v[68:69], v[74:75], v[68:69], v[70:71]
	v_add_f64 v[70:71], v[14:15], v[92:93]
	v_add_f64 v[16:17], v[118:119], v[16:17]
	;; [unrolled: 1-line block ×4, first 2 shown]
	ds_read_b128 v[36:39], v35 offset:64
	ds_read_b128 v[40:43], v34 offset:2048
	;; [unrolled: 1-line block ×5, first 2 shown]
	v_mul_f64 v[86:87], v[82:83], v[8:9]
	v_mul_f64 v[92:93], v[80:81], v[8:9]
	v_add_f64 v[22:23], v[22:23], v[96:97]
	v_add_f64 v[24:25], v[98:99], v[24:25]
	;; [unrolled: 1-line block ×4, first 2 shown]
	v_fma_f64 v[88:89], v[76:77], v[2:3], -v[108:109]
	v_fma_f64 v[90:91], v[78:79], v[2:3], v[110:111]
	v_fma_f64 v[66:67], v[76:77], v[6:7], -v[66:67]
	v_fma_f64 v[78:79], v[78:79], v[6:7], v[112:113]
	ds_read_b128 v[8:11], v35 offset:80
	v_add_co_u32 v28, vcc_lo, 0x80, v28
	v_add_co_ci_u32_e64 v29, null, 0, v29, vcc_lo
	v_add_f64 v[70:71], v[70:71], v[104:105]
	s_waitcnt lgkmcnt(4)
	v_mul_f64 v[76:77], v[38:39], v[42:43]
	v_mul_f64 v[94:95], v[36:37], v[42:43]
	s_waitcnt lgkmcnt(2)
	v_mul_f64 v[112:113], v[50:51], v[42:43]
	v_mul_f64 v[42:43], v[48:49], v[42:43]
	v_add_f64 v[98:99], v[124:125], v[16:17]
	v_add_f64 v[56:57], v[74:75], v[56:57]
	;; [unrolled: 1-line block ×3, first 2 shown]
	v_fma_f64 v[74:75], v[80:81], v[2:3], -v[114:115]
	v_fma_f64 v[84:85], v[82:83], v[2:3], v[4:5]
	ds_read_b128 v[2:5], v34 offset:2560
	v_mul_f64 v[108:109], v[38:39], v[46:47]
	v_mul_f64 v[110:111], v[36:37], v[46:47]
	v_fma_f64 v[80:81], v[80:81], v[6:7], -v[86:87]
	v_fma_f64 v[82:83], v[82:83], v[6:7], v[92:93]
	ds_read_b128 v[16:19], v34 offset:2816
	s_and_b32 vcc_lo, exec_lo, s9
	v_fma_f64 v[76:77], v[36:37], v[40:41], -v[76:77]
	v_fma_f64 v[86:87], v[38:39], v[40:41], v[94:95]
	v_add_f64 v[64:65], v[64:65], v[98:99]
	v_add_f64 v[56:57], v[56:57], v[72:73]
	v_add_f64 v[52:53], v[68:69], v[52:53]
	s_waitcnt lgkmcnt(1)
	v_mul_f64 v[68:69], v[10:11], v[4:5]
	v_mul_f64 v[98:99], v[14:15], v[4:5]
	;; [unrolled: 1-line block ×3, first 2 shown]
	v_fma_f64 v[92:93], v[36:37], v[44:45], -v[108:109]
	v_fma_f64 v[94:95], v[38:39], v[44:45], v[110:111]
	v_mul_f64 v[36:37], v[50:51], v[46:47]
	v_mul_f64 v[38:39], v[48:49], v[46:47]
	v_fma_f64 v[46:47], v[48:49], v[40:41], -v[112:113]
	v_fma_f64 v[40:41], v[50:51], v[40:41], v[42:43]
	v_add_f64 v[42:43], v[22:23], v[54:55]
	v_add_f64 v[54:55], v[58:59], v[24:25]
	v_add_f64 v[58:59], v[96:97], v[60:61]
	v_add_f64 v[60:61], v[62:63], v[20:21]
	v_add_f64 v[62:63], v[70:71], v[106:107]
	v_mul_f64 v[70:71], v[8:9], v[4:5]
	s_waitcnt lgkmcnt(0)
	v_mul_f64 v[72:73], v[10:11], v[18:19]
	v_mul_f64 v[96:97], v[8:9], v[18:19]
	;; [unrolled: 1-line block ×4, first 2 shown]
	ds_read_b128 v[4:7], v35 offset:96
	ds_read_b128 v[18:21], v34 offset:3072
	v_add_f64 v[56:57], v[56:57], v[80:81]
	v_add_f64 v[52:53], v[82:83], v[52:53]
	v_fma_f64 v[48:49], v[48:49], v[44:45], -v[36:37]
	v_fma_f64 v[44:45], v[50:51], v[44:45], v[38:39]
	ds_read_b128 v[22:25], v34 offset:3328
	ds_read_b128 v[36:39], v35 offset:2144
	v_add_f64 v[42:43], v[42:43], v[88:89]
	v_add_f64 v[50:51], v[90:91], v[54:55]
	;; [unrolled: 1-line block ×6, first 2 shown]
	v_fma_f64 v[64:65], v[8:9], v[2:3], -v[68:69]
	v_fma_f64 v[66:67], v[10:11], v[2:3], v[70:71]
	v_fma_f64 v[68:69], v[8:9], v[16:17], -v[72:73]
	v_fma_f64 v[70:71], v[10:11], v[16:17], v[96:97]
	;; [unrolled: 2-line block ×3, first 2 shown]
	v_fma_f64 v[74:75], v[12:13], v[16:17], -v[102:103]
	s_waitcnt lgkmcnt(2)
	v_mul_f64 v[78:79], v[6:7], v[20:21]
	v_fma_f64 v[16:17], v[14:15], v[16:17], v[104:105]
	v_mul_f64 v[80:81], v[4:5], v[20:21]
	ds_read_b128 v[8:11], v35 offset:112
	ds_read_b128 v[12:15], v35 offset:2160
	s_waitcnt lgkmcnt(3)
	v_mul_f64 v[82:83], v[6:7], v[24:25]
	v_mul_f64 v[84:85], v[4:5], v[24:25]
	s_waitcnt lgkmcnt(2)
	v_mul_f64 v[88:89], v[38:39], v[20:21]
	v_mul_f64 v[20:21], v[36:37], v[20:21]
	v_add_f64 v[76:77], v[42:43], v[76:77]
	v_add_f64 v[50:51], v[86:87], v[50:51]
	;; [unrolled: 1-line block ×8, first 2 shown]
	v_mul_f64 v[56:57], v[38:39], v[24:25]
	v_mul_f64 v[24:25], v[36:37], v[24:25]
	ds_read_b128 v[40:43], v34 offset:3584
	ds_read_b128 v[44:47], v34 offset:3840
	s_waitcnt lgkmcnt(0)
	s_barrier
	v_fma_f64 v[78:79], v[4:5], v[18:19], -v[78:79]
	buffer_gl0_inv
	v_fma_f64 v[80:81], v[6:7], v[18:19], v[80:81]
	v_fma_f64 v[4:5], v[4:5], v[22:23], -v[82:83]
	v_fma_f64 v[6:7], v[6:7], v[22:23], v[84:85]
	v_fma_f64 v[82:83], v[36:37], v[18:19], -v[88:89]
	v_fma_f64 v[18:19], v[38:39], v[18:19], v[20:21]
	v_add_f64 v[20:21], v[76:77], v[64:65]
	v_add_f64 v[50:51], v[66:67], v[50:51]
	;; [unrolled: 1-line block ×8, first 2 shown]
	v_fma_f64 v[36:37], v[36:37], v[22:23], -v[56:57]
	v_fma_f64 v[22:23], v[38:39], v[22:23], v[24:25]
	v_mul_f64 v[24:25], v[10:11], v[42:43]
	v_mul_f64 v[38:39], v[8:9], v[42:43]
	;; [unrolled: 1-line block ×8, first 2 shown]
	v_add_f64 v[20:21], v[20:21], v[78:79]
	v_add_f64 v[50:51], v[80:81], v[50:51]
	;; [unrolled: 1-line block ×8, first 2 shown]
	v_fma_f64 v[16:17], v[8:9], v[40:41], -v[24:25]
	v_fma_f64 v[18:19], v[10:11], v[40:41], v[38:39]
	v_fma_f64 v[8:9], v[8:9], v[44:45], -v[52:53]
	v_fma_f64 v[10:11], v[10:11], v[44:45], v[56:57]
	;; [unrolled: 2-line block ×4, first 2 shown]
	v_add_f64 v[22:23], v[20:21], v[16:17]
	v_add_f64 v[24:25], v[18:19], v[50:51]
	;; [unrolled: 1-line block ×8, first 2 shown]
	s_cbranch_vccz .LBB140_8
.LBB140_3:                              ; =>This Inner Loop Header: Depth=1
	v_add_co_u32 v2, s9, v31, s22
	v_add_co_ci_u32_e64 v3, null, 0, s23, s9
	v_mov_b32_e32 v4, 0
	v_mov_b32_e32 v5, 0
	v_cmp_gt_i64_e32 vcc_lo, s[16:17], v[2:3]
	v_mov_b32_e32 v2, 0
	v_mov_b32_e32 v3, 0
	s_and_b32 s24, s0, vcc_lo
	s_and_saveexec_b32 s9, s24
	s_cbranch_execz .LBB140_5
; %bb.4:                                ;   in Loop: Header=BB140_3 Depth=1
	global_load_dwordx4 v[2:5], v[28:29], off offset:-8
	s_waitcnt vmcnt(0)
	v_xor_b32_e32 v5, 0x80000000, v5
.LBB140_5:                              ;   in Loop: Header=BB140_3 Depth=1
	s_or_b32 exec_lo, exec_lo, s9
	v_add_co_u32 v6, s9, v30, s22
	v_add_co_ci_u32_e64 v7, null, 0, s23, s9
	v_mov_b32_e32 v8, 0
	v_mov_b32_e32 v9, 0
	ds_write_b128 v32, v[2:5]
	v_cmp_gt_i64_e32 vcc_lo, s[16:17], v[6:7]
	v_mov_b32_e32 v6, 0
	v_mov_b32_e32 v7, 0
	s_and_b32 s24, vcc_lo, s1
	s_and_saveexec_b32 s9, s24
	s_cbranch_execz .LBB140_2
; %bb.6:                                ;   in Loop: Header=BB140_3 Depth=1
	global_load_dwordx4 v[6:9], v[26:27], off offset:-8
	s_waitcnt vmcnt(0)
	v_xor_b32_e32 v9, 0x80000000, v9
	s_branch .LBB140_2
.LBB140_7:
	v_mov_b32_e32 v22, 0
	v_mov_b32_e32 v24, 0
	;; [unrolled: 1-line block ×16, first 2 shown]
.LBB140_8:
	s_clause 0x1
	s_load_dwordx2 s[0:1], s[4:5], 0x90
	s_load_dwordx4 s[4:7], s[4:5], 0x80
	v_cmp_neq_f64_e64 s9, s[42:43], 0
	v_cmp_neq_f64_e64 s16, s[44:45], 0
	v_add_co_u32 v1, s2, s2, v1
	v_add_co_ci_u32_e64 v2, null, s3, 0, s2
	s_waitcnt lgkmcnt(0)
	s_mul_i32 s1, s1, s8
	s_mul_hi_u32 s17, s0, s8
	s_mul_i32 s0, s0, s8
	s_add_i32 s1, s17, s1
	s_lshl_b64 s[0:1], s[0:1], 4
	s_add_u32 s3, s4, s0
	v_cmp_gt_i64_e64 s0, s[14:15], v[1:2]
	s_addc_u32 s4, s5, s1
	s_or_b32 s1, s9, s16
	s_and_b32 vcc_lo, exec_lo, s1
	s_mov_b32 s1, -1
	s_cbranch_vccnz .LBB140_20
; %bb.9:
	s_and_saveexec_b32 s5, s0
	s_cbranch_execz .LBB140_19
; %bb.10:
	v_mul_lo_u32 v5, v2, s6
	v_mul_lo_u32 v6, v1, s7
	v_mad_u64_u32 v[3:4], null, v1, s6, 0
	v_add3_u32 v4, v4, v6, v5
	v_add_co_u32 v5, s1, s10, v0
	v_add_co_ci_u32_e64 v6, null, s11, 0, s1
	v_lshlrev_b64 v[7:8], 4, v[3:4]
	v_cmp_gt_i64_e32 vcc_lo, s[12:13], v[5:6]
	v_lshlrev_b64 v[3:4], 4, v[5:6]
	v_add_co_u32 v7, s1, s3, v7
	v_add_co_ci_u32_e64 v8, null, s4, v8, s1
	s_and_saveexec_b32 s2, vcc_lo
	s_cbranch_execz .LBB140_12
; %bb.11:
	v_mul_f64 v[26:27], s[20:21], v[24:25]
	v_mul_f64 v[28:29], s[18:19], v[24:25]
	v_add_co_u32 v30, s1, v7, v3
	v_add_co_ci_u32_e64 v31, null, v8, v4, s1
	v_fma_f64 v[26:27], s[18:19], v[22:23], -v[26:27]
	v_fma_f64 v[28:29], s[20:21], v[22:23], v[28:29]
	global_store_dwordx4 v[30:31], v[26:29], off
.LBB140_12:
	s_or_b32 exec_lo, exec_lo, s2
	v_add_co_u32 v5, s1, v5, 16
	v_add_co_ci_u32_e64 v6, null, 0, v6, s1
	v_cmp_gt_i64_e64 s1, s[12:13], v[5:6]
	s_and_saveexec_b32 s9, s1
	s_cbranch_execz .LBB140_14
; %bb.13:
	v_mul_f64 v[5:6], s[20:21], v[20:21]
	v_mul_f64 v[28:29], s[18:19], v[20:21]
	v_fma_f64 v[26:27], s[18:19], v[18:19], -v[5:6]
	v_fma_f64 v[28:29], s[20:21], v[18:19], v[28:29]
	v_add_co_u32 v5, s2, v7, v3
	v_add_co_ci_u32_e64 v6, null, v8, v4, s2
	global_store_dwordx4 v[5:6], v[26:29], off offset:256
.LBB140_14:
	s_or_b32 exec_lo, exec_lo, s9
	v_add_co_u32 v5, s2, v1, 16
	v_add_co_ci_u32_e64 v6, null, 0, v2, s2
	v_cmp_gt_i64_e64 s2, s[14:15], v[5:6]
	s_and_b32 exec_lo, exec_lo, s2
	s_cbranch_execz .LBB140_19
; %bb.15:
	s_lshl_b64 s[16:17], s[6:7], 8
	v_add_co_u32 v5, s2, v7, s16
	v_add_co_ci_u32_e64 v6, null, s17, v8, s2
	v_add_co_u32 v3, s2, v5, v3
	v_add_co_ci_u32_e64 v4, null, v6, v4, s2
	s_and_saveexec_b32 s2, vcc_lo
	s_cbranch_execz .LBB140_17
; %bb.16:
	v_mul_f64 v[5:6], s[20:21], v[16:17]
	v_mul_f64 v[7:8], s[18:19], v[16:17]
	v_fma_f64 v[5:6], s[18:19], v[14:15], -v[5:6]
	v_fma_f64 v[7:8], s[20:21], v[14:15], v[7:8]
	global_store_dwordx4 v[3:4], v[5:8], off
.LBB140_17:
	s_or_b32 exec_lo, exec_lo, s2
	s_and_b32 exec_lo, exec_lo, s1
	s_cbranch_execz .LBB140_19
; %bb.18:
	v_mul_f64 v[5:6], s[20:21], v[12:13]
	v_mul_f64 v[7:8], s[18:19], v[12:13]
	v_fma_f64 v[5:6], s[18:19], v[10:11], -v[5:6]
	v_fma_f64 v[7:8], s[20:21], v[10:11], v[7:8]
	global_store_dwordx4 v[3:4], v[5:8], off offset:256
.LBB140_19:
	s_or_b32 exec_lo, exec_lo, s5
	s_mov_b32 s1, 0
.LBB140_20:
	s_andn2_b32 vcc_lo, exec_lo, s1
	s_cbranch_vccnz .LBB140_31
; %bb.21:
	s_and_saveexec_b32 s1, s0
	s_cbranch_execz .LBB140_31
; %bb.22:
	v_mul_lo_u32 v5, v2, s48
	v_mul_lo_u32 v6, v1, s49
	v_mad_u64_u32 v[3:4], null, v1, s48, 0
	v_mul_lo_u32 v9, v2, s6
	v_mul_lo_u32 v26, v1, s7
	v_mad_u64_u32 v[7:8], null, v1, s6, 0
	s_mul_i32 s0, s51, s8
	s_mul_hi_u32 s1, s50, s8
	v_add3_u32 v4, v4, v6, v5
	s_add_i32 s1, s1, s0
	s_mul_i32 s0, s50, s8
	v_add_co_u32 v5, s2, s10, v0
	v_add3_u32 v8, v8, v26, v9
	v_lshlrev_b64 v[3:4], 4, v[3:4]
	s_lshl_b64 s[0:1], s[0:1], 4
	v_add_co_ci_u32_e64 v6, null, s11, 0, s2
	v_lshlrev_b64 v[8:9], 4, v[7:8]
	s_add_u32 s0, s46, s0
	s_addc_u32 s1, s47, s1
	v_add_co_u32 v0, s0, s0, v3
	v_add_co_ci_u32_e64 v7, null, s1, v4, s0
	v_add_co_u32 v8, s0, s3, v8
	v_cmp_gt_i64_e32 vcc_lo, s[12:13], v[5:6]
	v_lshlrev_b64 v[3:4], 4, v[5:6]
	v_add_co_ci_u32_e64 v9, null, s4, v9, s0
	s_and_saveexec_b32 s1, vcc_lo
	s_cbranch_execz .LBB140_24
; %bb.23:
	v_add_co_u32 v26, s0, v0, v3
	v_add_co_ci_u32_e64 v27, null, v7, v4, s0
	v_mul_f64 v[30:31], s[20:21], v[24:25]
	v_mul_f64 v[24:25], s[18:19], v[24:25]
	global_load_dwordx4 v[26:29], v[26:27], off
	v_fma_f64 v[30:31], s[18:19], v[22:23], -v[30:31]
	v_fma_f64 v[24:25], s[20:21], v[22:23], v[24:25]
	s_waitcnt vmcnt(0)
	v_mul_f64 v[32:33], s[44:45], v[28:29]
	v_mul_f64 v[28:29], s[42:43], v[28:29]
	v_fma_f64 v[22:23], s[42:43], v[26:27], -v[32:33]
	v_fma_f64 v[26:27], s[44:45], v[26:27], v[28:29]
	v_add_f64 v[22:23], v[30:31], v[22:23]
	v_add_f64 v[24:25], v[24:25], v[26:27]
	v_add_co_u32 v26, s0, v8, v3
	v_add_co_ci_u32_e64 v27, null, v9, v4, s0
	global_store_dwordx4 v[26:27], v[22:25], off
.LBB140_24:
	s_or_b32 exec_lo, exec_lo, s1
	v_add_co_u32 v5, s0, v5, 16
	v_add_co_ci_u32_e64 v6, null, 0, v6, s0
	v_cmp_gt_i64_e64 s0, s[12:13], v[5:6]
	s_and_saveexec_b32 s2, s0
	s_cbranch_execz .LBB140_26
; %bb.25:
	v_add_co_u32 v5, s1, v0, v3
	v_add_co_ci_u32_e64 v6, null, v7, v4, s1
	global_load_dwordx4 v[22:25], v[5:6], off offset:256
	v_mul_f64 v[5:6], s[20:21], v[20:21]
	v_mul_f64 v[20:21], s[18:19], v[20:21]
	v_fma_f64 v[5:6], s[18:19], v[18:19], -v[5:6]
	v_fma_f64 v[20:21], s[20:21], v[18:19], v[20:21]
	s_waitcnt vmcnt(0)
	v_mul_f64 v[26:27], s[44:45], v[24:25]
	v_mul_f64 v[24:25], s[42:43], v[24:25]
	v_fma_f64 v[18:19], s[42:43], v[22:23], -v[26:27]
	v_fma_f64 v[22:23], s[44:45], v[22:23], v[24:25]
	v_add_f64 v[18:19], v[5:6], v[18:19]
	v_add_f64 v[20:21], v[20:21], v[22:23]
	v_add_co_u32 v5, s1, v8, v3
	v_add_co_ci_u32_e64 v6, null, v9, v4, s1
	global_store_dwordx4 v[5:6], v[18:21], off offset:256
.LBB140_26:
	s_or_b32 exec_lo, exec_lo, s2
	v_add_co_u32 v1, s1, v1, 16
	v_add_co_ci_u32_e64 v2, null, 0, v2, s1
	v_cmp_gt_i64_e64 s1, s[14:15], v[1:2]
	s_and_b32 exec_lo, exec_lo, s1
	s_cbranch_execz .LBB140_31
; %bb.27:
	s_lshl_b64 s[2:3], s[48:49], 8
	v_add_co_u32 v0, s1, v0, s2
	v_add_co_ci_u32_e64 v1, null, s3, v7, s1
	s_lshl_b64 s[2:3], s[6:7], 8
	v_add_co_u32 v2, s1, v8, s2
	v_add_co_ci_u32_e64 v7, null, s3, v9, s1
	v_add_co_u32 v5, s1, v0, v3
	v_add_co_ci_u32_e64 v6, null, v1, v4, s1
	;; [unrolled: 2-line block ×3, first 2 shown]
	s_and_saveexec_b32 s1, vcc_lo
	s_cbranch_execz .LBB140_29
; %bb.28:
	global_load_dwordx4 v[18:21], v[5:6], off
	v_mul_f64 v[2:3], s[20:21], v[16:17]
	v_mul_f64 v[7:8], s[18:19], v[16:17]
	v_fma_f64 v[2:3], s[18:19], v[14:15], -v[2:3]
	v_fma_f64 v[7:8], s[20:21], v[14:15], v[7:8]
	s_waitcnt vmcnt(0)
	v_mul_f64 v[16:17], s[44:45], v[20:21]
	v_mul_f64 v[20:21], s[42:43], v[20:21]
	v_fma_f64 v[14:15], s[42:43], v[18:19], -v[16:17]
	v_fma_f64 v[16:17], s[44:45], v[18:19], v[20:21]
	v_add_f64 v[14:15], v[2:3], v[14:15]
	v_add_f64 v[16:17], v[7:8], v[16:17]
	global_store_dwordx4 v[0:1], v[14:17], off
.LBB140_29:
	s_or_b32 exec_lo, exec_lo, s1
	s_and_b32 exec_lo, exec_lo, s0
	s_cbranch_execz .LBB140_31
; %bb.30:
	global_load_dwordx4 v[2:5], v[5:6], off offset:256
	v_mul_f64 v[6:7], s[20:21], v[12:13]
	v_mul_f64 v[8:9], s[18:19], v[12:13]
	v_fma_f64 v[6:7], s[18:19], v[10:11], -v[6:7]
	v_fma_f64 v[8:9], s[20:21], v[10:11], v[8:9]
	s_waitcnt vmcnt(0)
	v_mul_f64 v[12:13], s[44:45], v[4:5]
	v_mul_f64 v[4:5], s[42:43], v[4:5]
	v_fma_f64 v[10:11], s[42:43], v[2:3], -v[12:13]
	v_fma_f64 v[4:5], s[44:45], v[2:3], v[4:5]
	v_add_f64 v[2:3], v[6:7], v[10:11]
	v_add_f64 v[4:5], v[8:9], v[4:5]
	global_store_dwordx4 v[0:1], v[2:5], off offset:256
.LBB140_31:
	s_endpgm
	.section	.rodata,"a",@progbits
	.p2align	6, 0x0
	.amdhsa_kernel _ZN12_GLOBAL__N_135rocblas_gemm_batched_general_kernelI19rocblas_complex_numIdELi16ELi16ELi32ELi32ELi8ELi32ELi8ELi8ELi32ELc67ELc67EKS2_S3_S2_EEvlllT_PT11_llS6_llS4_PT12_llPT13_lli
		.amdhsa_group_segment_fixed_size 8192
		.amdhsa_private_segment_fixed_size 0
		.amdhsa_kernarg_size 156
		.amdhsa_user_sgpr_count 6
		.amdhsa_user_sgpr_private_segment_buffer 1
		.amdhsa_user_sgpr_dispatch_ptr 0
		.amdhsa_user_sgpr_queue_ptr 0
		.amdhsa_user_sgpr_kernarg_segment_ptr 1
		.amdhsa_user_sgpr_dispatch_id 0
		.amdhsa_user_sgpr_flat_scratch_init 0
		.amdhsa_user_sgpr_private_segment_size 0
		.amdhsa_wavefront_size32 1
		.amdhsa_uses_dynamic_stack 0
		.amdhsa_system_sgpr_private_segment_wavefront_offset 0
		.amdhsa_system_sgpr_workgroup_id_x 1
		.amdhsa_system_sgpr_workgroup_id_y 1
		.amdhsa_system_sgpr_workgroup_id_z 1
		.amdhsa_system_sgpr_workgroup_info 0
		.amdhsa_system_vgpr_workitem_id 1
		.amdhsa_next_free_vgpr 126
		.amdhsa_next_free_sgpr 52
		.amdhsa_reserve_vcc 1
		.amdhsa_reserve_flat_scratch 0
		.amdhsa_float_round_mode_32 0
		.amdhsa_float_round_mode_16_64 0
		.amdhsa_float_denorm_mode_32 3
		.amdhsa_float_denorm_mode_16_64 3
		.amdhsa_dx10_clamp 1
		.amdhsa_ieee_mode 1
		.amdhsa_fp16_overflow 0
		.amdhsa_workgroup_processor_mode 1
		.amdhsa_memory_ordered 1
		.amdhsa_forward_progress 1
		.amdhsa_shared_vgpr_count 0
		.amdhsa_exception_fp_ieee_invalid_op 0
		.amdhsa_exception_fp_denorm_src 0
		.amdhsa_exception_fp_ieee_div_zero 0
		.amdhsa_exception_fp_ieee_overflow 0
		.amdhsa_exception_fp_ieee_underflow 0
		.amdhsa_exception_fp_ieee_inexact 0
		.amdhsa_exception_int_div_zero 0
	.end_amdhsa_kernel
	.section	.text._ZN12_GLOBAL__N_135rocblas_gemm_batched_general_kernelI19rocblas_complex_numIdELi16ELi16ELi32ELi32ELi8ELi32ELi8ELi8ELi32ELc67ELc67EKS2_S3_S2_EEvlllT_PT11_llS6_llS4_PT12_llPT13_lli,"axG",@progbits,_ZN12_GLOBAL__N_135rocblas_gemm_batched_general_kernelI19rocblas_complex_numIdELi16ELi16ELi32ELi32ELi8ELi32ELi8ELi8ELi32ELc67ELc67EKS2_S3_S2_EEvlllT_PT11_llS6_llS4_PT12_llPT13_lli,comdat
.Lfunc_end140:
	.size	_ZN12_GLOBAL__N_135rocblas_gemm_batched_general_kernelI19rocblas_complex_numIdELi16ELi16ELi32ELi32ELi8ELi32ELi8ELi8ELi32ELc67ELc67EKS2_S3_S2_EEvlllT_PT11_llS6_llS4_PT12_llPT13_lli, .Lfunc_end140-_ZN12_GLOBAL__N_135rocblas_gemm_batched_general_kernelI19rocblas_complex_numIdELi16ELi16ELi32ELi32ELi8ELi32ELi8ELi8ELi32ELc67ELc67EKS2_S3_S2_EEvlllT_PT11_llS6_llS4_PT12_llPT13_lli
                                        ; -- End function
	.set _ZN12_GLOBAL__N_135rocblas_gemm_batched_general_kernelI19rocblas_complex_numIdELi16ELi16ELi32ELi32ELi8ELi32ELi8ELi8ELi32ELc67ELc67EKS2_S3_S2_EEvlllT_PT11_llS6_llS4_PT12_llPT13_lli.num_vgpr, 126
	.set _ZN12_GLOBAL__N_135rocblas_gemm_batched_general_kernelI19rocblas_complex_numIdELi16ELi16ELi32ELi32ELi8ELi32ELi8ELi8ELi32ELc67ELc67EKS2_S3_S2_EEvlllT_PT11_llS6_llS4_PT12_llPT13_lli.num_agpr, 0
	.set _ZN12_GLOBAL__N_135rocblas_gemm_batched_general_kernelI19rocblas_complex_numIdELi16ELi16ELi32ELi32ELi8ELi32ELi8ELi8ELi32ELc67ELc67EKS2_S3_S2_EEvlllT_PT11_llS6_llS4_PT12_llPT13_lli.numbered_sgpr, 52
	.set _ZN12_GLOBAL__N_135rocblas_gemm_batched_general_kernelI19rocblas_complex_numIdELi16ELi16ELi32ELi32ELi8ELi32ELi8ELi8ELi32ELc67ELc67EKS2_S3_S2_EEvlllT_PT11_llS6_llS4_PT12_llPT13_lli.num_named_barrier, 0
	.set _ZN12_GLOBAL__N_135rocblas_gemm_batched_general_kernelI19rocblas_complex_numIdELi16ELi16ELi32ELi32ELi8ELi32ELi8ELi8ELi32ELc67ELc67EKS2_S3_S2_EEvlllT_PT11_llS6_llS4_PT12_llPT13_lli.private_seg_size, 0
	.set _ZN12_GLOBAL__N_135rocblas_gemm_batched_general_kernelI19rocblas_complex_numIdELi16ELi16ELi32ELi32ELi8ELi32ELi8ELi8ELi32ELc67ELc67EKS2_S3_S2_EEvlllT_PT11_llS6_llS4_PT12_llPT13_lli.uses_vcc, 1
	.set _ZN12_GLOBAL__N_135rocblas_gemm_batched_general_kernelI19rocblas_complex_numIdELi16ELi16ELi32ELi32ELi8ELi32ELi8ELi8ELi32ELc67ELc67EKS2_S3_S2_EEvlllT_PT11_llS6_llS4_PT12_llPT13_lli.uses_flat_scratch, 0
	.set _ZN12_GLOBAL__N_135rocblas_gemm_batched_general_kernelI19rocblas_complex_numIdELi16ELi16ELi32ELi32ELi8ELi32ELi8ELi8ELi32ELc67ELc67EKS2_S3_S2_EEvlllT_PT11_llS6_llS4_PT12_llPT13_lli.has_dyn_sized_stack, 0
	.set _ZN12_GLOBAL__N_135rocblas_gemm_batched_general_kernelI19rocblas_complex_numIdELi16ELi16ELi32ELi32ELi8ELi32ELi8ELi8ELi32ELc67ELc67EKS2_S3_S2_EEvlllT_PT11_llS6_llS4_PT12_llPT13_lli.has_recursion, 0
	.set _ZN12_GLOBAL__N_135rocblas_gemm_batched_general_kernelI19rocblas_complex_numIdELi16ELi16ELi32ELi32ELi8ELi32ELi8ELi8ELi32ELc67ELc67EKS2_S3_S2_EEvlllT_PT11_llS6_llS4_PT12_llPT13_lli.has_indirect_call, 0
	.section	.AMDGPU.csdata,"",@progbits
; Kernel info:
; codeLenInByte = 4068
; TotalNumSgprs: 54
; NumVgprs: 126
; ScratchSize: 0
; MemoryBound: 1
; FloatMode: 240
; IeeeMode: 1
; LDSByteSize: 8192 bytes/workgroup (compile time only)
; SGPRBlocks: 0
; VGPRBlocks: 15
; NumSGPRsForWavesPerEU: 54
; NumVGPRsForWavesPerEU: 126
; Occupancy: 8
; WaveLimiterHint : 0
; COMPUTE_PGM_RSRC2:SCRATCH_EN: 0
; COMPUTE_PGM_RSRC2:USER_SGPR: 6
; COMPUTE_PGM_RSRC2:TRAP_HANDLER: 0
; COMPUTE_PGM_RSRC2:TGID_X_EN: 1
; COMPUTE_PGM_RSRC2:TGID_Y_EN: 1
; COMPUTE_PGM_RSRC2:TGID_Z_EN: 1
; COMPUTE_PGM_RSRC2:TIDIG_COMP_CNT: 1
	.section	.text._ZN12_GLOBAL__N_135rocblas_gemm_batched_general_kernelI19rocblas_complex_numIdELi16ELi16ELi32ELi32ELi8ELi32ELi8ELi8ELi32ELc67ELc78EKS2_S3_S2_EEvlllT_PT11_llS6_llS4_PT12_llPT13_lli,"axG",@progbits,_ZN12_GLOBAL__N_135rocblas_gemm_batched_general_kernelI19rocblas_complex_numIdELi16ELi16ELi32ELi32ELi8ELi32ELi8ELi8ELi32ELc67ELc78EKS2_S3_S2_EEvlllT_PT11_llS6_llS4_PT12_llPT13_lli,comdat
	.globl	_ZN12_GLOBAL__N_135rocblas_gemm_batched_general_kernelI19rocblas_complex_numIdELi16ELi16ELi32ELi32ELi8ELi32ELi8ELi8ELi32ELc67ELc78EKS2_S3_S2_EEvlllT_PT11_llS6_llS4_PT12_llPT13_lli ; -- Begin function _ZN12_GLOBAL__N_135rocblas_gemm_batched_general_kernelI19rocblas_complex_numIdELi16ELi16ELi32ELi32ELi8ELi32ELi8ELi8ELi32ELc67ELc78EKS2_S3_S2_EEvlllT_PT11_llS6_llS4_PT12_llPT13_lli
	.p2align	8
	.type	_ZN12_GLOBAL__N_135rocblas_gemm_batched_general_kernelI19rocblas_complex_numIdELi16ELi16ELi32ELi32ELi8ELi32ELi8ELi8ELi32ELc67ELc78EKS2_S3_S2_EEvlllT_PT11_llS6_llS4_PT12_llPT13_lli,@function
_ZN12_GLOBAL__N_135rocblas_gemm_batched_general_kernelI19rocblas_complex_numIdELi16ELi16ELi32ELi32ELi8ELi32ELi8ELi8ELi32ELc67ELc78EKS2_S3_S2_EEvlllT_PT11_llS6_llS4_PT12_llPT13_lli: ; @_ZN12_GLOBAL__N_135rocblas_gemm_batched_general_kernelI19rocblas_complex_numIdELi16ELi16ELi32ELi32ELi8ELi32ELi8ELi8ELi32ELc67ELc78EKS2_S3_S2_EEvlllT_PT11_llS6_llS4_PT12_llPT13_lli
; %bb.0:
	s_clause 0x1
	s_load_dwordx16 s[12:27], s[4:5], 0x0
	s_load_dwordx16 s[36:51], s[4:5], 0x40
	s_mov_b32 s0, s7
	v_mov_b32_e32 v2, 0
	s_ashr_i32 s7, s6, 31
	s_ashr_i32 s1, s0, 31
	s_lshl_b64 s[10:11], s[6:7], 5
	s_waitcnt lgkmcnt(0)
	v_cmp_lt_i64_e64 s2, s[16:17], 1
	s_and_b32 vcc_lo, exec_lo, s2
	s_lshl_b64 s[2:3], s[0:1], 5
	s_cbranch_vccnz .LBB141_9
; %bb.1:
	v_lshl_add_u32 v3, v1, 4, v0
	v_and_b32_e32 v27, 7, v0
	v_mov_b32_e32 v4, s11
	s_mul_hi_u32 s6, s40, s8
	s_mul_hi_u32 s9, s26, s8
	v_lshrrev_b32_e32 v8, 3, v3
	v_and_b32_e32 v7, 31, v3
	v_lshlrev_b32_e32 v9, 4, v27
	v_lshrrev_b32_e32 v28, 5, v3
	v_mov_b32_e32 v13, 0
	v_add_co_u32 v5, s0, v8, s2
	v_or_b32_e32 v3, s10, v7
	v_lshlrev_b32_e32 v10, 4, v7
	v_add_co_ci_u32_e64 v6, null, 0, s3, s0
	v_add_co_u32 v7, s1, s10, v7
	v_lshl_or_b32 v8, v8, 7, v9
	v_add_co_ci_u32_e64 v12, null, s11, 0, s1
	v_cmp_gt_i64_e64 s0, s[12:13], v[3:4]
	v_lshl_or_b32 v29, v28, 9, v10
	v_mul_lo_u32 v10, s39, v5
	v_mul_lo_u32 v11, s38, v6
	v_mad_u64_u32 v[3:4], null, s38, v5, 0
	v_cmp_gt_i64_e32 vcc_lo, s[14:15], v[5:6]
	v_add_nc_u32_e32 v30, 0x1000, v8
	v_mul_lo_u32 v8, s25, v7
	v_mul_lo_u32 v12, s24, v12
	v_mad_u64_u32 v[5:6], null, s24, v7, 0
	v_add3_u32 v4, v4, v11, v10
	s_mul_i32 s1, s41, s8
	s_mul_i32 s24, s26, s8
	s_add_i32 s7, s6, s1
	s_mul_i32 s6, s40, s8
	v_lshlrev_b64 v[3:4], 4, v[3:4]
	v_add3_u32 v6, v6, v12, v8
	s_lshl_b64 s[6:7], s[6:7], 4
	s_mul_i32 s1, s27, s8
	v_lshlrev_b32_e32 v7, 4, v28
	s_add_i32 s25, s9, s1
	v_lshlrev_b64 v[5:6], 4, v[5:6]
	v_add_co_u32 v3, s1, v3, s6
	v_add_co_ci_u32_e64 v4, null, s7, v4, s1
	s_lshl_b64 s[6:7], s[24:25], 4
	v_mov_b32_e32 v11, 0
	v_add_co_u32 v5, s1, v5, s6
	v_add_co_ci_u32_e64 v6, null, s7, v6, s1
	v_add_co_u32 v3, s1, v3, v9
	v_add_co_ci_u32_e64 v4, null, 0, v4, s1
	;; [unrolled: 2-line block ×5, first 2 shown]
	v_mov_b32_e32 v9, 0
	v_add_co_u32 v25, s1, v3, 8
	v_mov_b32_e32 v7, 0
	v_mov_b32_e32 v17, 0
	;; [unrolled: 1-line block ×5, first 2 shown]
	v_lshlrev_b32_e32 v31, 4, v0
	v_lshl_add_u32 v32, v1, 7, 0x1000
	v_mov_b32_e32 v10, 0
	v_mov_b32_e32 v8, 0
	;; [unrolled: 1-line block ×8, first 2 shown]
	v_add_co_ci_u32_e64 v26, null, 0, v4, s1
	s_mov_b64 s[6:7], 0
	s_xor_b32 s1, vcc_lo, -1
	s_branch .LBB141_3
.LBB141_2:                              ;   in Loop: Header=BB141_3 Depth=1
	s_or_b32 exec_lo, exec_lo, s9
	s_waitcnt lgkmcnt(0)
	s_barrier
	buffer_gl0_inv
	ds_read_b128 v[3:6], v32
	ds_read_b128 v[33:36], v31
	ds_read_b128 v[37:40], v31 offset:256
	ds_read_b128 v[41:44], v32 offset:2048
	;; [unrolled: 1-line block ×12, first 2 shown]
	s_add_u32 s6, s6, 8
	s_addc_u32 s7, s7, 0
	v_add_co_u32 v23, vcc_lo, 0x80, v23
	v_cmp_lt_i64_e64 s9, s[6:7], s[16:17]
	v_add_co_ci_u32_e64 v24, null, 0, v24, vcc_lo
	s_waitcnt lgkmcnt(12)
	v_mul_f64 v[85:86], v[5:6], v[35:36]
	v_mul_f64 v[87:88], v[3:4], v[35:36]
	s_waitcnt lgkmcnt(11)
	v_mul_f64 v[89:90], v[5:6], v[39:40]
	v_mul_f64 v[91:92], v[3:4], v[39:40]
	;; [unrolled: 3-line block ×3, first 2 shown]
	v_mul_f64 v[95:96], v[43:44], v[39:40]
	v_mul_f64 v[39:40], v[41:42], v[39:40]
	s_waitcnt lgkmcnt(8)
	v_mul_f64 v[97:98], v[47:48], v[51:52]
	v_mul_f64 v[99:100], v[45:46], v[51:52]
	s_waitcnt lgkmcnt(7)
	;; [unrolled: 3-line block ×3, first 2 shown]
	v_mul_f64 v[105:106], v[59:60], v[51:52]
	v_mul_f64 v[51:52], v[57:58], v[51:52]
	;; [unrolled: 1-line block ×4, first 2 shown]
	s_waitcnt lgkmcnt(4)
	v_mul_f64 v[109:110], v[63:64], v[67:68]
	v_mul_f64 v[111:112], v[61:62], v[67:68]
	s_waitcnt lgkmcnt(3)
	v_mul_f64 v[113:114], v[63:64], v[71:72]
	v_mul_f64 v[115:116], v[61:62], v[71:72]
	;; [unrolled: 3-line block ×3, first 2 shown]
	v_fma_f64 v[85:86], v[3:4], v[33:34], -v[85:86]
	v_fma_f64 v[87:88], v[5:6], v[33:34], v[87:88]
	v_fma_f64 v[89:90], v[3:4], v[37:38], -v[89:90]
	v_fma_f64 v[91:92], v[5:6], v[37:38], v[91:92]
	;; [unrolled: 2-line block ×4, first 2 shown]
	v_mul_f64 v[123:124], v[75:76], v[71:72]
	v_mul_f64 v[71:72], v[73:74], v[71:72]
	ds_read_b128 v[3:6], v31 offset:1536
	ds_read_b128 v[33:36], v31 offset:1792
	v_fma_f64 v[97:98], v[45:46], v[49:50], -v[97:98]
	v_fma_f64 v[99:100], v[47:48], v[49:50], v[99:100]
	v_fma_f64 v[101:102], v[45:46], v[53:54], -v[101:102]
	v_fma_f64 v[103:104], v[47:48], v[53:54], v[103:104]
	;; [unrolled: 2-line block ×7, first 2 shown]
	v_add_f64 v[19:20], v[19:20], v[85:86]
	v_add_f64 v[21:22], v[87:88], v[21:22]
	;; [unrolled: 1-line block ×4, first 2 shown]
	s_waitcnt lgkmcnt(1)
	v_mul_f64 v[109:110], v[79:80], v[5:6]
	s_waitcnt lgkmcnt(0)
	v_mul_f64 v[67:68], v[79:80], v[35:36]
	v_fma_f64 v[73:74], v[73:74], v[69:70], -v[123:124]
	v_fma_f64 v[69:70], v[75:76], v[69:70], v[71:72]
	v_add_f64 v[71:72], v[11:12], v[93:94]
	v_add_f64 v[13:14], v[119:120], v[13:14]
	;; [unrolled: 1-line block ×4, first 2 shown]
	ds_read_b128 v[37:40], v32 offset:64
	ds_read_b128 v[41:44], v31 offset:2048
	;; [unrolled: 1-line block ×3, first 2 shown]
	v_mul_f64 v[111:112], v[77:78], v[5:6]
	v_mul_f64 v[113:114], v[77:78], v[35:36]
	;; [unrolled: 1-line block ×6, first 2 shown]
	ds_read_b128 v[49:52], v32 offset:2112
	ds_read_b128 v[9:12], v32 offset:2128
	v_add_f64 v[97:98], v[19:20], v[97:98]
	v_add_f64 v[21:22], v[99:100], v[21:22]
	;; [unrolled: 1-line block ×4, first 2 shown]
	v_fma_f64 v[89:90], v[77:78], v[3:4], -v[109:110]
	v_fma_f64 v[67:68], v[77:78], v[33:34], -v[67:68]
	ds_read_b128 v[5:8], v32 offset:80
	ds_read_b128 v[17:20], v31 offset:2816
	v_add_f64 v[71:72], v[71:72], v[105:106]
	v_add_f64 v[103:104], v[125:126], v[13:14]
	s_waitcnt lgkmcnt(5)
	v_mul_f64 v[77:78], v[39:40], v[43:44]
	v_mul_f64 v[93:94], v[37:38], v[43:44]
	v_add_f64 v[57:58], v[75:76], v[57:58]
	v_add_f64 v[53:54], v[53:54], v[85:86]
	ds_read_b128 v[13:16], v31 offset:2560
	s_waitcnt lgkmcnt(5)
	v_mul_f64 v[95:96], v[39:40], v[47:48]
	v_mul_f64 v[109:110], v[37:38], v[47:48]
	v_fma_f64 v[91:92], v[79:80], v[3:4], v[111:112]
	v_fma_f64 v[79:80], v[79:80], v[33:34], v[113:114]
	s_waitcnt lgkmcnt(4)
	v_mul_f64 v[111:112], v[51:52], v[43:44]
	v_mul_f64 v[43:44], v[49:50], v[43:44]
	v_fma_f64 v[75:76], v[81:82], v[3:4], -v[115:116]
	v_fma_f64 v[3:4], v[83:84], v[3:4], v[117:118]
	v_fma_f64 v[81:82], v[81:82], v[33:34], -v[87:88]
	v_fma_f64 v[83:84], v[83:84], v[33:34], v[35:36]
	v_add_f64 v[55:56], v[97:98], v[55:56]
	v_add_f64 v[59:60], v[59:60], v[21:22]
	;; [unrolled: 1-line block ×4, first 2 shown]
	s_waitcnt lgkmcnt(1)
	v_mul_f64 v[97:98], v[7:8], v[19:20]
	v_add_f64 v[71:72], v[71:72], v[107:108]
	v_add_f64 v[65:66], v[65:66], v[103:104]
	v_fma_f64 v[77:78], v[37:38], v[41:42], -v[77:78]
	v_fma_f64 v[85:86], v[39:40], v[41:42], v[93:94]
	v_add_f64 v[57:58], v[57:58], v[73:74]
	v_add_f64 v[53:54], v[69:70], v[53:54]
	s_waitcnt lgkmcnt(0)
	v_mul_f64 v[69:70], v[7:8], v[15:16]
	v_fma_f64 v[87:88], v[37:38], v[45:46], -v[95:96]
	v_fma_f64 v[93:94], v[39:40], v[45:46], v[109:110]
	v_mul_f64 v[37:38], v[51:52], v[47:48]
	v_mul_f64 v[39:40], v[49:50], v[47:48]
	v_fma_f64 v[47:48], v[49:50], v[41:42], -v[111:112]
	v_fma_f64 v[95:96], v[51:52], v[41:42], v[43:44]
	v_mul_f64 v[73:74], v[5:6], v[15:16]
	v_mul_f64 v[99:100], v[5:6], v[19:20]
	;; [unrolled: 1-line block ×6, first 2 shown]
	ds_read_b128 v[19:22], v32 offset:96
	ds_read_b128 v[33:36], v31 offset:3072
	v_add_co_u32 v25, vcc_lo, 0x80, v25
	v_add_co_ci_u32_e64 v26, null, 0, v26, vcc_lo
	v_add_f64 v[65:66], v[3:4], v[65:66]
	s_and_b32 vcc_lo, exec_lo, s9
	v_add_f64 v[57:58], v[57:58], v[81:82]
	v_add_f64 v[53:54], v[83:84], v[53:54]
	v_fma_f64 v[49:50], v[49:50], v[45:46], -v[37:38]
	v_fma_f64 v[45:46], v[51:52], v[45:46], v[39:40]
	v_add_f64 v[51:52], v[55:56], v[89:90]
	v_add_f64 v[55:56], v[91:92], v[59:60]
	;; [unrolled: 1-line block ×5, first 2 shown]
	ds_read_b128 v[37:40], v31 offset:3328
	ds_read_b128 v[41:44], v32 offset:2144
	v_fma_f64 v[67:68], v[5:6], v[13:14], -v[69:70]
	v_fma_f64 v[69:70], v[7:8], v[13:14], v[73:74]
	v_fma_f64 v[71:72], v[5:6], v[17:18], -v[97:98]
	v_fma_f64 v[73:74], v[7:8], v[17:18], v[99:100]
	;; [unrolled: 2-line block ×3, first 2 shown]
	v_fma_f64 v[81:82], v[9:10], v[17:18], -v[103:104]
	s_waitcnt lgkmcnt(2)
	v_mul_f64 v[83:84], v[21:22], v[35:36]
	v_fma_f64 v[89:90], v[11:12], v[17:18], v[105:106]
	v_mul_f64 v[91:92], v[19:20], v[35:36]
	ds_read_b128 v[3:6], v32 offset:112
	ds_read_b128 v[7:10], v32 offset:2160
	;; [unrolled: 1-line block ×4, first 2 shown]
	s_waitcnt lgkmcnt(0)
	v_add_f64 v[49:50], v[57:58], v[49:50]
	v_add_f64 v[45:46], v[45:46], v[53:54]
	;; [unrolled: 1-line block ×4, first 2 shown]
	v_mul_f64 v[97:98], v[21:22], v[39:40]
	v_mul_f64 v[99:100], v[19:20], v[39:40]
	;; [unrolled: 1-line block ×4, first 2 shown]
	v_add_f64 v[59:60], v[59:60], v[87:88]
	v_add_f64 v[61:62], v[93:94], v[61:62]
	;; [unrolled: 1-line block ×4, first 2 shown]
	v_mul_f64 v[53:54], v[43:44], v[39:40]
	v_mul_f64 v[39:40], v[41:42], v[39:40]
	s_barrier
	v_fma_f64 v[57:58], v[19:20], v[33:34], -v[83:84]
	buffer_gl0_inv
	v_fma_f64 v[65:66], v[21:22], v[33:34], v[91:92]
	v_add_f64 v[49:50], v[49:50], v[81:82]
	v_add_f64 v[45:46], v[89:90], v[45:46]
	v_fma_f64 v[19:20], v[19:20], v[37:38], -v[97:98]
	v_fma_f64 v[21:22], v[21:22], v[37:38], v[99:100]
	v_fma_f64 v[77:78], v[41:42], v[33:34], -v[101:102]
	v_fma_f64 v[33:34], v[43:44], v[33:34], v[35:36]
	v_add_f64 v[35:36], v[51:52], v[67:68]
	v_add_f64 v[51:52], v[69:70], v[55:56]
	;; [unrolled: 1-line block ×6, first 2 shown]
	v_fma_f64 v[41:42], v[41:42], v[37:38], -v[53:54]
	v_fma_f64 v[37:38], v[43:44], v[37:38], v[39:40]
	v_mul_f64 v[39:40], v[5:6], v[13:14]
	v_mul_f64 v[43:44], v[3:4], v[13:14]
	;; [unrolled: 1-line block ×8, first 2 shown]
	v_add_f64 v[35:36], v[35:36], v[57:58]
	v_add_f64 v[51:52], v[65:66], v[51:52]
	v_add_f64 v[55:56], v[55:56], v[19:20]
	v_add_f64 v[57:58], v[21:22], v[59:60]
	v_add_f64 v[47:48], v[47:48], v[77:78]
	v_add_f64 v[33:34], v[33:34], v[61:62]
	v_add_f64 v[41:42], v[49:50], v[41:42]
	v_add_f64 v[37:38], v[37:38], v[45:46]
	v_fma_f64 v[19:20], v[3:4], v[11:12], -v[39:40]
	v_fma_f64 v[21:22], v[5:6], v[11:12], v[43:44]
	v_fma_f64 v[3:4], v[3:4], v[15:16], -v[53:54]
	v_fma_f64 v[5:6], v[5:6], v[15:16], v[63:64]
	;; [unrolled: 2-line block ×4, first 2 shown]
	v_add_f64 v[19:20], v[35:36], v[19:20]
	v_add_f64 v[21:22], v[21:22], v[51:52]
	;; [unrolled: 1-line block ×8, first 2 shown]
	s_cbranch_vccz .LBB141_10
.LBB141_3:                              ; =>This Inner Loop Header: Depth=1
	v_add_co_u32 v3, s9, v28, s6
	v_add_co_ci_u32_e64 v4, null, 0, s7, s9
	v_mov_b32_e32 v5, 0
	v_mov_b32_e32 v6, 0
	v_cmp_gt_i64_e32 vcc_lo, s[16:17], v[3:4]
	v_mov_b32_e32 v3, 0
	v_mov_b32_e32 v4, 0
	s_and_b32 s22, s0, vcc_lo
	s_and_saveexec_b32 s9, s22
	s_cbranch_execz .LBB141_5
; %bb.4:                                ;   in Loop: Header=BB141_3 Depth=1
	global_load_dwordx4 v[3:6], v[25:26], off offset:-8
	s_waitcnt vmcnt(0)
	v_xor_b32_e32 v6, 0x80000000, v6
.LBB141_5:                              ;   in Loop: Header=BB141_3 Depth=1
	s_or_b32 exec_lo, exec_lo, s9
	v_add_co_u32 v33, s9, v27, s6
	v_add_co_ci_u32_e64 v34, null, 0, s7, s9
	ds_write_b128 v29, v[3:6]
	v_cmp_le_i64_e32 vcc_lo, s[16:17], v[33:34]
	s_or_b32 s9, vcc_lo, s1
	s_and_saveexec_b32 s22, s9
	s_xor_b32 s9, exec_lo, s22
	s_cbranch_execz .LBB141_7
; %bb.6:                                ;   in Loop: Header=BB141_3 Depth=1
	v_mov_b32_e32 v3, v2
	v_mov_b32_e32 v4, v2
	;; [unrolled: 1-line block ×3, first 2 shown]
	ds_write_b128 v30, v[2:5]
.LBB141_7:                              ;   in Loop: Header=BB141_3 Depth=1
	s_andn2_saveexec_b32 s9, s9
	s_cbranch_execz .LBB141_2
; %bb.8:                                ;   in Loop: Header=BB141_3 Depth=1
	global_load_dwordx4 v[3:6], v[23:24], off
	s_waitcnt vmcnt(0)
	ds_write2_b64 v30, v[3:4], v[5:6] offset1:1
	s_branch .LBB141_2
.LBB141_9:
	v_mov_b32_e32 v19, 0
	v_mov_b32_e32 v21, 0
	;; [unrolled: 1-line block ×16, first 2 shown]
.LBB141_10:
	s_clause 0x1
	s_load_dwordx2 s[0:1], s[4:5], 0x90
	s_load_dwordx4 s[4:7], s[4:5], 0x80
	v_cmp_neq_f64_e64 s9, s[42:43], 0
	v_cmp_neq_f64_e64 s16, s[44:45], 0
	v_add_co_u32 v1, s2, s2, v1
	v_add_co_ci_u32_e64 v2, null, s3, 0, s2
	s_waitcnt lgkmcnt(0)
	s_mul_i32 s1, s1, s8
	s_mul_hi_u32 s17, s0, s8
	s_mul_i32 s0, s0, s8
	s_add_i32 s1, s17, s1
	s_lshl_b64 s[0:1], s[0:1], 4
	s_add_u32 s3, s4, s0
	v_cmp_gt_i64_e64 s0, s[14:15], v[1:2]
	s_addc_u32 s4, s5, s1
	s_or_b32 s1, s9, s16
	s_and_b32 vcc_lo, exec_lo, s1
	s_mov_b32 s1, -1
	s_cbranch_vccnz .LBB141_22
; %bb.11:
	s_and_saveexec_b32 s5, s0
	s_cbranch_execz .LBB141_21
; %bb.12:
	v_mul_lo_u32 v5, v2, s6
	v_mul_lo_u32 v6, v1, s7
	v_mad_u64_u32 v[3:4], null, v1, s6, 0
	v_add3_u32 v4, v4, v6, v5
	v_add_co_u32 v5, s1, s10, v0
	v_add_co_ci_u32_e64 v6, null, s11, 0, s1
	v_lshlrev_b64 v[23:24], 4, v[3:4]
	v_cmp_gt_i64_e32 vcc_lo, s[12:13], v[5:6]
	v_lshlrev_b64 v[3:4], 4, v[5:6]
	v_add_co_u32 v23, s1, s3, v23
	v_add_co_ci_u32_e64 v24, null, s4, v24, s1
	s_and_saveexec_b32 s2, vcc_lo
	s_cbranch_execz .LBB141_14
; %bb.13:
	v_mul_f64 v[25:26], s[20:21], v[21:22]
	v_mul_f64 v[27:28], s[18:19], v[21:22]
	v_add_co_u32 v29, s1, v23, v3
	v_add_co_ci_u32_e64 v30, null, v24, v4, s1
	v_fma_f64 v[25:26], s[18:19], v[19:20], -v[25:26]
	v_fma_f64 v[27:28], s[20:21], v[19:20], v[27:28]
	global_store_dwordx4 v[29:30], v[25:28], off
.LBB141_14:
	s_or_b32 exec_lo, exec_lo, s2
	v_add_co_u32 v5, s1, v5, 16
	v_add_co_ci_u32_e64 v6, null, 0, v6, s1
	v_cmp_gt_i64_e64 s1, s[12:13], v[5:6]
	s_and_saveexec_b32 s9, s1
	s_cbranch_execz .LBB141_16
; %bb.15:
	v_mul_f64 v[5:6], s[20:21], v[17:18]
	v_mul_f64 v[27:28], s[18:19], v[17:18]
	v_fma_f64 v[25:26], s[18:19], v[15:16], -v[5:6]
	v_fma_f64 v[27:28], s[20:21], v[15:16], v[27:28]
	v_add_co_u32 v5, s2, v23, v3
	v_add_co_ci_u32_e64 v6, null, v24, v4, s2
	global_store_dwordx4 v[5:6], v[25:28], off offset:256
.LBB141_16:
	s_or_b32 exec_lo, exec_lo, s9
	v_add_co_u32 v5, s2, v1, 16
	v_add_co_ci_u32_e64 v6, null, 0, v2, s2
	v_cmp_gt_i64_e64 s2, s[14:15], v[5:6]
	s_and_b32 exec_lo, exec_lo, s2
	s_cbranch_execz .LBB141_21
; %bb.17:
	s_lshl_b64 s[16:17], s[6:7], 8
	v_add_co_u32 v5, s2, v23, s16
	v_add_co_ci_u32_e64 v6, null, s17, v24, s2
	v_add_co_u32 v3, s2, v5, v3
	v_add_co_ci_u32_e64 v4, null, v6, v4, s2
	s_and_saveexec_b32 s2, vcc_lo
	s_cbranch_execz .LBB141_19
; %bb.18:
	v_mul_f64 v[5:6], s[20:21], v[13:14]
	v_mul_f64 v[25:26], s[18:19], v[13:14]
	v_fma_f64 v[23:24], s[18:19], v[11:12], -v[5:6]
	v_fma_f64 v[25:26], s[20:21], v[11:12], v[25:26]
	global_store_dwordx4 v[3:4], v[23:26], off
.LBB141_19:
	s_or_b32 exec_lo, exec_lo, s2
	s_and_b32 exec_lo, exec_lo, s1
	s_cbranch_execz .LBB141_21
; %bb.20:
	v_mul_f64 v[5:6], s[20:21], v[9:10]
	v_mul_f64 v[25:26], s[18:19], v[9:10]
	v_fma_f64 v[23:24], s[18:19], v[7:8], -v[5:6]
	v_fma_f64 v[25:26], s[20:21], v[7:8], v[25:26]
	global_store_dwordx4 v[3:4], v[23:26], off offset:256
.LBB141_21:
	s_or_b32 exec_lo, exec_lo, s5
	s_mov_b32 s1, 0
.LBB141_22:
	s_andn2_b32 vcc_lo, exec_lo, s1
	s_cbranch_vccnz .LBB141_33
; %bb.23:
	s_and_saveexec_b32 s1, s0
	s_cbranch_execz .LBB141_33
; %bb.24:
	v_mul_lo_u32 v5, v2, s48
	v_mul_lo_u32 v6, v1, s49
	v_mad_u64_u32 v[3:4], null, v1, s48, 0
	v_mul_lo_u32 v25, v2, s6
	v_mul_lo_u32 v26, v1, s7
	v_mad_u64_u32 v[23:24], null, v1, s6, 0
	s_mul_i32 s0, s51, s8
	s_mul_hi_u32 s1, s50, s8
	v_add3_u32 v4, v4, v6, v5
	s_add_i32 s1, s1, s0
	s_mul_i32 s0, s50, s8
	v_add_co_u32 v5, s2, s10, v0
	v_add3_u32 v24, v24, v26, v25
	v_lshlrev_b64 v[3:4], 4, v[3:4]
	s_lshl_b64 s[0:1], s[0:1], 4
	v_add_co_ci_u32_e64 v6, null, s11, 0, s2
	v_lshlrev_b64 v[24:25], 4, v[23:24]
	s_add_u32 s0, s46, s0
	s_addc_u32 s1, s47, s1
	v_add_co_u32 v0, s0, s0, v3
	v_add_co_ci_u32_e64 v23, null, s1, v4, s0
	v_add_co_u32 v24, s0, s3, v24
	v_cmp_gt_i64_e32 vcc_lo, s[12:13], v[5:6]
	v_lshlrev_b64 v[3:4], 4, v[5:6]
	v_add_co_ci_u32_e64 v25, null, s4, v25, s0
	s_and_saveexec_b32 s1, vcc_lo
	s_cbranch_execz .LBB141_26
; %bb.25:
	v_add_co_u32 v26, s0, v0, v3
	v_add_co_ci_u32_e64 v27, null, v23, v4, s0
	v_mul_f64 v[30:31], s[20:21], v[21:22]
	v_mul_f64 v[21:22], s[18:19], v[21:22]
	global_load_dwordx4 v[26:29], v[26:27], off
	v_fma_f64 v[30:31], s[18:19], v[19:20], -v[30:31]
	v_fma_f64 v[21:22], s[20:21], v[19:20], v[21:22]
	s_waitcnt vmcnt(0)
	v_mul_f64 v[32:33], s[44:45], v[28:29]
	v_mul_f64 v[28:29], s[42:43], v[28:29]
	v_fma_f64 v[19:20], s[42:43], v[26:27], -v[32:33]
	v_fma_f64 v[26:27], s[44:45], v[26:27], v[28:29]
	v_add_f64 v[19:20], v[30:31], v[19:20]
	v_add_f64 v[21:22], v[21:22], v[26:27]
	v_add_co_u32 v26, s0, v24, v3
	v_add_co_ci_u32_e64 v27, null, v25, v4, s0
	global_store_dwordx4 v[26:27], v[19:22], off
.LBB141_26:
	s_or_b32 exec_lo, exec_lo, s1
	v_add_co_u32 v5, s0, v5, 16
	v_add_co_ci_u32_e64 v6, null, 0, v6, s0
	v_cmp_gt_i64_e64 s0, s[12:13], v[5:6]
	s_and_saveexec_b32 s2, s0
	s_cbranch_execz .LBB141_28
; %bb.27:
	v_add_co_u32 v5, s1, v0, v3
	v_add_co_ci_u32_e64 v6, null, v23, v4, s1
	global_load_dwordx4 v[19:22], v[5:6], off offset:256
	v_mul_f64 v[5:6], s[20:21], v[17:18]
	v_mul_f64 v[17:18], s[18:19], v[17:18]
	v_fma_f64 v[5:6], s[18:19], v[15:16], -v[5:6]
	v_fma_f64 v[17:18], s[20:21], v[15:16], v[17:18]
	s_waitcnt vmcnt(0)
	v_mul_f64 v[26:27], s[44:45], v[21:22]
	v_mul_f64 v[21:22], s[42:43], v[21:22]
	v_fma_f64 v[15:16], s[42:43], v[19:20], -v[26:27]
	v_fma_f64 v[19:20], s[44:45], v[19:20], v[21:22]
	v_add_f64 v[15:16], v[5:6], v[15:16]
	v_add_f64 v[17:18], v[17:18], v[19:20]
	v_add_co_u32 v5, s1, v24, v3
	v_add_co_ci_u32_e64 v6, null, v25, v4, s1
	global_store_dwordx4 v[5:6], v[15:18], off offset:256
.LBB141_28:
	s_or_b32 exec_lo, exec_lo, s2
	v_add_co_u32 v1, s1, v1, 16
	v_add_co_ci_u32_e64 v2, null, 0, v2, s1
	v_cmp_gt_i64_e64 s1, s[14:15], v[1:2]
	s_and_b32 exec_lo, exec_lo, s1
	s_cbranch_execz .LBB141_33
; %bb.29:
	s_lshl_b64 s[2:3], s[48:49], 8
	v_add_co_u32 v0, s1, v0, s2
	v_add_co_ci_u32_e64 v1, null, s3, v23, s1
	s_lshl_b64 s[2:3], s[6:7], 8
	v_add_co_u32 v2, s1, v24, s2
	v_add_co_ci_u32_e64 v15, null, s3, v25, s1
	v_add_co_u32 v5, s1, v0, v3
	v_add_co_ci_u32_e64 v6, null, v1, v4, s1
	;; [unrolled: 2-line block ×3, first 2 shown]
	s_and_saveexec_b32 s1, vcc_lo
	s_cbranch_execz .LBB141_31
; %bb.30:
	global_load_dwordx4 v[15:18], v[5:6], off
	v_mul_f64 v[2:3], s[20:21], v[13:14]
	v_mul_f64 v[13:14], s[18:19], v[13:14]
	v_fma_f64 v[2:3], s[18:19], v[11:12], -v[2:3]
	v_fma_f64 v[13:14], s[20:21], v[11:12], v[13:14]
	s_waitcnt vmcnt(0)
	v_mul_f64 v[19:20], s[44:45], v[17:18]
	v_mul_f64 v[17:18], s[42:43], v[17:18]
	v_fma_f64 v[11:12], s[42:43], v[15:16], -v[19:20]
	v_fma_f64 v[15:16], s[44:45], v[15:16], v[17:18]
	v_add_f64 v[11:12], v[2:3], v[11:12]
	v_add_f64 v[13:14], v[13:14], v[15:16]
	global_store_dwordx4 v[0:1], v[11:14], off
.LBB141_31:
	s_or_b32 exec_lo, exec_lo, s1
	s_and_b32 exec_lo, exec_lo, s0
	s_cbranch_execz .LBB141_33
; %bb.32:
	global_load_dwordx4 v[2:5], v[5:6], off offset:256
	v_mul_f64 v[11:12], s[20:21], v[9:10]
	v_mul_f64 v[9:10], s[18:19], v[9:10]
	v_fma_f64 v[11:12], s[18:19], v[7:8], -v[11:12]
	v_fma_f64 v[6:7], s[20:21], v[7:8], v[9:10]
	s_waitcnt vmcnt(0)
	v_mul_f64 v[13:14], s[44:45], v[4:5]
	v_mul_f64 v[4:5], s[42:43], v[4:5]
	v_fma_f64 v[8:9], s[42:43], v[2:3], -v[13:14]
	v_fma_f64 v[4:5], s[44:45], v[2:3], v[4:5]
	v_add_f64 v[2:3], v[11:12], v[8:9]
	v_add_f64 v[4:5], v[6:7], v[4:5]
	global_store_dwordx4 v[0:1], v[2:5], off offset:256
.LBB141_33:
	s_endpgm
	.section	.rodata,"a",@progbits
	.p2align	6, 0x0
	.amdhsa_kernel _ZN12_GLOBAL__N_135rocblas_gemm_batched_general_kernelI19rocblas_complex_numIdELi16ELi16ELi32ELi32ELi8ELi32ELi8ELi8ELi32ELc67ELc78EKS2_S3_S2_EEvlllT_PT11_llS6_llS4_PT12_llPT13_lli
		.amdhsa_group_segment_fixed_size 8192
		.amdhsa_private_segment_fixed_size 0
		.amdhsa_kernarg_size 156
		.amdhsa_user_sgpr_count 6
		.amdhsa_user_sgpr_private_segment_buffer 1
		.amdhsa_user_sgpr_dispatch_ptr 0
		.amdhsa_user_sgpr_queue_ptr 0
		.amdhsa_user_sgpr_kernarg_segment_ptr 1
		.amdhsa_user_sgpr_dispatch_id 0
		.amdhsa_user_sgpr_flat_scratch_init 0
		.amdhsa_user_sgpr_private_segment_size 0
		.amdhsa_wavefront_size32 1
		.amdhsa_uses_dynamic_stack 0
		.amdhsa_system_sgpr_private_segment_wavefront_offset 0
		.amdhsa_system_sgpr_workgroup_id_x 1
		.amdhsa_system_sgpr_workgroup_id_y 1
		.amdhsa_system_sgpr_workgroup_id_z 1
		.amdhsa_system_sgpr_workgroup_info 0
		.amdhsa_system_vgpr_workitem_id 1
		.amdhsa_next_free_vgpr 127
		.amdhsa_next_free_sgpr 52
		.amdhsa_reserve_vcc 1
		.amdhsa_reserve_flat_scratch 0
		.amdhsa_float_round_mode_32 0
		.amdhsa_float_round_mode_16_64 0
		.amdhsa_float_denorm_mode_32 3
		.amdhsa_float_denorm_mode_16_64 3
		.amdhsa_dx10_clamp 1
		.amdhsa_ieee_mode 1
		.amdhsa_fp16_overflow 0
		.amdhsa_workgroup_processor_mode 1
		.amdhsa_memory_ordered 1
		.amdhsa_forward_progress 1
		.amdhsa_shared_vgpr_count 0
		.amdhsa_exception_fp_ieee_invalid_op 0
		.amdhsa_exception_fp_denorm_src 0
		.amdhsa_exception_fp_ieee_div_zero 0
		.amdhsa_exception_fp_ieee_overflow 0
		.amdhsa_exception_fp_ieee_underflow 0
		.amdhsa_exception_fp_ieee_inexact 0
		.amdhsa_exception_int_div_zero 0
	.end_amdhsa_kernel
	.section	.text._ZN12_GLOBAL__N_135rocblas_gemm_batched_general_kernelI19rocblas_complex_numIdELi16ELi16ELi32ELi32ELi8ELi32ELi8ELi8ELi32ELc67ELc78EKS2_S3_S2_EEvlllT_PT11_llS6_llS4_PT12_llPT13_lli,"axG",@progbits,_ZN12_GLOBAL__N_135rocblas_gemm_batched_general_kernelI19rocblas_complex_numIdELi16ELi16ELi32ELi32ELi8ELi32ELi8ELi8ELi32ELc67ELc78EKS2_S3_S2_EEvlllT_PT11_llS6_llS4_PT12_llPT13_lli,comdat
.Lfunc_end141:
	.size	_ZN12_GLOBAL__N_135rocblas_gemm_batched_general_kernelI19rocblas_complex_numIdELi16ELi16ELi32ELi32ELi8ELi32ELi8ELi8ELi32ELc67ELc78EKS2_S3_S2_EEvlllT_PT11_llS6_llS4_PT12_llPT13_lli, .Lfunc_end141-_ZN12_GLOBAL__N_135rocblas_gemm_batched_general_kernelI19rocblas_complex_numIdELi16ELi16ELi32ELi32ELi8ELi32ELi8ELi8ELi32ELc67ELc78EKS2_S3_S2_EEvlllT_PT11_llS6_llS4_PT12_llPT13_lli
                                        ; -- End function
	.set _ZN12_GLOBAL__N_135rocblas_gemm_batched_general_kernelI19rocblas_complex_numIdELi16ELi16ELi32ELi32ELi8ELi32ELi8ELi8ELi32ELc67ELc78EKS2_S3_S2_EEvlllT_PT11_llS6_llS4_PT12_llPT13_lli.num_vgpr, 127
	.set _ZN12_GLOBAL__N_135rocblas_gemm_batched_general_kernelI19rocblas_complex_numIdELi16ELi16ELi32ELi32ELi8ELi32ELi8ELi8ELi32ELc67ELc78EKS2_S3_S2_EEvlllT_PT11_llS6_llS4_PT12_llPT13_lli.num_agpr, 0
	.set _ZN12_GLOBAL__N_135rocblas_gemm_batched_general_kernelI19rocblas_complex_numIdELi16ELi16ELi32ELi32ELi8ELi32ELi8ELi8ELi32ELc67ELc78EKS2_S3_S2_EEvlllT_PT11_llS6_llS4_PT12_llPT13_lli.numbered_sgpr, 52
	.set _ZN12_GLOBAL__N_135rocblas_gemm_batched_general_kernelI19rocblas_complex_numIdELi16ELi16ELi32ELi32ELi8ELi32ELi8ELi8ELi32ELc67ELc78EKS2_S3_S2_EEvlllT_PT11_llS6_llS4_PT12_llPT13_lli.num_named_barrier, 0
	.set _ZN12_GLOBAL__N_135rocblas_gemm_batched_general_kernelI19rocblas_complex_numIdELi16ELi16ELi32ELi32ELi8ELi32ELi8ELi8ELi32ELc67ELc78EKS2_S3_S2_EEvlllT_PT11_llS6_llS4_PT12_llPT13_lli.private_seg_size, 0
	.set _ZN12_GLOBAL__N_135rocblas_gemm_batched_general_kernelI19rocblas_complex_numIdELi16ELi16ELi32ELi32ELi8ELi32ELi8ELi8ELi32ELc67ELc78EKS2_S3_S2_EEvlllT_PT11_llS6_llS4_PT12_llPT13_lli.uses_vcc, 1
	.set _ZN12_GLOBAL__N_135rocblas_gemm_batched_general_kernelI19rocblas_complex_numIdELi16ELi16ELi32ELi32ELi8ELi32ELi8ELi8ELi32ELc67ELc78EKS2_S3_S2_EEvlllT_PT11_llS6_llS4_PT12_llPT13_lli.uses_flat_scratch, 0
	.set _ZN12_GLOBAL__N_135rocblas_gemm_batched_general_kernelI19rocblas_complex_numIdELi16ELi16ELi32ELi32ELi8ELi32ELi8ELi8ELi32ELc67ELc78EKS2_S3_S2_EEvlllT_PT11_llS6_llS4_PT12_llPT13_lli.has_dyn_sized_stack, 0
	.set _ZN12_GLOBAL__N_135rocblas_gemm_batched_general_kernelI19rocblas_complex_numIdELi16ELi16ELi32ELi32ELi8ELi32ELi8ELi8ELi32ELc67ELc78EKS2_S3_S2_EEvlllT_PT11_llS6_llS4_PT12_llPT13_lli.has_recursion, 0
	.set _ZN12_GLOBAL__N_135rocblas_gemm_batched_general_kernelI19rocblas_complex_numIdELi16ELi16ELi32ELi32ELi8ELi32ELi8ELi8ELi32ELc67ELc78EKS2_S3_S2_EEvlllT_PT11_llS6_llS4_PT12_llPT13_lli.has_indirect_call, 0
	.section	.AMDGPU.csdata,"",@progbits
; Kernel info:
; codeLenInByte = 4052
; TotalNumSgprs: 54
; NumVgprs: 127
; ScratchSize: 0
; MemoryBound: 1
; FloatMode: 240
; IeeeMode: 1
; LDSByteSize: 8192 bytes/workgroup (compile time only)
; SGPRBlocks: 0
; VGPRBlocks: 15
; NumSGPRsForWavesPerEU: 54
; NumVGPRsForWavesPerEU: 127
; Occupancy: 8
; WaveLimiterHint : 0
; COMPUTE_PGM_RSRC2:SCRATCH_EN: 0
; COMPUTE_PGM_RSRC2:USER_SGPR: 6
; COMPUTE_PGM_RSRC2:TRAP_HANDLER: 0
; COMPUTE_PGM_RSRC2:TGID_X_EN: 1
; COMPUTE_PGM_RSRC2:TGID_Y_EN: 1
; COMPUTE_PGM_RSRC2:TGID_Z_EN: 1
; COMPUTE_PGM_RSRC2:TIDIG_COMP_CNT: 1
	.section	.text._ZN12_GLOBAL__N_135rocblas_gemm_batched_general_kernelI19rocblas_complex_numIdELi16ELi16ELi32ELi32ELi8ELi32ELi8ELi8ELi32ELc67ELc84EKS2_S3_S2_EEvlllT_PT11_llS6_llS4_PT12_llPT13_lli,"axG",@progbits,_ZN12_GLOBAL__N_135rocblas_gemm_batched_general_kernelI19rocblas_complex_numIdELi16ELi16ELi32ELi32ELi8ELi32ELi8ELi8ELi32ELc67ELc84EKS2_S3_S2_EEvlllT_PT11_llS6_llS4_PT12_llPT13_lli,comdat
	.globl	_ZN12_GLOBAL__N_135rocblas_gemm_batched_general_kernelI19rocblas_complex_numIdELi16ELi16ELi32ELi32ELi8ELi32ELi8ELi8ELi32ELc67ELc84EKS2_S3_S2_EEvlllT_PT11_llS6_llS4_PT12_llPT13_lli ; -- Begin function _ZN12_GLOBAL__N_135rocblas_gemm_batched_general_kernelI19rocblas_complex_numIdELi16ELi16ELi32ELi32ELi8ELi32ELi8ELi8ELi32ELc67ELc84EKS2_S3_S2_EEvlllT_PT11_llS6_llS4_PT12_llPT13_lli
	.p2align	8
	.type	_ZN12_GLOBAL__N_135rocblas_gemm_batched_general_kernelI19rocblas_complex_numIdELi16ELi16ELi32ELi32ELi8ELi32ELi8ELi8ELi32ELc67ELc84EKS2_S3_S2_EEvlllT_PT11_llS6_llS4_PT12_llPT13_lli,@function
_ZN12_GLOBAL__N_135rocblas_gemm_batched_general_kernelI19rocblas_complex_numIdELi16ELi16ELi32ELi32ELi8ELi32ELi8ELi8ELi32ELc67ELc84EKS2_S3_S2_EEvlllT_PT11_llS6_llS4_PT12_llPT13_lli: ; @_ZN12_GLOBAL__N_135rocblas_gemm_batched_general_kernelI19rocblas_complex_numIdELi16ELi16ELi32ELi32ELi8ELi32ELi8ELi8ELi32ELc67ELc84EKS2_S3_S2_EEvlllT_PT11_llS6_llS4_PT12_llPT13_lli
; %bb.0:
	s_clause 0x1
	s_load_dwordx16 s[12:27], s[4:5], 0x0
	s_load_dwordx16 s[36:51], s[4:5], 0x40
	s_mov_b32 s28, s7
	v_mov_b32_e32 v2, 0
	s_ashr_i32 s7, s6, 31
	s_ashr_i32 s29, s28, 31
	s_lshl_b64 s[10:11], s[6:7], 5
	s_lshl_b64 s[2:3], s[28:29], 5
	s_waitcnt lgkmcnt(0)
	v_cmp_lt_i64_e64 s0, s[16:17], 1
	s_and_b32 vcc_lo, exec_lo, s0
	s_cbranch_vccnz .LBB142_9
; %bb.1:
	v_lshl_add_u32 v3, v1, 4, v0
	v_and_b32_e32 v27, 7, v0
	v_mov_b32_e32 v4, s11
	s_mul_i32 s1, s41, s8
	s_mul_hi_u32 s6, s40, s8
	v_and_b32_e32 v9, 31, v3
	v_mad_u64_u32 v[5:6], null, s38, v27, 0
	v_lshrrev_b32_e32 v10, 3, v3
	v_lshrrev_b32_e32 v28, 5, v3
	v_or_b32_e32 v3, s10, v9
	v_lshlrev_b32_e32 v11, 4, v27
	v_lshlrev_b32_e32 v12, 4, v9
	v_add_co_u32 v7, s0, v10, s2
	v_add_co_ci_u32_e64 v8, null, 0, s3, s0
	v_cmp_gt_i64_e64 s0, s[12:13], v[3:4]
	v_mov_b32_e32 v3, v6
	v_lshl_or_b32 v11, v10, 7, v11
	v_cmp_gt_i64_e32 vcc_lo, s[14:15], v[7:8]
	v_lshl_or_b32 v29, v28, 9, v12
	v_mov_b32_e32 v13, 0
	v_mad_u64_u32 v[3:4], null, s39, v27, v[3:4]
	v_add_co_u32 v4, s7, s10, v9
	v_add_co_ci_u32_e64 v7, null, s11, 0, s7
	s_add_i32 s7, s6, s1
	v_mul_lo_u32 v8, s25, v4
	v_mov_b32_e32 v6, v3
	v_mul_lo_u32 v7, s24, v7
	v_mad_u64_u32 v[3:4], null, s24, v4, 0
	s_mul_i32 s6, s40, s8
	v_lshlrev_b64 v[5:6], 4, v[5:6]
	s_lshl_b64 s[6:7], s[6:7], 4
	s_lshl_b64 s[24:25], s[28:29], 9
	v_add_nc_u32_e32 v30, 0x1000, v11
	s_add_u32 s1, s24, s6
	v_add3_u32 v4, v4, v7, v8
	s_addc_u32 s6, s25, s7
	v_add_co_u32 v5, s1, s1, v5
	v_add_co_ci_u32_e64 v6, null, s6, v6, s1
	s_mul_i32 s1, s27, s8
	s_mul_hi_u32 s6, s26, s8
	v_lshlrev_b64 v[3:4], 4, v[3:4]
	s_add_i32 s7, s6, s1
	s_mul_i32 s6, s26, s8
	v_lshlrev_b32_e32 v7, 4, v10
	s_lshl_b64 s[6:7], s[6:7], 4
	v_lshlrev_b32_e32 v8, 4, v28
	v_add_co_u32 v3, s1, v3, s6
	v_add_co_ci_u32_e64 v4, null, s7, v4, s1
	v_add_co_u32 v5, s1, v5, v7
	v_add_co_ci_u32_e64 v6, null, 0, v6, s1
	;; [unrolled: 2-line block ×5, first 2 shown]
	v_mov_b32_e32 v9, 0
	v_add_co_u32 v25, s1, v3, 8
	v_mov_b32_e32 v7, 0
	v_mov_b32_e32 v11, 0
	;; [unrolled: 1-line block ×6, first 2 shown]
	v_lshlrev_b32_e32 v31, 4, v0
	v_lshl_add_u32 v32, v1, 7, 0x1000
	v_mov_b32_e32 v10, 0
	v_mov_b32_e32 v8, 0
	;; [unrolled: 1-line block ×8, first 2 shown]
	v_add_co_ci_u32_e64 v26, null, 0, v4, s1
	s_lshl_b64 s[6:7], s[38:39], 7
	s_mov_b64 s[22:23], 0
	s_xor_b32 s1, vcc_lo, -1
	s_branch .LBB142_3
.LBB142_2:                              ;   in Loop: Header=BB142_3 Depth=1
	s_or_b32 exec_lo, exec_lo, s9
	s_waitcnt lgkmcnt(0)
	s_barrier
	buffer_gl0_inv
	ds_read_b128 v[3:6], v32
	ds_read_b128 v[33:36], v31
	ds_read_b128 v[37:40], v31 offset:256
	ds_read_b128 v[41:44], v32 offset:2048
	;; [unrolled: 1-line block ×12, first 2 shown]
	s_add_u32 s22, s22, 8
	s_addc_u32 s23, s23, 0
	v_add_co_u32 v23, vcc_lo, v23, s6
	v_cmp_lt_i64_e64 s9, s[22:23], s[16:17]
	v_add_co_ci_u32_e64 v24, null, s7, v24, vcc_lo
	s_waitcnt lgkmcnt(12)
	v_mul_f64 v[85:86], v[5:6], v[35:36]
	v_mul_f64 v[87:88], v[3:4], v[35:36]
	s_waitcnt lgkmcnt(11)
	v_mul_f64 v[89:90], v[5:6], v[39:40]
	v_mul_f64 v[91:92], v[3:4], v[39:40]
	;; [unrolled: 3-line block ×3, first 2 shown]
	v_mul_f64 v[95:96], v[43:44], v[39:40]
	v_mul_f64 v[39:40], v[41:42], v[39:40]
	s_waitcnt lgkmcnt(8)
	v_mul_f64 v[97:98], v[47:48], v[51:52]
	v_mul_f64 v[99:100], v[45:46], v[51:52]
	s_waitcnt lgkmcnt(7)
	;; [unrolled: 3-line block ×3, first 2 shown]
	v_mul_f64 v[105:106], v[59:60], v[51:52]
	v_mul_f64 v[51:52], v[57:58], v[51:52]
	;; [unrolled: 1-line block ×4, first 2 shown]
	s_waitcnt lgkmcnt(4)
	v_mul_f64 v[109:110], v[63:64], v[67:68]
	v_mul_f64 v[111:112], v[61:62], v[67:68]
	s_waitcnt lgkmcnt(3)
	v_mul_f64 v[113:114], v[63:64], v[71:72]
	v_mul_f64 v[115:116], v[61:62], v[71:72]
	;; [unrolled: 3-line block ×3, first 2 shown]
	v_fma_f64 v[85:86], v[3:4], v[33:34], -v[85:86]
	v_fma_f64 v[87:88], v[5:6], v[33:34], v[87:88]
	v_fma_f64 v[89:90], v[3:4], v[37:38], -v[89:90]
	v_fma_f64 v[91:92], v[5:6], v[37:38], v[91:92]
	;; [unrolled: 2-line block ×4, first 2 shown]
	v_mul_f64 v[123:124], v[75:76], v[71:72]
	v_mul_f64 v[71:72], v[73:74], v[71:72]
	ds_read_b128 v[3:6], v31 offset:1536
	ds_read_b128 v[33:36], v31 offset:1792
	v_fma_f64 v[97:98], v[45:46], v[49:50], -v[97:98]
	v_fma_f64 v[99:100], v[47:48], v[49:50], v[99:100]
	v_fma_f64 v[101:102], v[45:46], v[53:54], -v[101:102]
	v_fma_f64 v[103:104], v[47:48], v[53:54], v[103:104]
	;; [unrolled: 2-line block ×7, first 2 shown]
	v_add_f64 v[19:20], v[19:20], v[85:86]
	v_add_f64 v[21:22], v[87:88], v[21:22]
	;; [unrolled: 1-line block ×4, first 2 shown]
	s_waitcnt lgkmcnt(1)
	v_mul_f64 v[109:110], v[79:80], v[5:6]
	s_waitcnt lgkmcnt(0)
	v_mul_f64 v[67:68], v[79:80], v[35:36]
	v_fma_f64 v[73:74], v[73:74], v[69:70], -v[123:124]
	v_fma_f64 v[69:70], v[75:76], v[69:70], v[71:72]
	v_add_f64 v[71:72], v[11:12], v[93:94]
	v_add_f64 v[13:14], v[119:120], v[13:14]
	;; [unrolled: 1-line block ×4, first 2 shown]
	ds_read_b128 v[37:40], v32 offset:64
	ds_read_b128 v[41:44], v31 offset:2048
	;; [unrolled: 1-line block ×3, first 2 shown]
	v_mul_f64 v[111:112], v[77:78], v[5:6]
	v_mul_f64 v[113:114], v[77:78], v[35:36]
	;; [unrolled: 1-line block ×6, first 2 shown]
	ds_read_b128 v[49:52], v32 offset:2112
	ds_read_b128 v[9:12], v32 offset:2128
	v_add_f64 v[97:98], v[19:20], v[97:98]
	v_add_f64 v[21:22], v[99:100], v[21:22]
	;; [unrolled: 1-line block ×4, first 2 shown]
	v_fma_f64 v[89:90], v[77:78], v[3:4], -v[109:110]
	v_fma_f64 v[67:68], v[77:78], v[33:34], -v[67:68]
	ds_read_b128 v[5:8], v32 offset:80
	ds_read_b128 v[17:20], v31 offset:2816
	v_add_f64 v[71:72], v[71:72], v[105:106]
	v_add_f64 v[103:104], v[125:126], v[13:14]
	s_waitcnt lgkmcnt(5)
	v_mul_f64 v[77:78], v[39:40], v[43:44]
	v_mul_f64 v[93:94], v[37:38], v[43:44]
	v_add_f64 v[57:58], v[75:76], v[57:58]
	v_add_f64 v[53:54], v[53:54], v[85:86]
	ds_read_b128 v[13:16], v31 offset:2560
	s_waitcnt lgkmcnt(5)
	v_mul_f64 v[95:96], v[39:40], v[47:48]
	v_mul_f64 v[109:110], v[37:38], v[47:48]
	v_fma_f64 v[91:92], v[79:80], v[3:4], v[111:112]
	v_fma_f64 v[79:80], v[79:80], v[33:34], v[113:114]
	s_waitcnt lgkmcnt(4)
	v_mul_f64 v[111:112], v[51:52], v[43:44]
	v_mul_f64 v[43:44], v[49:50], v[43:44]
	v_fma_f64 v[75:76], v[81:82], v[3:4], -v[115:116]
	v_fma_f64 v[3:4], v[83:84], v[3:4], v[117:118]
	v_fma_f64 v[81:82], v[81:82], v[33:34], -v[87:88]
	v_fma_f64 v[83:84], v[83:84], v[33:34], v[35:36]
	v_add_f64 v[55:56], v[97:98], v[55:56]
	v_add_f64 v[59:60], v[59:60], v[21:22]
	;; [unrolled: 1-line block ×4, first 2 shown]
	s_waitcnt lgkmcnt(1)
	v_mul_f64 v[97:98], v[7:8], v[19:20]
	v_add_f64 v[71:72], v[71:72], v[107:108]
	v_add_f64 v[65:66], v[65:66], v[103:104]
	v_fma_f64 v[77:78], v[37:38], v[41:42], -v[77:78]
	v_fma_f64 v[85:86], v[39:40], v[41:42], v[93:94]
	v_add_f64 v[57:58], v[57:58], v[73:74]
	v_add_f64 v[53:54], v[69:70], v[53:54]
	s_waitcnt lgkmcnt(0)
	v_mul_f64 v[69:70], v[7:8], v[15:16]
	v_fma_f64 v[87:88], v[37:38], v[45:46], -v[95:96]
	v_fma_f64 v[93:94], v[39:40], v[45:46], v[109:110]
	v_mul_f64 v[37:38], v[51:52], v[47:48]
	v_mul_f64 v[39:40], v[49:50], v[47:48]
	v_fma_f64 v[47:48], v[49:50], v[41:42], -v[111:112]
	v_fma_f64 v[95:96], v[51:52], v[41:42], v[43:44]
	v_mul_f64 v[73:74], v[5:6], v[15:16]
	v_mul_f64 v[99:100], v[5:6], v[19:20]
	v_mul_f64 v[101:102], v[11:12], v[15:16]
	v_mul_f64 v[15:16], v[9:10], v[15:16]
	v_mul_f64 v[103:104], v[11:12], v[19:20]
	v_mul_f64 v[105:106], v[9:10], v[19:20]
	ds_read_b128 v[19:22], v32 offset:96
	ds_read_b128 v[33:36], v31 offset:3072
	v_add_co_u32 v25, vcc_lo, 0x80, v25
	v_add_co_ci_u32_e64 v26, null, 0, v26, vcc_lo
	v_add_f64 v[65:66], v[3:4], v[65:66]
	s_and_b32 vcc_lo, exec_lo, s9
	v_add_f64 v[57:58], v[57:58], v[81:82]
	v_add_f64 v[53:54], v[83:84], v[53:54]
	v_fma_f64 v[49:50], v[49:50], v[45:46], -v[37:38]
	v_fma_f64 v[45:46], v[51:52], v[45:46], v[39:40]
	v_add_f64 v[51:52], v[55:56], v[89:90]
	v_add_f64 v[55:56], v[91:92], v[59:60]
	;; [unrolled: 1-line block ×5, first 2 shown]
	ds_read_b128 v[37:40], v31 offset:3328
	ds_read_b128 v[41:44], v32 offset:2144
	v_fma_f64 v[67:68], v[5:6], v[13:14], -v[69:70]
	v_fma_f64 v[69:70], v[7:8], v[13:14], v[73:74]
	v_fma_f64 v[71:72], v[5:6], v[17:18], -v[97:98]
	v_fma_f64 v[73:74], v[7:8], v[17:18], v[99:100]
	;; [unrolled: 2-line block ×3, first 2 shown]
	v_fma_f64 v[81:82], v[9:10], v[17:18], -v[103:104]
	s_waitcnt lgkmcnt(2)
	v_mul_f64 v[83:84], v[21:22], v[35:36]
	v_fma_f64 v[89:90], v[11:12], v[17:18], v[105:106]
	v_mul_f64 v[91:92], v[19:20], v[35:36]
	ds_read_b128 v[3:6], v32 offset:112
	ds_read_b128 v[7:10], v32 offset:2160
	;; [unrolled: 1-line block ×4, first 2 shown]
	s_waitcnt lgkmcnt(0)
	v_add_f64 v[49:50], v[57:58], v[49:50]
	v_add_f64 v[45:46], v[45:46], v[53:54]
	;; [unrolled: 1-line block ×4, first 2 shown]
	v_mul_f64 v[97:98], v[21:22], v[39:40]
	v_mul_f64 v[99:100], v[19:20], v[39:40]
	;; [unrolled: 1-line block ×4, first 2 shown]
	v_add_f64 v[59:60], v[59:60], v[87:88]
	v_add_f64 v[61:62], v[93:94], v[61:62]
	;; [unrolled: 1-line block ×4, first 2 shown]
	v_mul_f64 v[53:54], v[43:44], v[39:40]
	v_mul_f64 v[39:40], v[41:42], v[39:40]
	s_barrier
	v_fma_f64 v[57:58], v[19:20], v[33:34], -v[83:84]
	buffer_gl0_inv
	v_fma_f64 v[65:66], v[21:22], v[33:34], v[91:92]
	v_add_f64 v[49:50], v[49:50], v[81:82]
	v_add_f64 v[45:46], v[89:90], v[45:46]
	v_fma_f64 v[19:20], v[19:20], v[37:38], -v[97:98]
	v_fma_f64 v[21:22], v[21:22], v[37:38], v[99:100]
	v_fma_f64 v[77:78], v[41:42], v[33:34], -v[101:102]
	v_fma_f64 v[33:34], v[43:44], v[33:34], v[35:36]
	v_add_f64 v[35:36], v[51:52], v[67:68]
	v_add_f64 v[51:52], v[69:70], v[55:56]
	;; [unrolled: 1-line block ×6, first 2 shown]
	v_fma_f64 v[41:42], v[41:42], v[37:38], -v[53:54]
	v_fma_f64 v[37:38], v[43:44], v[37:38], v[39:40]
	v_mul_f64 v[39:40], v[5:6], v[13:14]
	v_mul_f64 v[43:44], v[3:4], v[13:14]
	;; [unrolled: 1-line block ×8, first 2 shown]
	v_add_f64 v[35:36], v[35:36], v[57:58]
	v_add_f64 v[51:52], v[65:66], v[51:52]
	;; [unrolled: 1-line block ×8, first 2 shown]
	v_fma_f64 v[19:20], v[3:4], v[11:12], -v[39:40]
	v_fma_f64 v[21:22], v[5:6], v[11:12], v[43:44]
	v_fma_f64 v[3:4], v[3:4], v[15:16], -v[53:54]
	v_fma_f64 v[5:6], v[5:6], v[15:16], v[63:64]
	;; [unrolled: 2-line block ×4, first 2 shown]
	v_add_f64 v[19:20], v[35:36], v[19:20]
	v_add_f64 v[21:22], v[21:22], v[51:52]
	;; [unrolled: 1-line block ×8, first 2 shown]
	s_cbranch_vccz .LBB142_10
.LBB142_3:                              ; =>This Inner Loop Header: Depth=1
	v_add_co_u32 v3, s9, v28, s22
	v_add_co_ci_u32_e64 v4, null, 0, s23, s9
	v_mov_b32_e32 v5, 0
	v_mov_b32_e32 v6, 0
	v_cmp_gt_i64_e32 vcc_lo, s[16:17], v[3:4]
	v_mov_b32_e32 v3, 0
	v_mov_b32_e32 v4, 0
	s_and_b32 s24, s0, vcc_lo
	s_and_saveexec_b32 s9, s24
	s_cbranch_execz .LBB142_5
; %bb.4:                                ;   in Loop: Header=BB142_3 Depth=1
	global_load_dwordx4 v[3:6], v[25:26], off offset:-8
	s_waitcnt vmcnt(0)
	v_xor_b32_e32 v6, 0x80000000, v6
.LBB142_5:                              ;   in Loop: Header=BB142_3 Depth=1
	s_or_b32 exec_lo, exec_lo, s9
	v_add_co_u32 v33, s9, v27, s22
	v_add_co_ci_u32_e64 v34, null, 0, s23, s9
	ds_write_b128 v29, v[3:6]
	v_cmp_le_i64_e32 vcc_lo, s[16:17], v[33:34]
	s_or_b32 s9, vcc_lo, s1
	s_and_saveexec_b32 s24, s9
	s_xor_b32 s9, exec_lo, s24
	s_cbranch_execz .LBB142_7
; %bb.6:                                ;   in Loop: Header=BB142_3 Depth=1
	v_mov_b32_e32 v3, v2
	v_mov_b32_e32 v4, v2
	;; [unrolled: 1-line block ×3, first 2 shown]
	ds_write_b128 v30, v[2:5]
.LBB142_7:                              ;   in Loop: Header=BB142_3 Depth=1
	s_andn2_saveexec_b32 s9, s9
	s_cbranch_execz .LBB142_2
; %bb.8:                                ;   in Loop: Header=BB142_3 Depth=1
	global_load_dwordx4 v[3:6], v[23:24], off
	s_waitcnt vmcnt(0)
	ds_write2_b64 v30, v[3:4], v[5:6] offset1:1
	s_branch .LBB142_2
.LBB142_9:
	v_mov_b32_e32 v19, 0
	v_mov_b32_e32 v21, 0
	;; [unrolled: 1-line block ×16, first 2 shown]
.LBB142_10:
	s_clause 0x1
	s_load_dwordx2 s[0:1], s[4:5], 0x90
	s_load_dwordx4 s[4:7], s[4:5], 0x80
	v_cmp_neq_f64_e64 s9, s[42:43], 0
	v_cmp_neq_f64_e64 s16, s[44:45], 0
	v_add_co_u32 v1, s2, s2, v1
	v_add_co_ci_u32_e64 v2, null, s3, 0, s2
	s_waitcnt lgkmcnt(0)
	s_mul_i32 s1, s1, s8
	s_mul_hi_u32 s17, s0, s8
	s_mul_i32 s0, s0, s8
	s_add_i32 s1, s17, s1
	s_lshl_b64 s[0:1], s[0:1], 4
	s_add_u32 s3, s4, s0
	v_cmp_gt_i64_e64 s0, s[14:15], v[1:2]
	s_addc_u32 s4, s5, s1
	s_or_b32 s1, s9, s16
	s_and_b32 vcc_lo, exec_lo, s1
	s_mov_b32 s1, -1
	s_cbranch_vccnz .LBB142_22
; %bb.11:
	s_and_saveexec_b32 s5, s0
	s_cbranch_execz .LBB142_21
; %bb.12:
	v_mul_lo_u32 v5, v2, s6
	v_mul_lo_u32 v6, v1, s7
	v_mad_u64_u32 v[3:4], null, v1, s6, 0
	v_add3_u32 v4, v4, v6, v5
	v_add_co_u32 v5, s1, s10, v0
	v_add_co_ci_u32_e64 v6, null, s11, 0, s1
	v_lshlrev_b64 v[23:24], 4, v[3:4]
	v_cmp_gt_i64_e32 vcc_lo, s[12:13], v[5:6]
	v_lshlrev_b64 v[3:4], 4, v[5:6]
	v_add_co_u32 v23, s1, s3, v23
	v_add_co_ci_u32_e64 v24, null, s4, v24, s1
	s_and_saveexec_b32 s2, vcc_lo
	s_cbranch_execz .LBB142_14
; %bb.13:
	v_mul_f64 v[25:26], s[20:21], v[21:22]
	v_mul_f64 v[27:28], s[18:19], v[21:22]
	v_add_co_u32 v29, s1, v23, v3
	v_add_co_ci_u32_e64 v30, null, v24, v4, s1
	v_fma_f64 v[25:26], s[18:19], v[19:20], -v[25:26]
	v_fma_f64 v[27:28], s[20:21], v[19:20], v[27:28]
	global_store_dwordx4 v[29:30], v[25:28], off
.LBB142_14:
	s_or_b32 exec_lo, exec_lo, s2
	v_add_co_u32 v5, s1, v5, 16
	v_add_co_ci_u32_e64 v6, null, 0, v6, s1
	v_cmp_gt_i64_e64 s1, s[12:13], v[5:6]
	s_and_saveexec_b32 s9, s1
	s_cbranch_execz .LBB142_16
; %bb.15:
	v_mul_f64 v[5:6], s[20:21], v[17:18]
	v_mul_f64 v[27:28], s[18:19], v[17:18]
	v_fma_f64 v[25:26], s[18:19], v[15:16], -v[5:6]
	v_fma_f64 v[27:28], s[20:21], v[15:16], v[27:28]
	v_add_co_u32 v5, s2, v23, v3
	v_add_co_ci_u32_e64 v6, null, v24, v4, s2
	global_store_dwordx4 v[5:6], v[25:28], off offset:256
.LBB142_16:
	s_or_b32 exec_lo, exec_lo, s9
	v_add_co_u32 v5, s2, v1, 16
	v_add_co_ci_u32_e64 v6, null, 0, v2, s2
	v_cmp_gt_i64_e64 s2, s[14:15], v[5:6]
	s_and_b32 exec_lo, exec_lo, s2
	s_cbranch_execz .LBB142_21
; %bb.17:
	s_lshl_b64 s[16:17], s[6:7], 8
	v_add_co_u32 v5, s2, v23, s16
	v_add_co_ci_u32_e64 v6, null, s17, v24, s2
	v_add_co_u32 v3, s2, v5, v3
	v_add_co_ci_u32_e64 v4, null, v6, v4, s2
	s_and_saveexec_b32 s2, vcc_lo
	s_cbranch_execz .LBB142_19
; %bb.18:
	v_mul_f64 v[5:6], s[20:21], v[13:14]
	v_mul_f64 v[25:26], s[18:19], v[13:14]
	v_fma_f64 v[23:24], s[18:19], v[11:12], -v[5:6]
	v_fma_f64 v[25:26], s[20:21], v[11:12], v[25:26]
	global_store_dwordx4 v[3:4], v[23:26], off
.LBB142_19:
	s_or_b32 exec_lo, exec_lo, s2
	s_and_b32 exec_lo, exec_lo, s1
	s_cbranch_execz .LBB142_21
; %bb.20:
	v_mul_f64 v[5:6], s[20:21], v[9:10]
	v_mul_f64 v[25:26], s[18:19], v[9:10]
	v_fma_f64 v[23:24], s[18:19], v[7:8], -v[5:6]
	v_fma_f64 v[25:26], s[20:21], v[7:8], v[25:26]
	global_store_dwordx4 v[3:4], v[23:26], off offset:256
.LBB142_21:
	s_or_b32 exec_lo, exec_lo, s5
	s_mov_b32 s1, 0
.LBB142_22:
	s_andn2_b32 vcc_lo, exec_lo, s1
	s_cbranch_vccnz .LBB142_33
; %bb.23:
	s_and_saveexec_b32 s1, s0
	s_cbranch_execz .LBB142_33
; %bb.24:
	v_mul_lo_u32 v5, v2, s48
	v_mul_lo_u32 v6, v1, s49
	v_mad_u64_u32 v[3:4], null, v1, s48, 0
	v_mul_lo_u32 v25, v2, s6
	v_mul_lo_u32 v26, v1, s7
	v_mad_u64_u32 v[23:24], null, v1, s6, 0
	s_mul_i32 s0, s51, s8
	s_mul_hi_u32 s1, s50, s8
	v_add3_u32 v4, v4, v6, v5
	s_add_i32 s1, s1, s0
	s_mul_i32 s0, s50, s8
	v_add_co_u32 v5, s2, s10, v0
	v_add3_u32 v24, v24, v26, v25
	v_lshlrev_b64 v[3:4], 4, v[3:4]
	s_lshl_b64 s[0:1], s[0:1], 4
	v_add_co_ci_u32_e64 v6, null, s11, 0, s2
	v_lshlrev_b64 v[24:25], 4, v[23:24]
	s_add_u32 s0, s46, s0
	s_addc_u32 s1, s47, s1
	v_add_co_u32 v0, s0, s0, v3
	v_add_co_ci_u32_e64 v23, null, s1, v4, s0
	v_add_co_u32 v24, s0, s3, v24
	v_cmp_gt_i64_e32 vcc_lo, s[12:13], v[5:6]
	v_lshlrev_b64 v[3:4], 4, v[5:6]
	v_add_co_ci_u32_e64 v25, null, s4, v25, s0
	s_and_saveexec_b32 s1, vcc_lo
	s_cbranch_execz .LBB142_26
; %bb.25:
	v_add_co_u32 v26, s0, v0, v3
	v_add_co_ci_u32_e64 v27, null, v23, v4, s0
	v_mul_f64 v[30:31], s[20:21], v[21:22]
	v_mul_f64 v[21:22], s[18:19], v[21:22]
	global_load_dwordx4 v[26:29], v[26:27], off
	v_fma_f64 v[30:31], s[18:19], v[19:20], -v[30:31]
	v_fma_f64 v[21:22], s[20:21], v[19:20], v[21:22]
	s_waitcnt vmcnt(0)
	v_mul_f64 v[32:33], s[44:45], v[28:29]
	v_mul_f64 v[28:29], s[42:43], v[28:29]
	v_fma_f64 v[19:20], s[42:43], v[26:27], -v[32:33]
	v_fma_f64 v[26:27], s[44:45], v[26:27], v[28:29]
	v_add_f64 v[19:20], v[30:31], v[19:20]
	v_add_f64 v[21:22], v[21:22], v[26:27]
	v_add_co_u32 v26, s0, v24, v3
	v_add_co_ci_u32_e64 v27, null, v25, v4, s0
	global_store_dwordx4 v[26:27], v[19:22], off
.LBB142_26:
	s_or_b32 exec_lo, exec_lo, s1
	v_add_co_u32 v5, s0, v5, 16
	v_add_co_ci_u32_e64 v6, null, 0, v6, s0
	v_cmp_gt_i64_e64 s0, s[12:13], v[5:6]
	s_and_saveexec_b32 s2, s0
	s_cbranch_execz .LBB142_28
; %bb.27:
	v_add_co_u32 v5, s1, v0, v3
	v_add_co_ci_u32_e64 v6, null, v23, v4, s1
	global_load_dwordx4 v[19:22], v[5:6], off offset:256
	v_mul_f64 v[5:6], s[20:21], v[17:18]
	v_mul_f64 v[17:18], s[18:19], v[17:18]
	v_fma_f64 v[5:6], s[18:19], v[15:16], -v[5:6]
	v_fma_f64 v[17:18], s[20:21], v[15:16], v[17:18]
	s_waitcnt vmcnt(0)
	v_mul_f64 v[26:27], s[44:45], v[21:22]
	v_mul_f64 v[21:22], s[42:43], v[21:22]
	v_fma_f64 v[15:16], s[42:43], v[19:20], -v[26:27]
	v_fma_f64 v[19:20], s[44:45], v[19:20], v[21:22]
	v_add_f64 v[15:16], v[5:6], v[15:16]
	v_add_f64 v[17:18], v[17:18], v[19:20]
	v_add_co_u32 v5, s1, v24, v3
	v_add_co_ci_u32_e64 v6, null, v25, v4, s1
	global_store_dwordx4 v[5:6], v[15:18], off offset:256
.LBB142_28:
	s_or_b32 exec_lo, exec_lo, s2
	v_add_co_u32 v1, s1, v1, 16
	v_add_co_ci_u32_e64 v2, null, 0, v2, s1
	v_cmp_gt_i64_e64 s1, s[14:15], v[1:2]
	s_and_b32 exec_lo, exec_lo, s1
	s_cbranch_execz .LBB142_33
; %bb.29:
	s_lshl_b64 s[2:3], s[48:49], 8
	v_add_co_u32 v0, s1, v0, s2
	v_add_co_ci_u32_e64 v1, null, s3, v23, s1
	s_lshl_b64 s[2:3], s[6:7], 8
	v_add_co_u32 v2, s1, v24, s2
	v_add_co_ci_u32_e64 v15, null, s3, v25, s1
	v_add_co_u32 v5, s1, v0, v3
	v_add_co_ci_u32_e64 v6, null, v1, v4, s1
	;; [unrolled: 2-line block ×3, first 2 shown]
	s_and_saveexec_b32 s1, vcc_lo
	s_cbranch_execz .LBB142_31
; %bb.30:
	global_load_dwordx4 v[15:18], v[5:6], off
	v_mul_f64 v[2:3], s[20:21], v[13:14]
	v_mul_f64 v[13:14], s[18:19], v[13:14]
	v_fma_f64 v[2:3], s[18:19], v[11:12], -v[2:3]
	v_fma_f64 v[13:14], s[20:21], v[11:12], v[13:14]
	s_waitcnt vmcnt(0)
	v_mul_f64 v[19:20], s[44:45], v[17:18]
	v_mul_f64 v[17:18], s[42:43], v[17:18]
	v_fma_f64 v[11:12], s[42:43], v[15:16], -v[19:20]
	v_fma_f64 v[15:16], s[44:45], v[15:16], v[17:18]
	v_add_f64 v[11:12], v[2:3], v[11:12]
	v_add_f64 v[13:14], v[13:14], v[15:16]
	global_store_dwordx4 v[0:1], v[11:14], off
.LBB142_31:
	s_or_b32 exec_lo, exec_lo, s1
	s_and_b32 exec_lo, exec_lo, s0
	s_cbranch_execz .LBB142_33
; %bb.32:
	global_load_dwordx4 v[2:5], v[5:6], off offset:256
	v_mul_f64 v[11:12], s[20:21], v[9:10]
	v_mul_f64 v[9:10], s[18:19], v[9:10]
	v_fma_f64 v[11:12], s[18:19], v[7:8], -v[11:12]
	v_fma_f64 v[6:7], s[20:21], v[7:8], v[9:10]
	s_waitcnt vmcnt(0)
	v_mul_f64 v[13:14], s[44:45], v[4:5]
	v_mul_f64 v[4:5], s[42:43], v[4:5]
	v_fma_f64 v[8:9], s[42:43], v[2:3], -v[13:14]
	v_fma_f64 v[4:5], s[44:45], v[2:3], v[4:5]
	v_add_f64 v[2:3], v[11:12], v[8:9]
	v_add_f64 v[4:5], v[6:7], v[4:5]
	global_store_dwordx4 v[0:1], v[2:5], off offset:256
.LBB142_33:
	s_endpgm
	.section	.rodata,"a",@progbits
	.p2align	6, 0x0
	.amdhsa_kernel _ZN12_GLOBAL__N_135rocblas_gemm_batched_general_kernelI19rocblas_complex_numIdELi16ELi16ELi32ELi32ELi8ELi32ELi8ELi8ELi32ELc67ELc84EKS2_S3_S2_EEvlllT_PT11_llS6_llS4_PT12_llPT13_lli
		.amdhsa_group_segment_fixed_size 8192
		.amdhsa_private_segment_fixed_size 0
		.amdhsa_kernarg_size 156
		.amdhsa_user_sgpr_count 6
		.amdhsa_user_sgpr_private_segment_buffer 1
		.amdhsa_user_sgpr_dispatch_ptr 0
		.amdhsa_user_sgpr_queue_ptr 0
		.amdhsa_user_sgpr_kernarg_segment_ptr 1
		.amdhsa_user_sgpr_dispatch_id 0
		.amdhsa_user_sgpr_flat_scratch_init 0
		.amdhsa_user_sgpr_private_segment_size 0
		.amdhsa_wavefront_size32 1
		.amdhsa_uses_dynamic_stack 0
		.amdhsa_system_sgpr_private_segment_wavefront_offset 0
		.amdhsa_system_sgpr_workgroup_id_x 1
		.amdhsa_system_sgpr_workgroup_id_y 1
		.amdhsa_system_sgpr_workgroup_id_z 1
		.amdhsa_system_sgpr_workgroup_info 0
		.amdhsa_system_vgpr_workitem_id 1
		.amdhsa_next_free_vgpr 127
		.amdhsa_next_free_sgpr 52
		.amdhsa_reserve_vcc 1
		.amdhsa_reserve_flat_scratch 0
		.amdhsa_float_round_mode_32 0
		.amdhsa_float_round_mode_16_64 0
		.amdhsa_float_denorm_mode_32 3
		.amdhsa_float_denorm_mode_16_64 3
		.amdhsa_dx10_clamp 1
		.amdhsa_ieee_mode 1
		.amdhsa_fp16_overflow 0
		.amdhsa_workgroup_processor_mode 1
		.amdhsa_memory_ordered 1
		.amdhsa_forward_progress 1
		.amdhsa_shared_vgpr_count 0
		.amdhsa_exception_fp_ieee_invalid_op 0
		.amdhsa_exception_fp_denorm_src 0
		.amdhsa_exception_fp_ieee_div_zero 0
		.amdhsa_exception_fp_ieee_overflow 0
		.amdhsa_exception_fp_ieee_underflow 0
		.amdhsa_exception_fp_ieee_inexact 0
		.amdhsa_exception_int_div_zero 0
	.end_amdhsa_kernel
	.section	.text._ZN12_GLOBAL__N_135rocblas_gemm_batched_general_kernelI19rocblas_complex_numIdELi16ELi16ELi32ELi32ELi8ELi32ELi8ELi8ELi32ELc67ELc84EKS2_S3_S2_EEvlllT_PT11_llS6_llS4_PT12_llPT13_lli,"axG",@progbits,_ZN12_GLOBAL__N_135rocblas_gemm_batched_general_kernelI19rocblas_complex_numIdELi16ELi16ELi32ELi32ELi8ELi32ELi8ELi8ELi32ELc67ELc84EKS2_S3_S2_EEvlllT_PT11_llS6_llS4_PT12_llPT13_lli,comdat
.Lfunc_end142:
	.size	_ZN12_GLOBAL__N_135rocblas_gemm_batched_general_kernelI19rocblas_complex_numIdELi16ELi16ELi32ELi32ELi8ELi32ELi8ELi8ELi32ELc67ELc84EKS2_S3_S2_EEvlllT_PT11_llS6_llS4_PT12_llPT13_lli, .Lfunc_end142-_ZN12_GLOBAL__N_135rocblas_gemm_batched_general_kernelI19rocblas_complex_numIdELi16ELi16ELi32ELi32ELi8ELi32ELi8ELi8ELi32ELc67ELc84EKS2_S3_S2_EEvlllT_PT11_llS6_llS4_PT12_llPT13_lli
                                        ; -- End function
	.set _ZN12_GLOBAL__N_135rocblas_gemm_batched_general_kernelI19rocblas_complex_numIdELi16ELi16ELi32ELi32ELi8ELi32ELi8ELi8ELi32ELc67ELc84EKS2_S3_S2_EEvlllT_PT11_llS6_llS4_PT12_llPT13_lli.num_vgpr, 127
	.set _ZN12_GLOBAL__N_135rocblas_gemm_batched_general_kernelI19rocblas_complex_numIdELi16ELi16ELi32ELi32ELi8ELi32ELi8ELi8ELi32ELc67ELc84EKS2_S3_S2_EEvlllT_PT11_llS6_llS4_PT12_llPT13_lli.num_agpr, 0
	.set _ZN12_GLOBAL__N_135rocblas_gemm_batched_general_kernelI19rocblas_complex_numIdELi16ELi16ELi32ELi32ELi8ELi32ELi8ELi8ELi32ELc67ELc84EKS2_S3_S2_EEvlllT_PT11_llS6_llS4_PT12_llPT13_lli.numbered_sgpr, 52
	.set _ZN12_GLOBAL__N_135rocblas_gemm_batched_general_kernelI19rocblas_complex_numIdELi16ELi16ELi32ELi32ELi8ELi32ELi8ELi8ELi32ELc67ELc84EKS2_S3_S2_EEvlllT_PT11_llS6_llS4_PT12_llPT13_lli.num_named_barrier, 0
	.set _ZN12_GLOBAL__N_135rocblas_gemm_batched_general_kernelI19rocblas_complex_numIdELi16ELi16ELi32ELi32ELi8ELi32ELi8ELi8ELi32ELc67ELc84EKS2_S3_S2_EEvlllT_PT11_llS6_llS4_PT12_llPT13_lli.private_seg_size, 0
	.set _ZN12_GLOBAL__N_135rocblas_gemm_batched_general_kernelI19rocblas_complex_numIdELi16ELi16ELi32ELi32ELi8ELi32ELi8ELi8ELi32ELc67ELc84EKS2_S3_S2_EEvlllT_PT11_llS6_llS4_PT12_llPT13_lli.uses_vcc, 1
	.set _ZN12_GLOBAL__N_135rocblas_gemm_batched_general_kernelI19rocblas_complex_numIdELi16ELi16ELi32ELi32ELi8ELi32ELi8ELi8ELi32ELc67ELc84EKS2_S3_S2_EEvlllT_PT11_llS6_llS4_PT12_llPT13_lli.uses_flat_scratch, 0
	.set _ZN12_GLOBAL__N_135rocblas_gemm_batched_general_kernelI19rocblas_complex_numIdELi16ELi16ELi32ELi32ELi8ELi32ELi8ELi8ELi32ELc67ELc84EKS2_S3_S2_EEvlllT_PT11_llS6_llS4_PT12_llPT13_lli.has_dyn_sized_stack, 0
	.set _ZN12_GLOBAL__N_135rocblas_gemm_batched_general_kernelI19rocblas_complex_numIdELi16ELi16ELi32ELi32ELi8ELi32ELi8ELi8ELi32ELc67ELc84EKS2_S3_S2_EEvlllT_PT11_llS6_llS4_PT12_llPT13_lli.has_recursion, 0
	.set _ZN12_GLOBAL__N_135rocblas_gemm_batched_general_kernelI19rocblas_complex_numIdELi16ELi16ELi32ELi32ELi8ELi32ELi8ELi8ELi32ELc67ELc84EKS2_S3_S2_EEvlllT_PT11_llS6_llS4_PT12_llPT13_lli.has_indirect_call, 0
	.section	.AMDGPU.csdata,"",@progbits
; Kernel info:
; codeLenInByte = 4060
; TotalNumSgprs: 54
; NumVgprs: 127
; ScratchSize: 0
; MemoryBound: 1
; FloatMode: 240
; IeeeMode: 1
; LDSByteSize: 8192 bytes/workgroup (compile time only)
; SGPRBlocks: 0
; VGPRBlocks: 15
; NumSGPRsForWavesPerEU: 54
; NumVGPRsForWavesPerEU: 127
; Occupancy: 8
; WaveLimiterHint : 0
; COMPUTE_PGM_RSRC2:SCRATCH_EN: 0
; COMPUTE_PGM_RSRC2:USER_SGPR: 6
; COMPUTE_PGM_RSRC2:TRAP_HANDLER: 0
; COMPUTE_PGM_RSRC2:TGID_X_EN: 1
; COMPUTE_PGM_RSRC2:TGID_Y_EN: 1
; COMPUTE_PGM_RSRC2:TGID_Z_EN: 1
; COMPUTE_PGM_RSRC2:TIDIG_COMP_CNT: 1
	.section	.text._ZN12_GLOBAL__N_135rocblas_gemm_batched_general_kernelI19rocblas_complex_numIdELi16ELi16ELi32ELi32ELi8ELi32ELi8ELi8ELi32ELc78ELc67EKS2_S3_S2_EEvlllT_PT11_llS6_llS4_PT12_llPT13_lli,"axG",@progbits,_ZN12_GLOBAL__N_135rocblas_gemm_batched_general_kernelI19rocblas_complex_numIdELi16ELi16ELi32ELi32ELi8ELi32ELi8ELi8ELi32ELc78ELc67EKS2_S3_S2_EEvlllT_PT11_llS6_llS4_PT12_llPT13_lli,comdat
	.globl	_ZN12_GLOBAL__N_135rocblas_gemm_batched_general_kernelI19rocblas_complex_numIdELi16ELi16ELi32ELi32ELi8ELi32ELi8ELi8ELi32ELc78ELc67EKS2_S3_S2_EEvlllT_PT11_llS6_llS4_PT12_llPT13_lli ; -- Begin function _ZN12_GLOBAL__N_135rocblas_gemm_batched_general_kernelI19rocblas_complex_numIdELi16ELi16ELi32ELi32ELi8ELi32ELi8ELi8ELi32ELc78ELc67EKS2_S3_S2_EEvlllT_PT11_llS6_llS4_PT12_llPT13_lli
	.p2align	8
	.type	_ZN12_GLOBAL__N_135rocblas_gemm_batched_general_kernelI19rocblas_complex_numIdELi16ELi16ELi32ELi32ELi8ELi32ELi8ELi8ELi32ELc78ELc67EKS2_S3_S2_EEvlllT_PT11_llS6_llS4_PT12_llPT13_lli,@function
_ZN12_GLOBAL__N_135rocblas_gemm_batched_general_kernelI19rocblas_complex_numIdELi16ELi16ELi32ELi32ELi8ELi32ELi8ELi8ELi32ELc78ELc67EKS2_S3_S2_EEvlllT_PT11_llS6_llS4_PT12_llPT13_lli: ; @_ZN12_GLOBAL__N_135rocblas_gemm_batched_general_kernelI19rocblas_complex_numIdELi16ELi16ELi32ELi32ELi8ELi32ELi8ELi8ELi32ELc78ELc67EKS2_S3_S2_EEvlllT_PT11_llS6_llS4_PT12_llPT13_lli
; %bb.0:
	s_clause 0x1
	s_load_dwordx16 s[12:27], s[4:5], 0x0
	s_load_dwordx16 s[36:51], s[4:5], 0x40
	s_mov_b32 s28, s7
	v_mov_b32_e32 v2, 0
	s_ashr_i32 s7, s6, 31
	s_ashr_i32 s29, s28, 31
	s_lshl_b64 s[10:11], s[6:7], 5
	s_lshl_b64 s[2:3], s[28:29], 5
	s_waitcnt lgkmcnt(0)
	v_cmp_lt_i64_e64 s0, s[16:17], 1
	s_and_b32 vcc_lo, exec_lo, s0
	s_cbranch_vccnz .LBB143_9
; %bb.1:
	v_lshl_add_u32 v3, v1, 4, v0
	v_and_b32_e32 v27, 7, v0
	v_mov_b32_e32 v4, s11
	s_mul_i32 s1, s41, s8
	s_mul_hi_u32 s9, s40, s8
	v_lshrrev_b32_e32 v9, 3, v3
	v_and_b32_e32 v10, 31, v3
	v_mad_u64_u32 v[5:6], null, s38, v27, 0
	v_lshrrev_b32_e32 v28, 5, v3
	v_add_co_u32 v7, s0, v9, s2
	v_or_b32_e32 v3, s10, v10
	v_add_co_ci_u32_e64 v8, null, 0, s3, s0
	s_add_i32 s31, s9, s1
	s_mul_i32 s30, s40, s8
	v_cmp_gt_i64_e32 vcc_lo, s[12:13], v[3:4]
	v_mad_u64_u32 v[3:4], null, s39, v27, v[6:7]
	v_cmp_gt_i64_e64 s0, s[14:15], v[7:8]
	v_mad_u64_u32 v[7:8], null, s24, v28, 0
	s_lshl_b64 s[30:31], s[30:31], 4
	s_lshl_b64 s[28:29], s[28:29], 9
	v_lshlrev_b32_e32 v10, 4, v10
	v_mov_b32_e32 v6, v3
	s_add_u32 s1, s28, s30
	s_addc_u32 s9, s29, s31
	s_lshl_b64 s[28:29], s[6:7], 9
	s_lshl_b64 s[6:7], s[38:39], 7
	v_lshlrev_b64 v[3:4], 4, v[5:6]
	v_mov_b32_e32 v5, v8
	v_lshlrev_b32_e32 v8, 4, v9
	v_lshlrev_b32_e32 v11, 4, v27
	v_lshl_or_b32 v29, v28, 9, v10
	v_mov_b32_e32 v13, 0
	v_mad_u64_u32 v[5:6], null, s25, v28, v[5:6]
	v_add_co_u32 v3, s1, s1, v3
	v_add_co_ci_u32_e64 v4, null, s9, v4, s1
	s_mul_i32 s9, s27, s8
	v_add_co_u32 v3, s1, v3, v8
	v_add_co_ci_u32_e64 v4, null, 0, v4, s1
	v_mov_b32_e32 v8, v5
	s_mul_hi_u32 s27, s26, s8
	v_add_co_u32 v5, s1, s36, v3
	v_add_co_ci_u32_e64 v6, null, s37, v4, s1
	s_add_i32 s27, s27, s9
	s_mul_i32 s26, s26, s8
	v_lshlrev_b64 v[3:4], 4, v[7:8]
	s_lshl_b64 s[26:27], s[26:27], 4
	v_lshl_or_b32 v11, v9, 7, v11
	s_add_u32 s1, s28, s26
	s_addc_u32 s9, s29, s27
	v_mov_b32_e32 v7, 0
	v_add_co_u32 v3, s1, s1, v3
	v_add_co_ci_u32_e64 v4, null, s9, v4, s1
	v_add_co_u32 v23, s1, v5, 8
	v_add_co_ci_u32_e64 v24, null, 0, v6, s1
	v_add_co_u32 v3, s1, v3, v10
	v_add_co_ci_u32_e64 v4, null, 0, v4, s1
	v_add_nc_u32_e32 v30, 0x1000, v11
	v_add_co_u32 v25, s1, s22, v3
	v_mov_b32_e32 v9, 0
	v_mov_b32_e32 v11, 0
	;; [unrolled: 1-line block ×6, first 2 shown]
	v_lshlrev_b32_e32 v31, 4, v0
	v_lshl_add_u32 v32, v1, 7, 0x1000
	v_mov_b32_e32 v10, 0
	v_mov_b32_e32 v8, 0
	;; [unrolled: 1-line block ×8, first 2 shown]
	v_add_co_ci_u32_e64 v26, null, s23, v4, s1
	s_lshl_b64 s[22:23], s[24:25], 7
	s_mov_b64 s[24:25], 0
	s_xor_b32 s1, vcc_lo, -1
	s_branch .LBB143_3
.LBB143_2:                              ;   in Loop: Header=BB143_3 Depth=1
	s_or_b32 exec_lo, exec_lo, s9
	ds_write_b128 v30, v[3:6]
	s_waitcnt lgkmcnt(0)
	s_barrier
	buffer_gl0_inv
	ds_read_b128 v[3:6], v32
	ds_read_b128 v[33:36], v31
	ds_read_b128 v[37:40], v31 offset:256
	ds_read_b128 v[41:44], v32 offset:2048
	;; [unrolled: 1-line block ×12, first 2 shown]
	s_add_u32 s24, s24, 8
	s_addc_u32 s25, s25, 0
	v_add_co_u32 v23, vcc_lo, v23, s6
	v_cmp_lt_i64_e64 s9, s[24:25], s[16:17]
	v_add_co_ci_u32_e64 v24, null, s7, v24, vcc_lo
	s_waitcnt lgkmcnt(12)
	v_mul_f64 v[85:86], v[5:6], v[35:36]
	v_mul_f64 v[87:88], v[3:4], v[35:36]
	s_waitcnt lgkmcnt(11)
	v_mul_f64 v[89:90], v[5:6], v[39:40]
	v_mul_f64 v[91:92], v[3:4], v[39:40]
	;; [unrolled: 3-line block ×3, first 2 shown]
	v_mul_f64 v[95:96], v[43:44], v[39:40]
	v_mul_f64 v[39:40], v[41:42], v[39:40]
	s_waitcnt lgkmcnt(8)
	v_mul_f64 v[97:98], v[47:48], v[51:52]
	v_mul_f64 v[99:100], v[45:46], v[51:52]
	s_waitcnt lgkmcnt(7)
	;; [unrolled: 3-line block ×3, first 2 shown]
	v_mul_f64 v[105:106], v[59:60], v[51:52]
	v_mul_f64 v[51:52], v[57:58], v[51:52]
	;; [unrolled: 1-line block ×4, first 2 shown]
	s_waitcnt lgkmcnt(4)
	v_mul_f64 v[109:110], v[63:64], v[67:68]
	v_mul_f64 v[111:112], v[61:62], v[67:68]
	s_waitcnt lgkmcnt(3)
	v_mul_f64 v[113:114], v[63:64], v[71:72]
	v_mul_f64 v[115:116], v[61:62], v[71:72]
	;; [unrolled: 3-line block ×3, first 2 shown]
	v_fma_f64 v[85:86], v[3:4], v[33:34], -v[85:86]
	v_fma_f64 v[87:88], v[5:6], v[33:34], v[87:88]
	v_fma_f64 v[89:90], v[3:4], v[37:38], -v[89:90]
	v_fma_f64 v[91:92], v[5:6], v[37:38], v[91:92]
	;; [unrolled: 2-line block ×4, first 2 shown]
	v_mul_f64 v[123:124], v[75:76], v[71:72]
	v_mul_f64 v[71:72], v[73:74], v[71:72]
	ds_read_b128 v[3:6], v31 offset:1536
	ds_read_b128 v[33:36], v31 offset:1792
	v_fma_f64 v[97:98], v[45:46], v[49:50], -v[97:98]
	v_fma_f64 v[99:100], v[47:48], v[49:50], v[99:100]
	v_fma_f64 v[101:102], v[45:46], v[53:54], -v[101:102]
	v_fma_f64 v[103:104], v[47:48], v[53:54], v[103:104]
	;; [unrolled: 2-line block ×7, first 2 shown]
	v_add_f64 v[19:20], v[19:20], v[85:86]
	v_add_f64 v[21:22], v[87:88], v[21:22]
	;; [unrolled: 1-line block ×4, first 2 shown]
	s_waitcnt lgkmcnt(1)
	v_mul_f64 v[109:110], v[79:80], v[5:6]
	s_waitcnt lgkmcnt(0)
	v_mul_f64 v[67:68], v[79:80], v[35:36]
	v_fma_f64 v[73:74], v[73:74], v[69:70], -v[123:124]
	v_fma_f64 v[69:70], v[75:76], v[69:70], v[71:72]
	v_add_f64 v[71:72], v[11:12], v[93:94]
	v_add_f64 v[13:14], v[119:120], v[13:14]
	v_add_f64 v[75:76], v[7:8], v[95:96]
	v_add_f64 v[85:86], v[121:122], v[9:10]
	ds_read_b128 v[37:40], v32 offset:64
	ds_read_b128 v[41:44], v31 offset:2048
	;; [unrolled: 1-line block ×3, first 2 shown]
	v_mul_f64 v[111:112], v[77:78], v[5:6]
	v_mul_f64 v[113:114], v[77:78], v[35:36]
	;; [unrolled: 1-line block ×6, first 2 shown]
	ds_read_b128 v[49:52], v32 offset:2112
	ds_read_b128 v[9:12], v32 offset:2128
	v_add_f64 v[97:98], v[19:20], v[97:98]
	v_add_f64 v[21:22], v[99:100], v[21:22]
	;; [unrolled: 1-line block ×4, first 2 shown]
	v_fma_f64 v[89:90], v[77:78], v[3:4], -v[109:110]
	v_fma_f64 v[67:68], v[77:78], v[33:34], -v[67:68]
	ds_read_b128 v[5:8], v32 offset:80
	ds_read_b128 v[17:20], v31 offset:2816
	v_add_f64 v[71:72], v[71:72], v[105:106]
	v_add_f64 v[103:104], v[125:126], v[13:14]
	s_waitcnt lgkmcnt(5)
	v_mul_f64 v[77:78], v[39:40], v[43:44]
	v_mul_f64 v[93:94], v[37:38], v[43:44]
	v_add_f64 v[57:58], v[75:76], v[57:58]
	v_add_f64 v[53:54], v[53:54], v[85:86]
	ds_read_b128 v[13:16], v31 offset:2560
	s_waitcnt lgkmcnt(5)
	v_mul_f64 v[95:96], v[39:40], v[47:48]
	v_mul_f64 v[109:110], v[37:38], v[47:48]
	v_fma_f64 v[91:92], v[79:80], v[3:4], v[111:112]
	v_fma_f64 v[79:80], v[79:80], v[33:34], v[113:114]
	s_waitcnt lgkmcnt(4)
	v_mul_f64 v[111:112], v[51:52], v[43:44]
	v_mul_f64 v[43:44], v[49:50], v[43:44]
	v_fma_f64 v[75:76], v[81:82], v[3:4], -v[115:116]
	v_fma_f64 v[3:4], v[83:84], v[3:4], v[117:118]
	v_fma_f64 v[81:82], v[81:82], v[33:34], -v[87:88]
	v_fma_f64 v[83:84], v[83:84], v[33:34], v[35:36]
	v_add_f64 v[55:56], v[97:98], v[55:56]
	v_add_f64 v[59:60], v[59:60], v[21:22]
	;; [unrolled: 1-line block ×4, first 2 shown]
	s_waitcnt lgkmcnt(1)
	v_mul_f64 v[97:98], v[7:8], v[19:20]
	v_add_f64 v[71:72], v[71:72], v[107:108]
	v_add_f64 v[65:66], v[65:66], v[103:104]
	v_fma_f64 v[77:78], v[37:38], v[41:42], -v[77:78]
	v_fma_f64 v[85:86], v[39:40], v[41:42], v[93:94]
	v_add_f64 v[57:58], v[57:58], v[73:74]
	v_add_f64 v[53:54], v[69:70], v[53:54]
	s_waitcnt lgkmcnt(0)
	v_mul_f64 v[69:70], v[7:8], v[15:16]
	v_fma_f64 v[87:88], v[37:38], v[45:46], -v[95:96]
	v_fma_f64 v[93:94], v[39:40], v[45:46], v[109:110]
	v_mul_f64 v[37:38], v[51:52], v[47:48]
	v_mul_f64 v[39:40], v[49:50], v[47:48]
	v_fma_f64 v[47:48], v[49:50], v[41:42], -v[111:112]
	v_fma_f64 v[95:96], v[51:52], v[41:42], v[43:44]
	v_mul_f64 v[73:74], v[5:6], v[15:16]
	v_mul_f64 v[99:100], v[5:6], v[19:20]
	;; [unrolled: 1-line block ×6, first 2 shown]
	ds_read_b128 v[19:22], v32 offset:96
	ds_read_b128 v[33:36], v31 offset:3072
	v_add_co_u32 v25, vcc_lo, v25, s22
	v_add_co_ci_u32_e64 v26, null, s23, v26, vcc_lo
	v_add_f64 v[65:66], v[3:4], v[65:66]
	s_and_b32 vcc_lo, exec_lo, s9
	v_add_f64 v[57:58], v[57:58], v[81:82]
	v_add_f64 v[53:54], v[83:84], v[53:54]
	v_fma_f64 v[49:50], v[49:50], v[45:46], -v[37:38]
	v_fma_f64 v[45:46], v[51:52], v[45:46], v[39:40]
	v_add_f64 v[51:52], v[55:56], v[89:90]
	v_add_f64 v[55:56], v[91:92], v[59:60]
	;; [unrolled: 1-line block ×5, first 2 shown]
	ds_read_b128 v[37:40], v31 offset:3328
	ds_read_b128 v[41:44], v32 offset:2144
	v_fma_f64 v[67:68], v[5:6], v[13:14], -v[69:70]
	v_fma_f64 v[69:70], v[7:8], v[13:14], v[73:74]
	v_fma_f64 v[71:72], v[5:6], v[17:18], -v[97:98]
	v_fma_f64 v[73:74], v[7:8], v[17:18], v[99:100]
	;; [unrolled: 2-line block ×3, first 2 shown]
	v_fma_f64 v[81:82], v[9:10], v[17:18], -v[103:104]
	s_waitcnt lgkmcnt(2)
	v_mul_f64 v[83:84], v[21:22], v[35:36]
	v_fma_f64 v[89:90], v[11:12], v[17:18], v[105:106]
	v_mul_f64 v[91:92], v[19:20], v[35:36]
	ds_read_b128 v[3:6], v32 offset:112
	ds_read_b128 v[7:10], v32 offset:2160
	;; [unrolled: 1-line block ×4, first 2 shown]
	s_waitcnt lgkmcnt(0)
	v_add_f64 v[49:50], v[57:58], v[49:50]
	v_add_f64 v[45:46], v[45:46], v[53:54]
	;; [unrolled: 1-line block ×4, first 2 shown]
	v_mul_f64 v[97:98], v[21:22], v[39:40]
	v_mul_f64 v[99:100], v[19:20], v[39:40]
	;; [unrolled: 1-line block ×4, first 2 shown]
	v_add_f64 v[59:60], v[59:60], v[87:88]
	v_add_f64 v[61:62], v[93:94], v[61:62]
	;; [unrolled: 1-line block ×4, first 2 shown]
	v_mul_f64 v[53:54], v[43:44], v[39:40]
	v_mul_f64 v[39:40], v[41:42], v[39:40]
	s_barrier
	v_fma_f64 v[57:58], v[19:20], v[33:34], -v[83:84]
	buffer_gl0_inv
	v_fma_f64 v[65:66], v[21:22], v[33:34], v[91:92]
	v_add_f64 v[49:50], v[49:50], v[81:82]
	v_add_f64 v[45:46], v[89:90], v[45:46]
	v_fma_f64 v[19:20], v[19:20], v[37:38], -v[97:98]
	v_fma_f64 v[21:22], v[21:22], v[37:38], v[99:100]
	v_fma_f64 v[77:78], v[41:42], v[33:34], -v[101:102]
	v_fma_f64 v[33:34], v[43:44], v[33:34], v[35:36]
	v_add_f64 v[35:36], v[51:52], v[67:68]
	v_add_f64 v[51:52], v[69:70], v[55:56]
	;; [unrolled: 1-line block ×6, first 2 shown]
	v_fma_f64 v[41:42], v[41:42], v[37:38], -v[53:54]
	v_fma_f64 v[37:38], v[43:44], v[37:38], v[39:40]
	v_mul_f64 v[39:40], v[5:6], v[13:14]
	v_mul_f64 v[43:44], v[3:4], v[13:14]
	v_mul_f64 v[53:54], v[5:6], v[17:18]
	v_mul_f64 v[63:64], v[3:4], v[17:18]
	v_mul_f64 v[67:68], v[9:10], v[13:14]
	v_mul_f64 v[13:14], v[7:8], v[13:14]
	v_mul_f64 v[69:70], v[9:10], v[17:18]
	v_mul_f64 v[17:18], v[7:8], v[17:18]
	v_add_f64 v[35:36], v[35:36], v[57:58]
	v_add_f64 v[51:52], v[65:66], v[51:52]
	;; [unrolled: 1-line block ×8, first 2 shown]
	v_fma_f64 v[19:20], v[3:4], v[11:12], -v[39:40]
	v_fma_f64 v[21:22], v[5:6], v[11:12], v[43:44]
	v_fma_f64 v[3:4], v[3:4], v[15:16], -v[53:54]
	v_fma_f64 v[5:6], v[5:6], v[15:16], v[63:64]
	;; [unrolled: 2-line block ×4, first 2 shown]
	v_add_f64 v[19:20], v[35:36], v[19:20]
	v_add_f64 v[21:22], v[21:22], v[51:52]
	v_add_f64 v[15:16], v[55:56], v[3:4]
	v_add_f64 v[17:18], v[5:6], v[57:58]
	v_add_f64 v[11:12], v[47:48], v[39:40]
	v_add_f64 v[13:14], v[13:14], v[33:34]
	v_add_f64 v[7:8], v[41:42], v[7:8]
	v_add_f64 v[9:10], v[9:10], v[37:38]
	s_cbranch_vccz .LBB143_10
.LBB143_3:                              ; =>This Inner Loop Header: Depth=1
	v_add_co_u32 v3, s9, v28, s24
	v_add_co_ci_u32_e64 v4, null, 0, s25, s9
	v_cmp_le_i64_e32 vcc_lo, s[16:17], v[3:4]
	s_or_b32 s9, s1, vcc_lo
	s_and_saveexec_b32 s26, s9
	s_xor_b32 s9, exec_lo, s26
	s_cbranch_execz .LBB143_5
; %bb.4:                                ;   in Loop: Header=BB143_3 Depth=1
	v_mov_b32_e32 v3, v2
	v_mov_b32_e32 v4, v2
	;; [unrolled: 1-line block ×3, first 2 shown]
	ds_write_b128 v29, v[2:5]
.LBB143_5:                              ;   in Loop: Header=BB143_3 Depth=1
	s_andn2_saveexec_b32 s9, s9
	s_cbranch_execz .LBB143_7
; %bb.6:                                ;   in Loop: Header=BB143_3 Depth=1
	global_load_dwordx4 v[3:6], v[25:26], off
	s_waitcnt vmcnt(0)
	ds_write2_b64 v29, v[3:4], v[5:6] offset1:1
.LBB143_7:                              ;   in Loop: Header=BB143_3 Depth=1
	s_or_b32 exec_lo, exec_lo, s9
	v_add_co_u32 v3, s9, v27, s24
	v_add_co_ci_u32_e64 v4, null, 0, s25, s9
	v_mov_b32_e32 v5, 0
	v_mov_b32_e32 v6, 0
	v_cmp_gt_i64_e32 vcc_lo, s[16:17], v[3:4]
	v_mov_b32_e32 v3, 0
	v_mov_b32_e32 v4, 0
	s_and_b32 s26, vcc_lo, s0
	s_and_saveexec_b32 s9, s26
	s_cbranch_execz .LBB143_2
; %bb.8:                                ;   in Loop: Header=BB143_3 Depth=1
	global_load_dwordx4 v[3:6], v[23:24], off offset:-8
	s_waitcnt vmcnt(0)
	v_xor_b32_e32 v6, 0x80000000, v6
	s_branch .LBB143_2
.LBB143_9:
	v_mov_b32_e32 v19, 0
	v_mov_b32_e32 v21, 0
	;; [unrolled: 1-line block ×16, first 2 shown]
.LBB143_10:
	s_clause 0x1
	s_load_dwordx2 s[0:1], s[4:5], 0x90
	s_load_dwordx4 s[4:7], s[4:5], 0x80
	v_cmp_neq_f64_e64 s9, s[42:43], 0
	v_cmp_neq_f64_e64 s16, s[44:45], 0
	v_add_co_u32 v1, s2, s2, v1
	v_add_co_ci_u32_e64 v2, null, s3, 0, s2
	s_waitcnt lgkmcnt(0)
	s_mul_i32 s1, s1, s8
	s_mul_hi_u32 s17, s0, s8
	s_mul_i32 s0, s0, s8
	s_add_i32 s1, s17, s1
	s_lshl_b64 s[0:1], s[0:1], 4
	s_add_u32 s3, s4, s0
	v_cmp_gt_i64_e64 s0, s[14:15], v[1:2]
	s_addc_u32 s4, s5, s1
	s_or_b32 s1, s9, s16
	s_and_b32 vcc_lo, exec_lo, s1
	s_mov_b32 s1, -1
	s_cbranch_vccnz .LBB143_22
; %bb.11:
	s_and_saveexec_b32 s5, s0
	s_cbranch_execz .LBB143_21
; %bb.12:
	v_mul_lo_u32 v5, v2, s6
	v_mul_lo_u32 v6, v1, s7
	v_mad_u64_u32 v[3:4], null, v1, s6, 0
	v_add3_u32 v4, v4, v6, v5
	v_add_co_u32 v5, s1, s10, v0
	v_add_co_ci_u32_e64 v6, null, s11, 0, s1
	v_lshlrev_b64 v[23:24], 4, v[3:4]
	v_cmp_gt_i64_e32 vcc_lo, s[12:13], v[5:6]
	v_lshlrev_b64 v[3:4], 4, v[5:6]
	v_add_co_u32 v23, s1, s3, v23
	v_add_co_ci_u32_e64 v24, null, s4, v24, s1
	s_and_saveexec_b32 s2, vcc_lo
	s_cbranch_execz .LBB143_14
; %bb.13:
	v_mul_f64 v[25:26], s[20:21], v[21:22]
	v_mul_f64 v[27:28], s[18:19], v[21:22]
	v_add_co_u32 v29, s1, v23, v3
	v_add_co_ci_u32_e64 v30, null, v24, v4, s1
	v_fma_f64 v[25:26], s[18:19], v[19:20], -v[25:26]
	v_fma_f64 v[27:28], s[20:21], v[19:20], v[27:28]
	global_store_dwordx4 v[29:30], v[25:28], off
.LBB143_14:
	s_or_b32 exec_lo, exec_lo, s2
	v_add_co_u32 v5, s1, v5, 16
	v_add_co_ci_u32_e64 v6, null, 0, v6, s1
	v_cmp_gt_i64_e64 s1, s[12:13], v[5:6]
	s_and_saveexec_b32 s9, s1
	s_cbranch_execz .LBB143_16
; %bb.15:
	v_mul_f64 v[5:6], s[20:21], v[17:18]
	v_mul_f64 v[27:28], s[18:19], v[17:18]
	v_fma_f64 v[25:26], s[18:19], v[15:16], -v[5:6]
	v_fma_f64 v[27:28], s[20:21], v[15:16], v[27:28]
	v_add_co_u32 v5, s2, v23, v3
	v_add_co_ci_u32_e64 v6, null, v24, v4, s2
	global_store_dwordx4 v[5:6], v[25:28], off offset:256
.LBB143_16:
	s_or_b32 exec_lo, exec_lo, s9
	v_add_co_u32 v5, s2, v1, 16
	v_add_co_ci_u32_e64 v6, null, 0, v2, s2
	v_cmp_gt_i64_e64 s2, s[14:15], v[5:6]
	s_and_b32 exec_lo, exec_lo, s2
	s_cbranch_execz .LBB143_21
; %bb.17:
	s_lshl_b64 s[16:17], s[6:7], 8
	v_add_co_u32 v5, s2, v23, s16
	v_add_co_ci_u32_e64 v6, null, s17, v24, s2
	v_add_co_u32 v3, s2, v5, v3
	v_add_co_ci_u32_e64 v4, null, v6, v4, s2
	s_and_saveexec_b32 s2, vcc_lo
	s_cbranch_execz .LBB143_19
; %bb.18:
	v_mul_f64 v[5:6], s[20:21], v[13:14]
	v_mul_f64 v[25:26], s[18:19], v[13:14]
	v_fma_f64 v[23:24], s[18:19], v[11:12], -v[5:6]
	v_fma_f64 v[25:26], s[20:21], v[11:12], v[25:26]
	global_store_dwordx4 v[3:4], v[23:26], off
.LBB143_19:
	s_or_b32 exec_lo, exec_lo, s2
	s_and_b32 exec_lo, exec_lo, s1
	s_cbranch_execz .LBB143_21
; %bb.20:
	v_mul_f64 v[5:6], s[20:21], v[9:10]
	v_mul_f64 v[25:26], s[18:19], v[9:10]
	v_fma_f64 v[23:24], s[18:19], v[7:8], -v[5:6]
	v_fma_f64 v[25:26], s[20:21], v[7:8], v[25:26]
	global_store_dwordx4 v[3:4], v[23:26], off offset:256
.LBB143_21:
	s_or_b32 exec_lo, exec_lo, s5
	s_mov_b32 s1, 0
.LBB143_22:
	s_andn2_b32 vcc_lo, exec_lo, s1
	s_cbranch_vccnz .LBB143_33
; %bb.23:
	s_and_saveexec_b32 s1, s0
	s_cbranch_execz .LBB143_33
; %bb.24:
	v_mul_lo_u32 v5, v2, s48
	v_mul_lo_u32 v6, v1, s49
	v_mad_u64_u32 v[3:4], null, v1, s48, 0
	v_mul_lo_u32 v25, v2, s6
	v_mul_lo_u32 v26, v1, s7
	v_mad_u64_u32 v[23:24], null, v1, s6, 0
	s_mul_i32 s0, s51, s8
	s_mul_hi_u32 s1, s50, s8
	v_add3_u32 v4, v4, v6, v5
	s_add_i32 s1, s1, s0
	s_mul_i32 s0, s50, s8
	v_add_co_u32 v5, s2, s10, v0
	v_add3_u32 v24, v24, v26, v25
	v_lshlrev_b64 v[3:4], 4, v[3:4]
	s_lshl_b64 s[0:1], s[0:1], 4
	v_add_co_ci_u32_e64 v6, null, s11, 0, s2
	v_lshlrev_b64 v[24:25], 4, v[23:24]
	s_add_u32 s0, s46, s0
	s_addc_u32 s1, s47, s1
	v_add_co_u32 v0, s0, s0, v3
	v_add_co_ci_u32_e64 v23, null, s1, v4, s0
	v_add_co_u32 v24, s0, s3, v24
	v_cmp_gt_i64_e32 vcc_lo, s[12:13], v[5:6]
	v_lshlrev_b64 v[3:4], 4, v[5:6]
	v_add_co_ci_u32_e64 v25, null, s4, v25, s0
	s_and_saveexec_b32 s1, vcc_lo
	s_cbranch_execz .LBB143_26
; %bb.25:
	v_add_co_u32 v26, s0, v0, v3
	v_add_co_ci_u32_e64 v27, null, v23, v4, s0
	v_mul_f64 v[30:31], s[20:21], v[21:22]
	v_mul_f64 v[21:22], s[18:19], v[21:22]
	global_load_dwordx4 v[26:29], v[26:27], off
	v_fma_f64 v[30:31], s[18:19], v[19:20], -v[30:31]
	v_fma_f64 v[21:22], s[20:21], v[19:20], v[21:22]
	s_waitcnt vmcnt(0)
	v_mul_f64 v[32:33], s[44:45], v[28:29]
	v_mul_f64 v[28:29], s[42:43], v[28:29]
	v_fma_f64 v[19:20], s[42:43], v[26:27], -v[32:33]
	v_fma_f64 v[26:27], s[44:45], v[26:27], v[28:29]
	v_add_f64 v[19:20], v[30:31], v[19:20]
	v_add_f64 v[21:22], v[21:22], v[26:27]
	v_add_co_u32 v26, s0, v24, v3
	v_add_co_ci_u32_e64 v27, null, v25, v4, s0
	global_store_dwordx4 v[26:27], v[19:22], off
.LBB143_26:
	s_or_b32 exec_lo, exec_lo, s1
	v_add_co_u32 v5, s0, v5, 16
	v_add_co_ci_u32_e64 v6, null, 0, v6, s0
	v_cmp_gt_i64_e64 s0, s[12:13], v[5:6]
	s_and_saveexec_b32 s2, s0
	s_cbranch_execz .LBB143_28
; %bb.27:
	v_add_co_u32 v5, s1, v0, v3
	v_add_co_ci_u32_e64 v6, null, v23, v4, s1
	global_load_dwordx4 v[19:22], v[5:6], off offset:256
	v_mul_f64 v[5:6], s[20:21], v[17:18]
	v_mul_f64 v[17:18], s[18:19], v[17:18]
	v_fma_f64 v[5:6], s[18:19], v[15:16], -v[5:6]
	v_fma_f64 v[17:18], s[20:21], v[15:16], v[17:18]
	s_waitcnt vmcnt(0)
	v_mul_f64 v[26:27], s[44:45], v[21:22]
	v_mul_f64 v[21:22], s[42:43], v[21:22]
	v_fma_f64 v[15:16], s[42:43], v[19:20], -v[26:27]
	v_fma_f64 v[19:20], s[44:45], v[19:20], v[21:22]
	v_add_f64 v[15:16], v[5:6], v[15:16]
	v_add_f64 v[17:18], v[17:18], v[19:20]
	v_add_co_u32 v5, s1, v24, v3
	v_add_co_ci_u32_e64 v6, null, v25, v4, s1
	global_store_dwordx4 v[5:6], v[15:18], off offset:256
.LBB143_28:
	s_or_b32 exec_lo, exec_lo, s2
	v_add_co_u32 v1, s1, v1, 16
	v_add_co_ci_u32_e64 v2, null, 0, v2, s1
	v_cmp_gt_i64_e64 s1, s[14:15], v[1:2]
	s_and_b32 exec_lo, exec_lo, s1
	s_cbranch_execz .LBB143_33
; %bb.29:
	s_lshl_b64 s[2:3], s[48:49], 8
	v_add_co_u32 v0, s1, v0, s2
	v_add_co_ci_u32_e64 v1, null, s3, v23, s1
	s_lshl_b64 s[2:3], s[6:7], 8
	v_add_co_u32 v2, s1, v24, s2
	v_add_co_ci_u32_e64 v15, null, s3, v25, s1
	v_add_co_u32 v5, s1, v0, v3
	v_add_co_ci_u32_e64 v6, null, v1, v4, s1
	;; [unrolled: 2-line block ×3, first 2 shown]
	s_and_saveexec_b32 s1, vcc_lo
	s_cbranch_execz .LBB143_31
; %bb.30:
	global_load_dwordx4 v[15:18], v[5:6], off
	v_mul_f64 v[2:3], s[20:21], v[13:14]
	v_mul_f64 v[13:14], s[18:19], v[13:14]
	v_fma_f64 v[2:3], s[18:19], v[11:12], -v[2:3]
	v_fma_f64 v[13:14], s[20:21], v[11:12], v[13:14]
	s_waitcnt vmcnt(0)
	v_mul_f64 v[19:20], s[44:45], v[17:18]
	v_mul_f64 v[17:18], s[42:43], v[17:18]
	v_fma_f64 v[11:12], s[42:43], v[15:16], -v[19:20]
	v_fma_f64 v[15:16], s[44:45], v[15:16], v[17:18]
	v_add_f64 v[11:12], v[2:3], v[11:12]
	v_add_f64 v[13:14], v[13:14], v[15:16]
	global_store_dwordx4 v[0:1], v[11:14], off
.LBB143_31:
	s_or_b32 exec_lo, exec_lo, s1
	s_and_b32 exec_lo, exec_lo, s0
	s_cbranch_execz .LBB143_33
; %bb.32:
	global_load_dwordx4 v[2:5], v[5:6], off offset:256
	v_mul_f64 v[11:12], s[20:21], v[9:10]
	v_mul_f64 v[9:10], s[18:19], v[9:10]
	v_fma_f64 v[11:12], s[18:19], v[7:8], -v[11:12]
	v_fma_f64 v[6:7], s[20:21], v[7:8], v[9:10]
	s_waitcnt vmcnt(0)
	v_mul_f64 v[13:14], s[44:45], v[4:5]
	v_mul_f64 v[4:5], s[42:43], v[4:5]
	v_fma_f64 v[8:9], s[42:43], v[2:3], -v[13:14]
	v_fma_f64 v[4:5], s[44:45], v[2:3], v[4:5]
	v_add_f64 v[2:3], v[11:12], v[8:9]
	v_add_f64 v[4:5], v[6:7], v[4:5]
	global_store_dwordx4 v[0:1], v[2:5], off offset:256
.LBB143_33:
	s_endpgm
	.section	.rodata,"a",@progbits
	.p2align	6, 0x0
	.amdhsa_kernel _ZN12_GLOBAL__N_135rocblas_gemm_batched_general_kernelI19rocblas_complex_numIdELi16ELi16ELi32ELi32ELi8ELi32ELi8ELi8ELi32ELc78ELc67EKS2_S3_S2_EEvlllT_PT11_llS6_llS4_PT12_llPT13_lli
		.amdhsa_group_segment_fixed_size 8192
		.amdhsa_private_segment_fixed_size 0
		.amdhsa_kernarg_size 156
		.amdhsa_user_sgpr_count 6
		.amdhsa_user_sgpr_private_segment_buffer 1
		.amdhsa_user_sgpr_dispatch_ptr 0
		.amdhsa_user_sgpr_queue_ptr 0
		.amdhsa_user_sgpr_kernarg_segment_ptr 1
		.amdhsa_user_sgpr_dispatch_id 0
		.amdhsa_user_sgpr_flat_scratch_init 0
		.amdhsa_user_sgpr_private_segment_size 0
		.amdhsa_wavefront_size32 1
		.amdhsa_uses_dynamic_stack 0
		.amdhsa_system_sgpr_private_segment_wavefront_offset 0
		.amdhsa_system_sgpr_workgroup_id_x 1
		.amdhsa_system_sgpr_workgroup_id_y 1
		.amdhsa_system_sgpr_workgroup_id_z 1
		.amdhsa_system_sgpr_workgroup_info 0
		.amdhsa_system_vgpr_workitem_id 1
		.amdhsa_next_free_vgpr 127
		.amdhsa_next_free_sgpr 52
		.amdhsa_reserve_vcc 1
		.amdhsa_reserve_flat_scratch 0
		.amdhsa_float_round_mode_32 0
		.amdhsa_float_round_mode_16_64 0
		.amdhsa_float_denorm_mode_32 3
		.amdhsa_float_denorm_mode_16_64 3
		.amdhsa_dx10_clamp 1
		.amdhsa_ieee_mode 1
		.amdhsa_fp16_overflow 0
		.amdhsa_workgroup_processor_mode 1
		.amdhsa_memory_ordered 1
		.amdhsa_forward_progress 1
		.amdhsa_shared_vgpr_count 0
		.amdhsa_exception_fp_ieee_invalid_op 0
		.amdhsa_exception_fp_denorm_src 0
		.amdhsa_exception_fp_ieee_div_zero 0
		.amdhsa_exception_fp_ieee_overflow 0
		.amdhsa_exception_fp_ieee_underflow 0
		.amdhsa_exception_fp_ieee_inexact 0
		.amdhsa_exception_int_div_zero 0
	.end_amdhsa_kernel
	.section	.text._ZN12_GLOBAL__N_135rocblas_gemm_batched_general_kernelI19rocblas_complex_numIdELi16ELi16ELi32ELi32ELi8ELi32ELi8ELi8ELi32ELc78ELc67EKS2_S3_S2_EEvlllT_PT11_llS6_llS4_PT12_llPT13_lli,"axG",@progbits,_ZN12_GLOBAL__N_135rocblas_gemm_batched_general_kernelI19rocblas_complex_numIdELi16ELi16ELi32ELi32ELi8ELi32ELi8ELi8ELi32ELc78ELc67EKS2_S3_S2_EEvlllT_PT11_llS6_llS4_PT12_llPT13_lli,comdat
.Lfunc_end143:
	.size	_ZN12_GLOBAL__N_135rocblas_gemm_batched_general_kernelI19rocblas_complex_numIdELi16ELi16ELi32ELi32ELi8ELi32ELi8ELi8ELi32ELc78ELc67EKS2_S3_S2_EEvlllT_PT11_llS6_llS4_PT12_llPT13_lli, .Lfunc_end143-_ZN12_GLOBAL__N_135rocblas_gemm_batched_general_kernelI19rocblas_complex_numIdELi16ELi16ELi32ELi32ELi8ELi32ELi8ELi8ELi32ELc78ELc67EKS2_S3_S2_EEvlllT_PT11_llS6_llS4_PT12_llPT13_lli
                                        ; -- End function
	.set _ZN12_GLOBAL__N_135rocblas_gemm_batched_general_kernelI19rocblas_complex_numIdELi16ELi16ELi32ELi32ELi8ELi32ELi8ELi8ELi32ELc78ELc67EKS2_S3_S2_EEvlllT_PT11_llS6_llS4_PT12_llPT13_lli.num_vgpr, 127
	.set _ZN12_GLOBAL__N_135rocblas_gemm_batched_general_kernelI19rocblas_complex_numIdELi16ELi16ELi32ELi32ELi8ELi32ELi8ELi8ELi32ELc78ELc67EKS2_S3_S2_EEvlllT_PT11_llS6_llS4_PT12_llPT13_lli.num_agpr, 0
	.set _ZN12_GLOBAL__N_135rocblas_gemm_batched_general_kernelI19rocblas_complex_numIdELi16ELi16ELi32ELi32ELi8ELi32ELi8ELi8ELi32ELc78ELc67EKS2_S3_S2_EEvlllT_PT11_llS6_llS4_PT12_llPT13_lli.numbered_sgpr, 52
	.set _ZN12_GLOBAL__N_135rocblas_gemm_batched_general_kernelI19rocblas_complex_numIdELi16ELi16ELi32ELi32ELi8ELi32ELi8ELi8ELi32ELc78ELc67EKS2_S3_S2_EEvlllT_PT11_llS6_llS4_PT12_llPT13_lli.num_named_barrier, 0
	.set _ZN12_GLOBAL__N_135rocblas_gemm_batched_general_kernelI19rocblas_complex_numIdELi16ELi16ELi32ELi32ELi8ELi32ELi8ELi8ELi32ELc78ELc67EKS2_S3_S2_EEvlllT_PT11_llS6_llS4_PT12_llPT13_lli.private_seg_size, 0
	.set _ZN12_GLOBAL__N_135rocblas_gemm_batched_general_kernelI19rocblas_complex_numIdELi16ELi16ELi32ELi32ELi8ELi32ELi8ELi8ELi32ELc78ELc67EKS2_S3_S2_EEvlllT_PT11_llS6_llS4_PT12_llPT13_lli.uses_vcc, 1
	.set _ZN12_GLOBAL__N_135rocblas_gemm_batched_general_kernelI19rocblas_complex_numIdELi16ELi16ELi32ELi32ELi8ELi32ELi8ELi8ELi32ELc78ELc67EKS2_S3_S2_EEvlllT_PT11_llS6_llS4_PT12_llPT13_lli.uses_flat_scratch, 0
	.set _ZN12_GLOBAL__N_135rocblas_gemm_batched_general_kernelI19rocblas_complex_numIdELi16ELi16ELi32ELi32ELi8ELi32ELi8ELi8ELi32ELc78ELc67EKS2_S3_S2_EEvlllT_PT11_llS6_llS4_PT12_llPT13_lli.has_dyn_sized_stack, 0
	.set _ZN12_GLOBAL__N_135rocblas_gemm_batched_general_kernelI19rocblas_complex_numIdELi16ELi16ELi32ELi32ELi8ELi32ELi8ELi8ELi32ELc78ELc67EKS2_S3_S2_EEvlllT_PT11_llS6_llS4_PT12_llPT13_lli.has_recursion, 0
	.set _ZN12_GLOBAL__N_135rocblas_gemm_batched_general_kernelI19rocblas_complex_numIdELi16ELi16ELi32ELi32ELi8ELi32ELi8ELi8ELi32ELc78ELc67EKS2_S3_S2_EEvlllT_PT11_llS6_llS4_PT12_llPT13_lli.has_indirect_call, 0
	.section	.AMDGPU.csdata,"",@progbits
; Kernel info:
; codeLenInByte = 4040
; TotalNumSgprs: 54
; NumVgprs: 127
; ScratchSize: 0
; MemoryBound: 1
; FloatMode: 240
; IeeeMode: 1
; LDSByteSize: 8192 bytes/workgroup (compile time only)
; SGPRBlocks: 0
; VGPRBlocks: 15
; NumSGPRsForWavesPerEU: 54
; NumVGPRsForWavesPerEU: 127
; Occupancy: 8
; WaveLimiterHint : 0
; COMPUTE_PGM_RSRC2:SCRATCH_EN: 0
; COMPUTE_PGM_RSRC2:USER_SGPR: 6
; COMPUTE_PGM_RSRC2:TRAP_HANDLER: 0
; COMPUTE_PGM_RSRC2:TGID_X_EN: 1
; COMPUTE_PGM_RSRC2:TGID_Y_EN: 1
; COMPUTE_PGM_RSRC2:TGID_Z_EN: 1
; COMPUTE_PGM_RSRC2:TIDIG_COMP_CNT: 1
	.section	.text._ZN12_GLOBAL__N_135rocblas_gemm_batched_general_kernelI19rocblas_complex_numIdELi16ELi16ELi32ELi32ELi8ELi32ELi8ELi8ELi32ELc84ELc67EKS2_S3_S2_EEvlllT_PT11_llS6_llS4_PT12_llPT13_lli,"axG",@progbits,_ZN12_GLOBAL__N_135rocblas_gemm_batched_general_kernelI19rocblas_complex_numIdELi16ELi16ELi32ELi32ELi8ELi32ELi8ELi8ELi32ELc84ELc67EKS2_S3_S2_EEvlllT_PT11_llS6_llS4_PT12_llPT13_lli,comdat
	.globl	_ZN12_GLOBAL__N_135rocblas_gemm_batched_general_kernelI19rocblas_complex_numIdELi16ELi16ELi32ELi32ELi8ELi32ELi8ELi8ELi32ELc84ELc67EKS2_S3_S2_EEvlllT_PT11_llS6_llS4_PT12_llPT13_lli ; -- Begin function _ZN12_GLOBAL__N_135rocblas_gemm_batched_general_kernelI19rocblas_complex_numIdELi16ELi16ELi32ELi32ELi8ELi32ELi8ELi8ELi32ELc84ELc67EKS2_S3_S2_EEvlllT_PT11_llS6_llS4_PT12_llPT13_lli
	.p2align	8
	.type	_ZN12_GLOBAL__N_135rocblas_gemm_batched_general_kernelI19rocblas_complex_numIdELi16ELi16ELi32ELi32ELi8ELi32ELi8ELi8ELi32ELc84ELc67EKS2_S3_S2_EEvlllT_PT11_llS6_llS4_PT12_llPT13_lli,@function
_ZN12_GLOBAL__N_135rocblas_gemm_batched_general_kernelI19rocblas_complex_numIdELi16ELi16ELi32ELi32ELi8ELi32ELi8ELi8ELi32ELc84ELc67EKS2_S3_S2_EEvlllT_PT11_llS6_llS4_PT12_llPT13_lli: ; @_ZN12_GLOBAL__N_135rocblas_gemm_batched_general_kernelI19rocblas_complex_numIdELi16ELi16ELi32ELi32ELi8ELi32ELi8ELi8ELi32ELc84ELc67EKS2_S3_S2_EEvlllT_PT11_llS6_llS4_PT12_llPT13_lli
; %bb.0:
	s_clause 0x1
	s_load_dwordx16 s[12:27], s[4:5], 0x0
	s_load_dwordx16 s[36:51], s[4:5], 0x40
	s_mov_b32 s28, s7
	v_mov_b32_e32 v2, 0
	s_ashr_i32 s7, s6, 31
	s_ashr_i32 s29, s28, 31
	s_lshl_b64 s[10:11], s[6:7], 5
	s_lshl_b64 s[2:3], s[28:29], 5
	s_waitcnt lgkmcnt(0)
	v_cmp_lt_i64_e64 s0, s[16:17], 1
	s_and_b32 vcc_lo, exec_lo, s0
	s_cbranch_vccnz .LBB144_9
; %bb.1:
	v_lshl_add_u32 v3, v1, 4, v0
	v_and_b32_e32 v27, 7, v0
	v_mov_b32_e32 v4, s11
	s_mul_i32 s1, s41, s8
	s_mul_hi_u32 s6, s40, s8
	v_and_b32_e32 v9, 31, v3
	v_mad_u64_u32 v[5:6], null, s38, v27, 0
	v_lshrrev_b32_e32 v28, 5, v3
	v_lshrrev_b32_e32 v10, 3, v3
	v_or_b32_e32 v3, s10, v9
	v_lshlrev_b32_e32 v11, 4, v27
	s_add_i32 s7, s6, s1
	v_lshlrev_b32_e32 v12, 4, v9
	v_add_co_u32 v7, s0, v10, s2
	v_cmp_gt_i64_e32 vcc_lo, s[12:13], v[3:4]
	v_mov_b32_e32 v3, v6
	v_add_co_ci_u32_e64 v8, null, 0, s3, s0
	v_lshl_or_b32 v6, v10, 7, v11
	s_mul_i32 s6, s40, s8
	v_mad_u64_u32 v[3:4], null, s39, v27, v[3:4]
	v_cmp_gt_i64_e64 s0, s[14:15], v[7:8]
	v_add_co_u32 v7, s1, s10, v9
	v_add_nc_u32_e32 v30, 0x1000, v6
	v_add_co_ci_u32_e64 v8, null, s11, 0, s1
	v_mov_b32_e32 v6, v3
	v_mul_lo_u32 v9, s25, v7
	s_lshl_b64 s[6:7], s[6:7], 4
	v_mul_lo_u32 v8, s24, v8
	s_lshl_b64 s[28:29], s[28:29], 9
	v_lshlrev_b64 v[3:4], 4, v[5:6]
	v_mad_u64_u32 v[5:6], null, s24, v7, 0
	s_add_u32 s1, s28, s6
	s_addc_u32 s6, s29, s7
	v_lshlrev_b32_e32 v7, 4, v10
	v_add_co_u32 v3, s1, s1, v3
	v_add_co_ci_u32_e64 v4, null, s6, v4, s1
	v_add3_u32 v6, v6, v8, v9
	v_add_co_u32 v7, s1, v3, v7
	v_add_co_ci_u32_e64 v8, null, 0, v4, s1
	s_mul_i32 s1, s27, s8
	s_mul_hi_u32 s6, s26, s8
	v_lshlrev_b64 v[3:4], 4, v[5:6]
	s_add_i32 s7, s6, s1
	s_mul_i32 s6, s26, s8
	v_add_co_u32 v5, s1, s36, v7
	s_lshl_b64 s[6:7], s[6:7], 4
	v_add_co_ci_u32_e64 v6, null, s37, v8, s1
	v_add_co_u32 v3, s1, v3, s6
	v_lshlrev_b32_e32 v7, 4, v28
	v_add_co_ci_u32_e64 v4, null, s7, v4, s1
	v_add_co_u32 v23, s1, v5, 8
	v_add_co_ci_u32_e64 v24, null, 0, v6, s1
	v_add_co_u32 v3, s1, v3, v7
	v_add_co_ci_u32_e64 v4, null, 0, v4, s1
	v_lshl_or_b32 v29, v28, 9, v12
	v_add_co_u32 v25, s1, s22, v3
	v_mov_b32_e32 v9, 0
	v_mov_b32_e32 v7, 0
	;; [unrolled: 1-line block ×8, first 2 shown]
	v_lshlrev_b32_e32 v31, 4, v0
	v_lshl_add_u32 v32, v1, 7, 0x1000
	v_mov_b32_e32 v10, 0
	v_mov_b32_e32 v8, 0
	;; [unrolled: 1-line block ×8, first 2 shown]
	v_add_co_ci_u32_e64 v26, null, s23, v4, s1
	s_lshl_b64 s[6:7], s[38:39], 7
	s_mov_b64 s[22:23], 0
	s_xor_b32 s1, vcc_lo, -1
	s_branch .LBB144_3
.LBB144_2:                              ;   in Loop: Header=BB144_3 Depth=1
	s_or_b32 exec_lo, exec_lo, s9
	ds_write_b128 v30, v[3:6]
	s_waitcnt lgkmcnt(0)
	s_barrier
	buffer_gl0_inv
	ds_read_b128 v[3:6], v32
	ds_read_b128 v[33:36], v31
	ds_read_b128 v[37:40], v31 offset:256
	ds_read_b128 v[41:44], v32 offset:2048
	;; [unrolled: 1-line block ×12, first 2 shown]
	s_add_u32 s22, s22, 8
	s_addc_u32 s23, s23, 0
	v_add_co_u32 v23, vcc_lo, v23, s6
	v_cmp_lt_i64_e64 s9, s[22:23], s[16:17]
	v_add_co_ci_u32_e64 v24, null, s7, v24, vcc_lo
	s_waitcnt lgkmcnt(12)
	v_mul_f64 v[85:86], v[5:6], v[35:36]
	v_mul_f64 v[87:88], v[3:4], v[35:36]
	s_waitcnt lgkmcnt(11)
	v_mul_f64 v[89:90], v[5:6], v[39:40]
	v_mul_f64 v[91:92], v[3:4], v[39:40]
	;; [unrolled: 3-line block ×3, first 2 shown]
	v_mul_f64 v[95:96], v[43:44], v[39:40]
	v_mul_f64 v[39:40], v[41:42], v[39:40]
	s_waitcnt lgkmcnt(8)
	v_mul_f64 v[97:98], v[47:48], v[51:52]
	v_mul_f64 v[99:100], v[45:46], v[51:52]
	s_waitcnt lgkmcnt(7)
	;; [unrolled: 3-line block ×3, first 2 shown]
	v_mul_f64 v[105:106], v[59:60], v[51:52]
	v_mul_f64 v[51:52], v[57:58], v[51:52]
	;; [unrolled: 1-line block ×4, first 2 shown]
	s_waitcnt lgkmcnt(4)
	v_mul_f64 v[109:110], v[63:64], v[67:68]
	v_mul_f64 v[111:112], v[61:62], v[67:68]
	s_waitcnt lgkmcnt(3)
	v_mul_f64 v[113:114], v[63:64], v[71:72]
	v_mul_f64 v[115:116], v[61:62], v[71:72]
	;; [unrolled: 3-line block ×3, first 2 shown]
	v_fma_f64 v[85:86], v[3:4], v[33:34], -v[85:86]
	v_fma_f64 v[87:88], v[5:6], v[33:34], v[87:88]
	v_fma_f64 v[89:90], v[3:4], v[37:38], -v[89:90]
	v_fma_f64 v[91:92], v[5:6], v[37:38], v[91:92]
	;; [unrolled: 2-line block ×4, first 2 shown]
	v_mul_f64 v[123:124], v[75:76], v[71:72]
	v_mul_f64 v[71:72], v[73:74], v[71:72]
	ds_read_b128 v[3:6], v31 offset:1536
	ds_read_b128 v[33:36], v31 offset:1792
	v_fma_f64 v[97:98], v[45:46], v[49:50], -v[97:98]
	v_fma_f64 v[99:100], v[47:48], v[49:50], v[99:100]
	v_fma_f64 v[101:102], v[45:46], v[53:54], -v[101:102]
	v_fma_f64 v[103:104], v[47:48], v[53:54], v[103:104]
	;; [unrolled: 2-line block ×7, first 2 shown]
	v_add_f64 v[19:20], v[19:20], v[85:86]
	v_add_f64 v[21:22], v[87:88], v[21:22]
	v_add_f64 v[15:16], v[15:16], v[89:90]
	v_add_f64 v[17:18], v[91:92], v[17:18]
	s_waitcnt lgkmcnt(1)
	v_mul_f64 v[109:110], v[79:80], v[5:6]
	s_waitcnt lgkmcnt(0)
	v_mul_f64 v[67:68], v[79:80], v[35:36]
	v_fma_f64 v[73:74], v[73:74], v[69:70], -v[123:124]
	v_fma_f64 v[69:70], v[75:76], v[69:70], v[71:72]
	v_add_f64 v[71:72], v[11:12], v[93:94]
	v_add_f64 v[13:14], v[119:120], v[13:14]
	;; [unrolled: 1-line block ×4, first 2 shown]
	ds_read_b128 v[37:40], v32 offset:64
	ds_read_b128 v[41:44], v31 offset:2048
	ds_read_b128 v[45:48], v31 offset:2304
	v_mul_f64 v[111:112], v[77:78], v[5:6]
	v_mul_f64 v[113:114], v[77:78], v[35:36]
	;; [unrolled: 1-line block ×6, first 2 shown]
	ds_read_b128 v[49:52], v32 offset:2112
	ds_read_b128 v[9:12], v32 offset:2128
	v_add_f64 v[97:98], v[19:20], v[97:98]
	v_add_f64 v[21:22], v[99:100], v[21:22]
	;; [unrolled: 1-line block ×4, first 2 shown]
	v_fma_f64 v[89:90], v[77:78], v[3:4], -v[109:110]
	v_fma_f64 v[67:68], v[77:78], v[33:34], -v[67:68]
	ds_read_b128 v[5:8], v32 offset:80
	ds_read_b128 v[17:20], v31 offset:2816
	v_add_f64 v[71:72], v[71:72], v[105:106]
	v_add_f64 v[103:104], v[125:126], v[13:14]
	s_waitcnt lgkmcnt(5)
	v_mul_f64 v[77:78], v[39:40], v[43:44]
	v_mul_f64 v[93:94], v[37:38], v[43:44]
	v_add_f64 v[57:58], v[75:76], v[57:58]
	v_add_f64 v[53:54], v[53:54], v[85:86]
	ds_read_b128 v[13:16], v31 offset:2560
	s_waitcnt lgkmcnt(5)
	v_mul_f64 v[95:96], v[39:40], v[47:48]
	v_mul_f64 v[109:110], v[37:38], v[47:48]
	v_fma_f64 v[91:92], v[79:80], v[3:4], v[111:112]
	v_fma_f64 v[79:80], v[79:80], v[33:34], v[113:114]
	s_waitcnt lgkmcnt(4)
	v_mul_f64 v[111:112], v[51:52], v[43:44]
	v_mul_f64 v[43:44], v[49:50], v[43:44]
	v_fma_f64 v[75:76], v[81:82], v[3:4], -v[115:116]
	v_fma_f64 v[3:4], v[83:84], v[3:4], v[117:118]
	v_fma_f64 v[81:82], v[81:82], v[33:34], -v[87:88]
	v_fma_f64 v[83:84], v[83:84], v[33:34], v[35:36]
	v_add_f64 v[55:56], v[97:98], v[55:56]
	v_add_f64 v[59:60], v[59:60], v[21:22]
	v_add_f64 v[61:62], v[99:100], v[61:62]
	v_add_f64 v[63:64], v[63:64], v[101:102]
	s_waitcnt lgkmcnt(1)
	v_mul_f64 v[97:98], v[7:8], v[19:20]
	v_add_f64 v[71:72], v[71:72], v[107:108]
	v_add_f64 v[65:66], v[65:66], v[103:104]
	v_fma_f64 v[77:78], v[37:38], v[41:42], -v[77:78]
	v_fma_f64 v[85:86], v[39:40], v[41:42], v[93:94]
	v_add_f64 v[57:58], v[57:58], v[73:74]
	v_add_f64 v[53:54], v[69:70], v[53:54]
	s_waitcnt lgkmcnt(0)
	v_mul_f64 v[69:70], v[7:8], v[15:16]
	v_fma_f64 v[87:88], v[37:38], v[45:46], -v[95:96]
	v_fma_f64 v[93:94], v[39:40], v[45:46], v[109:110]
	v_mul_f64 v[37:38], v[51:52], v[47:48]
	v_mul_f64 v[39:40], v[49:50], v[47:48]
	v_fma_f64 v[47:48], v[49:50], v[41:42], -v[111:112]
	v_fma_f64 v[95:96], v[51:52], v[41:42], v[43:44]
	v_mul_f64 v[73:74], v[5:6], v[15:16]
	v_mul_f64 v[99:100], v[5:6], v[19:20]
	;; [unrolled: 1-line block ×6, first 2 shown]
	ds_read_b128 v[19:22], v32 offset:96
	ds_read_b128 v[33:36], v31 offset:3072
	v_add_co_u32 v25, vcc_lo, 0x80, v25
	v_add_co_ci_u32_e64 v26, null, 0, v26, vcc_lo
	v_add_f64 v[65:66], v[3:4], v[65:66]
	s_and_b32 vcc_lo, exec_lo, s9
	v_add_f64 v[57:58], v[57:58], v[81:82]
	v_add_f64 v[53:54], v[83:84], v[53:54]
	v_fma_f64 v[49:50], v[49:50], v[45:46], -v[37:38]
	v_fma_f64 v[45:46], v[51:52], v[45:46], v[39:40]
	v_add_f64 v[51:52], v[55:56], v[89:90]
	v_add_f64 v[55:56], v[91:92], v[59:60]
	;; [unrolled: 1-line block ×5, first 2 shown]
	ds_read_b128 v[37:40], v31 offset:3328
	ds_read_b128 v[41:44], v32 offset:2144
	v_fma_f64 v[67:68], v[5:6], v[13:14], -v[69:70]
	v_fma_f64 v[69:70], v[7:8], v[13:14], v[73:74]
	v_fma_f64 v[71:72], v[5:6], v[17:18], -v[97:98]
	v_fma_f64 v[73:74], v[7:8], v[17:18], v[99:100]
	;; [unrolled: 2-line block ×3, first 2 shown]
	v_fma_f64 v[81:82], v[9:10], v[17:18], -v[103:104]
	s_waitcnt lgkmcnt(2)
	v_mul_f64 v[83:84], v[21:22], v[35:36]
	v_fma_f64 v[89:90], v[11:12], v[17:18], v[105:106]
	v_mul_f64 v[91:92], v[19:20], v[35:36]
	ds_read_b128 v[3:6], v32 offset:112
	ds_read_b128 v[7:10], v32 offset:2160
	;; [unrolled: 1-line block ×4, first 2 shown]
	s_waitcnt lgkmcnt(0)
	v_add_f64 v[49:50], v[57:58], v[49:50]
	v_add_f64 v[45:46], v[45:46], v[53:54]
	;; [unrolled: 1-line block ×4, first 2 shown]
	v_mul_f64 v[97:98], v[21:22], v[39:40]
	v_mul_f64 v[99:100], v[19:20], v[39:40]
	v_mul_f64 v[101:102], v[43:44], v[35:36]
	v_mul_f64 v[35:36], v[41:42], v[35:36]
	v_add_f64 v[59:60], v[59:60], v[87:88]
	v_add_f64 v[61:62], v[93:94], v[61:62]
	;; [unrolled: 1-line block ×4, first 2 shown]
	v_mul_f64 v[53:54], v[43:44], v[39:40]
	v_mul_f64 v[39:40], v[41:42], v[39:40]
	s_barrier
	v_fma_f64 v[57:58], v[19:20], v[33:34], -v[83:84]
	buffer_gl0_inv
	v_fma_f64 v[65:66], v[21:22], v[33:34], v[91:92]
	v_add_f64 v[49:50], v[49:50], v[81:82]
	v_add_f64 v[45:46], v[89:90], v[45:46]
	v_fma_f64 v[19:20], v[19:20], v[37:38], -v[97:98]
	v_fma_f64 v[21:22], v[21:22], v[37:38], v[99:100]
	v_fma_f64 v[77:78], v[41:42], v[33:34], -v[101:102]
	v_fma_f64 v[33:34], v[43:44], v[33:34], v[35:36]
	v_add_f64 v[35:36], v[51:52], v[67:68]
	v_add_f64 v[51:52], v[69:70], v[55:56]
	;; [unrolled: 1-line block ×6, first 2 shown]
	v_fma_f64 v[41:42], v[41:42], v[37:38], -v[53:54]
	v_fma_f64 v[37:38], v[43:44], v[37:38], v[39:40]
	v_mul_f64 v[39:40], v[5:6], v[13:14]
	v_mul_f64 v[43:44], v[3:4], v[13:14]
	;; [unrolled: 1-line block ×8, first 2 shown]
	v_add_f64 v[35:36], v[35:36], v[57:58]
	v_add_f64 v[51:52], v[65:66], v[51:52]
	;; [unrolled: 1-line block ×8, first 2 shown]
	v_fma_f64 v[19:20], v[3:4], v[11:12], -v[39:40]
	v_fma_f64 v[21:22], v[5:6], v[11:12], v[43:44]
	v_fma_f64 v[3:4], v[3:4], v[15:16], -v[53:54]
	v_fma_f64 v[5:6], v[5:6], v[15:16], v[63:64]
	;; [unrolled: 2-line block ×4, first 2 shown]
	v_add_f64 v[19:20], v[35:36], v[19:20]
	v_add_f64 v[21:22], v[21:22], v[51:52]
	;; [unrolled: 1-line block ×8, first 2 shown]
	s_cbranch_vccz .LBB144_10
.LBB144_3:                              ; =>This Inner Loop Header: Depth=1
	v_add_co_u32 v3, s9, v28, s22
	v_add_co_ci_u32_e64 v4, null, 0, s23, s9
	v_cmp_le_i64_e32 vcc_lo, s[16:17], v[3:4]
	s_or_b32 s9, s1, vcc_lo
	s_and_saveexec_b32 s24, s9
	s_xor_b32 s9, exec_lo, s24
	s_cbranch_execz .LBB144_5
; %bb.4:                                ;   in Loop: Header=BB144_3 Depth=1
	v_mov_b32_e32 v3, v2
	v_mov_b32_e32 v4, v2
	;; [unrolled: 1-line block ×3, first 2 shown]
	ds_write_b128 v29, v[2:5]
.LBB144_5:                              ;   in Loop: Header=BB144_3 Depth=1
	s_andn2_saveexec_b32 s9, s9
	s_cbranch_execz .LBB144_7
; %bb.6:                                ;   in Loop: Header=BB144_3 Depth=1
	global_load_dwordx4 v[3:6], v[25:26], off
	s_waitcnt vmcnt(0)
	ds_write2_b64 v29, v[3:4], v[5:6] offset1:1
.LBB144_7:                              ;   in Loop: Header=BB144_3 Depth=1
	s_or_b32 exec_lo, exec_lo, s9
	v_add_co_u32 v3, s9, v27, s22
	v_add_co_ci_u32_e64 v4, null, 0, s23, s9
	v_mov_b32_e32 v5, 0
	v_mov_b32_e32 v6, 0
	v_cmp_gt_i64_e32 vcc_lo, s[16:17], v[3:4]
	v_mov_b32_e32 v3, 0
	v_mov_b32_e32 v4, 0
	s_and_b32 s24, vcc_lo, s0
	s_and_saveexec_b32 s9, s24
	s_cbranch_execz .LBB144_2
; %bb.8:                                ;   in Loop: Header=BB144_3 Depth=1
	global_load_dwordx4 v[3:6], v[23:24], off offset:-8
	s_waitcnt vmcnt(0)
	v_xor_b32_e32 v6, 0x80000000, v6
	s_branch .LBB144_2
.LBB144_9:
	v_mov_b32_e32 v19, 0
	v_mov_b32_e32 v21, 0
	;; [unrolled: 1-line block ×16, first 2 shown]
.LBB144_10:
	s_clause 0x1
	s_load_dwordx2 s[0:1], s[4:5], 0x90
	s_load_dwordx4 s[4:7], s[4:5], 0x80
	v_cmp_neq_f64_e64 s9, s[42:43], 0
	v_cmp_neq_f64_e64 s16, s[44:45], 0
	v_add_co_u32 v1, s2, s2, v1
	v_add_co_ci_u32_e64 v2, null, s3, 0, s2
	s_waitcnt lgkmcnt(0)
	s_mul_i32 s1, s1, s8
	s_mul_hi_u32 s17, s0, s8
	s_mul_i32 s0, s0, s8
	s_add_i32 s1, s17, s1
	s_lshl_b64 s[0:1], s[0:1], 4
	s_add_u32 s3, s4, s0
	v_cmp_gt_i64_e64 s0, s[14:15], v[1:2]
	s_addc_u32 s4, s5, s1
	s_or_b32 s1, s9, s16
	s_and_b32 vcc_lo, exec_lo, s1
	s_mov_b32 s1, -1
	s_cbranch_vccnz .LBB144_22
; %bb.11:
	s_and_saveexec_b32 s5, s0
	s_cbranch_execz .LBB144_21
; %bb.12:
	v_mul_lo_u32 v5, v2, s6
	v_mul_lo_u32 v6, v1, s7
	v_mad_u64_u32 v[3:4], null, v1, s6, 0
	v_add3_u32 v4, v4, v6, v5
	v_add_co_u32 v5, s1, s10, v0
	v_add_co_ci_u32_e64 v6, null, s11, 0, s1
	v_lshlrev_b64 v[23:24], 4, v[3:4]
	v_cmp_gt_i64_e32 vcc_lo, s[12:13], v[5:6]
	v_lshlrev_b64 v[3:4], 4, v[5:6]
	v_add_co_u32 v23, s1, s3, v23
	v_add_co_ci_u32_e64 v24, null, s4, v24, s1
	s_and_saveexec_b32 s2, vcc_lo
	s_cbranch_execz .LBB144_14
; %bb.13:
	v_mul_f64 v[25:26], s[20:21], v[21:22]
	v_mul_f64 v[27:28], s[18:19], v[21:22]
	v_add_co_u32 v29, s1, v23, v3
	v_add_co_ci_u32_e64 v30, null, v24, v4, s1
	v_fma_f64 v[25:26], s[18:19], v[19:20], -v[25:26]
	v_fma_f64 v[27:28], s[20:21], v[19:20], v[27:28]
	global_store_dwordx4 v[29:30], v[25:28], off
.LBB144_14:
	s_or_b32 exec_lo, exec_lo, s2
	v_add_co_u32 v5, s1, v5, 16
	v_add_co_ci_u32_e64 v6, null, 0, v6, s1
	v_cmp_gt_i64_e64 s1, s[12:13], v[5:6]
	s_and_saveexec_b32 s9, s1
	s_cbranch_execz .LBB144_16
; %bb.15:
	v_mul_f64 v[5:6], s[20:21], v[17:18]
	v_mul_f64 v[27:28], s[18:19], v[17:18]
	v_fma_f64 v[25:26], s[18:19], v[15:16], -v[5:6]
	v_fma_f64 v[27:28], s[20:21], v[15:16], v[27:28]
	v_add_co_u32 v5, s2, v23, v3
	v_add_co_ci_u32_e64 v6, null, v24, v4, s2
	global_store_dwordx4 v[5:6], v[25:28], off offset:256
.LBB144_16:
	s_or_b32 exec_lo, exec_lo, s9
	v_add_co_u32 v5, s2, v1, 16
	v_add_co_ci_u32_e64 v6, null, 0, v2, s2
	v_cmp_gt_i64_e64 s2, s[14:15], v[5:6]
	s_and_b32 exec_lo, exec_lo, s2
	s_cbranch_execz .LBB144_21
; %bb.17:
	s_lshl_b64 s[16:17], s[6:7], 8
	v_add_co_u32 v5, s2, v23, s16
	v_add_co_ci_u32_e64 v6, null, s17, v24, s2
	v_add_co_u32 v3, s2, v5, v3
	v_add_co_ci_u32_e64 v4, null, v6, v4, s2
	s_and_saveexec_b32 s2, vcc_lo
	s_cbranch_execz .LBB144_19
; %bb.18:
	v_mul_f64 v[5:6], s[20:21], v[13:14]
	v_mul_f64 v[25:26], s[18:19], v[13:14]
	v_fma_f64 v[23:24], s[18:19], v[11:12], -v[5:6]
	v_fma_f64 v[25:26], s[20:21], v[11:12], v[25:26]
	global_store_dwordx4 v[3:4], v[23:26], off
.LBB144_19:
	s_or_b32 exec_lo, exec_lo, s2
	s_and_b32 exec_lo, exec_lo, s1
	s_cbranch_execz .LBB144_21
; %bb.20:
	v_mul_f64 v[5:6], s[20:21], v[9:10]
	v_mul_f64 v[25:26], s[18:19], v[9:10]
	v_fma_f64 v[23:24], s[18:19], v[7:8], -v[5:6]
	v_fma_f64 v[25:26], s[20:21], v[7:8], v[25:26]
	global_store_dwordx4 v[3:4], v[23:26], off offset:256
.LBB144_21:
	s_or_b32 exec_lo, exec_lo, s5
	s_mov_b32 s1, 0
.LBB144_22:
	s_andn2_b32 vcc_lo, exec_lo, s1
	s_cbranch_vccnz .LBB144_33
; %bb.23:
	s_and_saveexec_b32 s1, s0
	s_cbranch_execz .LBB144_33
; %bb.24:
	v_mul_lo_u32 v5, v2, s48
	v_mul_lo_u32 v6, v1, s49
	v_mad_u64_u32 v[3:4], null, v1, s48, 0
	v_mul_lo_u32 v25, v2, s6
	v_mul_lo_u32 v26, v1, s7
	v_mad_u64_u32 v[23:24], null, v1, s6, 0
	s_mul_i32 s0, s51, s8
	s_mul_hi_u32 s1, s50, s8
	v_add3_u32 v4, v4, v6, v5
	s_add_i32 s1, s1, s0
	s_mul_i32 s0, s50, s8
	v_add_co_u32 v5, s2, s10, v0
	v_add3_u32 v24, v24, v26, v25
	v_lshlrev_b64 v[3:4], 4, v[3:4]
	s_lshl_b64 s[0:1], s[0:1], 4
	v_add_co_ci_u32_e64 v6, null, s11, 0, s2
	v_lshlrev_b64 v[24:25], 4, v[23:24]
	s_add_u32 s0, s46, s0
	s_addc_u32 s1, s47, s1
	v_add_co_u32 v0, s0, s0, v3
	v_add_co_ci_u32_e64 v23, null, s1, v4, s0
	v_add_co_u32 v24, s0, s3, v24
	v_cmp_gt_i64_e32 vcc_lo, s[12:13], v[5:6]
	v_lshlrev_b64 v[3:4], 4, v[5:6]
	v_add_co_ci_u32_e64 v25, null, s4, v25, s0
	s_and_saveexec_b32 s1, vcc_lo
	s_cbranch_execz .LBB144_26
; %bb.25:
	v_add_co_u32 v26, s0, v0, v3
	v_add_co_ci_u32_e64 v27, null, v23, v4, s0
	v_mul_f64 v[30:31], s[20:21], v[21:22]
	v_mul_f64 v[21:22], s[18:19], v[21:22]
	global_load_dwordx4 v[26:29], v[26:27], off
	v_fma_f64 v[30:31], s[18:19], v[19:20], -v[30:31]
	v_fma_f64 v[21:22], s[20:21], v[19:20], v[21:22]
	s_waitcnt vmcnt(0)
	v_mul_f64 v[32:33], s[44:45], v[28:29]
	v_mul_f64 v[28:29], s[42:43], v[28:29]
	v_fma_f64 v[19:20], s[42:43], v[26:27], -v[32:33]
	v_fma_f64 v[26:27], s[44:45], v[26:27], v[28:29]
	v_add_f64 v[19:20], v[30:31], v[19:20]
	v_add_f64 v[21:22], v[21:22], v[26:27]
	v_add_co_u32 v26, s0, v24, v3
	v_add_co_ci_u32_e64 v27, null, v25, v4, s0
	global_store_dwordx4 v[26:27], v[19:22], off
.LBB144_26:
	s_or_b32 exec_lo, exec_lo, s1
	v_add_co_u32 v5, s0, v5, 16
	v_add_co_ci_u32_e64 v6, null, 0, v6, s0
	v_cmp_gt_i64_e64 s0, s[12:13], v[5:6]
	s_and_saveexec_b32 s2, s0
	s_cbranch_execz .LBB144_28
; %bb.27:
	v_add_co_u32 v5, s1, v0, v3
	v_add_co_ci_u32_e64 v6, null, v23, v4, s1
	global_load_dwordx4 v[19:22], v[5:6], off offset:256
	v_mul_f64 v[5:6], s[20:21], v[17:18]
	v_mul_f64 v[17:18], s[18:19], v[17:18]
	v_fma_f64 v[5:6], s[18:19], v[15:16], -v[5:6]
	v_fma_f64 v[17:18], s[20:21], v[15:16], v[17:18]
	s_waitcnt vmcnt(0)
	v_mul_f64 v[26:27], s[44:45], v[21:22]
	v_mul_f64 v[21:22], s[42:43], v[21:22]
	v_fma_f64 v[15:16], s[42:43], v[19:20], -v[26:27]
	v_fma_f64 v[19:20], s[44:45], v[19:20], v[21:22]
	v_add_f64 v[15:16], v[5:6], v[15:16]
	v_add_f64 v[17:18], v[17:18], v[19:20]
	v_add_co_u32 v5, s1, v24, v3
	v_add_co_ci_u32_e64 v6, null, v25, v4, s1
	global_store_dwordx4 v[5:6], v[15:18], off offset:256
.LBB144_28:
	s_or_b32 exec_lo, exec_lo, s2
	v_add_co_u32 v1, s1, v1, 16
	v_add_co_ci_u32_e64 v2, null, 0, v2, s1
	v_cmp_gt_i64_e64 s1, s[14:15], v[1:2]
	s_and_b32 exec_lo, exec_lo, s1
	s_cbranch_execz .LBB144_33
; %bb.29:
	s_lshl_b64 s[2:3], s[48:49], 8
	v_add_co_u32 v0, s1, v0, s2
	v_add_co_ci_u32_e64 v1, null, s3, v23, s1
	s_lshl_b64 s[2:3], s[6:7], 8
	v_add_co_u32 v2, s1, v24, s2
	v_add_co_ci_u32_e64 v15, null, s3, v25, s1
	v_add_co_u32 v5, s1, v0, v3
	v_add_co_ci_u32_e64 v6, null, v1, v4, s1
	;; [unrolled: 2-line block ×3, first 2 shown]
	s_and_saveexec_b32 s1, vcc_lo
	s_cbranch_execz .LBB144_31
; %bb.30:
	global_load_dwordx4 v[15:18], v[5:6], off
	v_mul_f64 v[2:3], s[20:21], v[13:14]
	v_mul_f64 v[13:14], s[18:19], v[13:14]
	v_fma_f64 v[2:3], s[18:19], v[11:12], -v[2:3]
	v_fma_f64 v[13:14], s[20:21], v[11:12], v[13:14]
	s_waitcnt vmcnt(0)
	v_mul_f64 v[19:20], s[44:45], v[17:18]
	v_mul_f64 v[17:18], s[42:43], v[17:18]
	v_fma_f64 v[11:12], s[42:43], v[15:16], -v[19:20]
	v_fma_f64 v[15:16], s[44:45], v[15:16], v[17:18]
	v_add_f64 v[11:12], v[2:3], v[11:12]
	v_add_f64 v[13:14], v[13:14], v[15:16]
	global_store_dwordx4 v[0:1], v[11:14], off
.LBB144_31:
	s_or_b32 exec_lo, exec_lo, s1
	s_and_b32 exec_lo, exec_lo, s0
	s_cbranch_execz .LBB144_33
; %bb.32:
	global_load_dwordx4 v[2:5], v[5:6], off offset:256
	v_mul_f64 v[11:12], s[20:21], v[9:10]
	v_mul_f64 v[9:10], s[18:19], v[9:10]
	v_fma_f64 v[11:12], s[18:19], v[7:8], -v[11:12]
	v_fma_f64 v[6:7], s[20:21], v[7:8], v[9:10]
	s_waitcnt vmcnt(0)
	v_mul_f64 v[13:14], s[44:45], v[4:5]
	v_mul_f64 v[4:5], s[42:43], v[4:5]
	v_fma_f64 v[8:9], s[42:43], v[2:3], -v[13:14]
	v_fma_f64 v[4:5], s[44:45], v[2:3], v[4:5]
	v_add_f64 v[2:3], v[11:12], v[8:9]
	v_add_f64 v[4:5], v[6:7], v[4:5]
	global_store_dwordx4 v[0:1], v[2:5], off offset:256
.LBB144_33:
	s_endpgm
	.section	.rodata,"a",@progbits
	.p2align	6, 0x0
	.amdhsa_kernel _ZN12_GLOBAL__N_135rocblas_gemm_batched_general_kernelI19rocblas_complex_numIdELi16ELi16ELi32ELi32ELi8ELi32ELi8ELi8ELi32ELc84ELc67EKS2_S3_S2_EEvlllT_PT11_llS6_llS4_PT12_llPT13_lli
		.amdhsa_group_segment_fixed_size 8192
		.amdhsa_private_segment_fixed_size 0
		.amdhsa_kernarg_size 156
		.amdhsa_user_sgpr_count 6
		.amdhsa_user_sgpr_private_segment_buffer 1
		.amdhsa_user_sgpr_dispatch_ptr 0
		.amdhsa_user_sgpr_queue_ptr 0
		.amdhsa_user_sgpr_kernarg_segment_ptr 1
		.amdhsa_user_sgpr_dispatch_id 0
		.amdhsa_user_sgpr_flat_scratch_init 0
		.amdhsa_user_sgpr_private_segment_size 0
		.amdhsa_wavefront_size32 1
		.amdhsa_uses_dynamic_stack 0
		.amdhsa_system_sgpr_private_segment_wavefront_offset 0
		.amdhsa_system_sgpr_workgroup_id_x 1
		.amdhsa_system_sgpr_workgroup_id_y 1
		.amdhsa_system_sgpr_workgroup_id_z 1
		.amdhsa_system_sgpr_workgroup_info 0
		.amdhsa_system_vgpr_workitem_id 1
		.amdhsa_next_free_vgpr 127
		.amdhsa_next_free_sgpr 52
		.amdhsa_reserve_vcc 1
		.amdhsa_reserve_flat_scratch 0
		.amdhsa_float_round_mode_32 0
		.amdhsa_float_round_mode_16_64 0
		.amdhsa_float_denorm_mode_32 3
		.amdhsa_float_denorm_mode_16_64 3
		.amdhsa_dx10_clamp 1
		.amdhsa_ieee_mode 1
		.amdhsa_fp16_overflow 0
		.amdhsa_workgroup_processor_mode 1
		.amdhsa_memory_ordered 1
		.amdhsa_forward_progress 1
		.amdhsa_shared_vgpr_count 0
		.amdhsa_exception_fp_ieee_invalid_op 0
		.amdhsa_exception_fp_denorm_src 0
		.amdhsa_exception_fp_ieee_div_zero 0
		.amdhsa_exception_fp_ieee_overflow 0
		.amdhsa_exception_fp_ieee_underflow 0
		.amdhsa_exception_fp_ieee_inexact 0
		.amdhsa_exception_int_div_zero 0
	.end_amdhsa_kernel
	.section	.text._ZN12_GLOBAL__N_135rocblas_gemm_batched_general_kernelI19rocblas_complex_numIdELi16ELi16ELi32ELi32ELi8ELi32ELi8ELi8ELi32ELc84ELc67EKS2_S3_S2_EEvlllT_PT11_llS6_llS4_PT12_llPT13_lli,"axG",@progbits,_ZN12_GLOBAL__N_135rocblas_gemm_batched_general_kernelI19rocblas_complex_numIdELi16ELi16ELi32ELi32ELi8ELi32ELi8ELi8ELi32ELc84ELc67EKS2_S3_S2_EEvlllT_PT11_llS6_llS4_PT12_llPT13_lli,comdat
.Lfunc_end144:
	.size	_ZN12_GLOBAL__N_135rocblas_gemm_batched_general_kernelI19rocblas_complex_numIdELi16ELi16ELi32ELi32ELi8ELi32ELi8ELi8ELi32ELc84ELc67EKS2_S3_S2_EEvlllT_PT11_llS6_llS4_PT12_llPT13_lli, .Lfunc_end144-_ZN12_GLOBAL__N_135rocblas_gemm_batched_general_kernelI19rocblas_complex_numIdELi16ELi16ELi32ELi32ELi8ELi32ELi8ELi8ELi32ELc84ELc67EKS2_S3_S2_EEvlllT_PT11_llS6_llS4_PT12_llPT13_lli
                                        ; -- End function
	.set _ZN12_GLOBAL__N_135rocblas_gemm_batched_general_kernelI19rocblas_complex_numIdELi16ELi16ELi32ELi32ELi8ELi32ELi8ELi8ELi32ELc84ELc67EKS2_S3_S2_EEvlllT_PT11_llS6_llS4_PT12_llPT13_lli.num_vgpr, 127
	.set _ZN12_GLOBAL__N_135rocblas_gemm_batched_general_kernelI19rocblas_complex_numIdELi16ELi16ELi32ELi32ELi8ELi32ELi8ELi8ELi32ELc84ELc67EKS2_S3_S2_EEvlllT_PT11_llS6_llS4_PT12_llPT13_lli.num_agpr, 0
	.set _ZN12_GLOBAL__N_135rocblas_gemm_batched_general_kernelI19rocblas_complex_numIdELi16ELi16ELi32ELi32ELi8ELi32ELi8ELi8ELi32ELc84ELc67EKS2_S3_S2_EEvlllT_PT11_llS6_llS4_PT12_llPT13_lli.numbered_sgpr, 52
	.set _ZN12_GLOBAL__N_135rocblas_gemm_batched_general_kernelI19rocblas_complex_numIdELi16ELi16ELi32ELi32ELi8ELi32ELi8ELi8ELi32ELc84ELc67EKS2_S3_S2_EEvlllT_PT11_llS6_llS4_PT12_llPT13_lli.num_named_barrier, 0
	.set _ZN12_GLOBAL__N_135rocblas_gemm_batched_general_kernelI19rocblas_complex_numIdELi16ELi16ELi32ELi32ELi8ELi32ELi8ELi8ELi32ELc84ELc67EKS2_S3_S2_EEvlllT_PT11_llS6_llS4_PT12_llPT13_lli.private_seg_size, 0
	.set _ZN12_GLOBAL__N_135rocblas_gemm_batched_general_kernelI19rocblas_complex_numIdELi16ELi16ELi32ELi32ELi8ELi32ELi8ELi8ELi32ELc84ELc67EKS2_S3_S2_EEvlllT_PT11_llS6_llS4_PT12_llPT13_lli.uses_vcc, 1
	.set _ZN12_GLOBAL__N_135rocblas_gemm_batched_general_kernelI19rocblas_complex_numIdELi16ELi16ELi32ELi32ELi8ELi32ELi8ELi8ELi32ELc84ELc67EKS2_S3_S2_EEvlllT_PT11_llS6_llS4_PT12_llPT13_lli.uses_flat_scratch, 0
	.set _ZN12_GLOBAL__N_135rocblas_gemm_batched_general_kernelI19rocblas_complex_numIdELi16ELi16ELi32ELi32ELi8ELi32ELi8ELi8ELi32ELc84ELc67EKS2_S3_S2_EEvlllT_PT11_llS6_llS4_PT12_llPT13_lli.has_dyn_sized_stack, 0
	.set _ZN12_GLOBAL__N_135rocblas_gemm_batched_general_kernelI19rocblas_complex_numIdELi16ELi16ELi32ELi32ELi8ELi32ELi8ELi8ELi32ELc84ELc67EKS2_S3_S2_EEvlllT_PT11_llS6_llS4_PT12_llPT13_lli.has_recursion, 0
	.set _ZN12_GLOBAL__N_135rocblas_gemm_batched_general_kernelI19rocblas_complex_numIdELi16ELi16ELi32ELi32ELi8ELi32ELi8ELi8ELi32ELc84ELc67EKS2_S3_S2_EEvlllT_PT11_llS6_llS4_PT12_llPT13_lli.has_indirect_call, 0
	.section	.AMDGPU.csdata,"",@progbits
; Kernel info:
; codeLenInByte = 4060
; TotalNumSgprs: 54
; NumVgprs: 127
; ScratchSize: 0
; MemoryBound: 1
; FloatMode: 240
; IeeeMode: 1
; LDSByteSize: 8192 bytes/workgroup (compile time only)
; SGPRBlocks: 0
; VGPRBlocks: 15
; NumSGPRsForWavesPerEU: 54
; NumVGPRsForWavesPerEU: 127
; Occupancy: 8
; WaveLimiterHint : 0
; COMPUTE_PGM_RSRC2:SCRATCH_EN: 0
; COMPUTE_PGM_RSRC2:USER_SGPR: 6
; COMPUTE_PGM_RSRC2:TRAP_HANDLER: 0
; COMPUTE_PGM_RSRC2:TGID_X_EN: 1
; COMPUTE_PGM_RSRC2:TGID_Y_EN: 1
; COMPUTE_PGM_RSRC2:TGID_Z_EN: 1
; COMPUTE_PGM_RSRC2:TIDIG_COMP_CNT: 1
	.section	.text._ZN12_GLOBAL__N_125rocblas_gemm_scale_kernelILi32ELi32EDF16_PKPDF16_EEviiT1_T2_llli,"axG",@progbits,_ZN12_GLOBAL__N_125rocblas_gemm_scale_kernelILi32ELi32EDF16_PKPDF16_EEviiT1_T2_llli,comdat
	.globl	_ZN12_GLOBAL__N_125rocblas_gemm_scale_kernelILi32ELi32EDF16_PKPDF16_EEviiT1_T2_llli ; -- Begin function _ZN12_GLOBAL__N_125rocblas_gemm_scale_kernelILi32ELi32EDF16_PKPDF16_EEviiT1_T2_llli
	.p2align	8
	.type	_ZN12_GLOBAL__N_125rocblas_gemm_scale_kernelILi32ELi32EDF16_PKPDF16_EEviiT1_T2_llli,@function
_ZN12_GLOBAL__N_125rocblas_gemm_scale_kernelILi32ELi32EDF16_PKPDF16_EEviiT1_T2_llli: ; @_ZN12_GLOBAL__N_125rocblas_gemm_scale_kernelILi32ELi32EDF16_PKPDF16_EEviiT1_T2_llli
; %bb.0:
	s_load_dwordx4 s[0:3], s[4:5], 0x0
	v_lshl_add_u32 v0, s6, 5, v0
	v_lshl_add_u32 v1, s7, 5, v1
	s_waitcnt lgkmcnt(0)
	v_cmp_gt_u32_e32 vcc_lo, s0, v0
	v_cmp_gt_u32_e64 s0, s1, v1
	s_and_b32 s0, vcc_lo, s0
	s_and_saveexec_b32 s1, s0
	s_cbranch_execz .LBB145_4
; %bb.1:
	s_clause 0x1
	s_load_dwordx2 s[0:1], s[4:5], 0x20
	s_load_dwordx4 s[4:7], s[4:5], 0x10
	s_mov_b32 s9, 0
	v_cmp_eq_f16_e64 s3, s2, 0
	s_lshl_b64 s[8:9], s[8:9], 3
	s_waitcnt lgkmcnt(0)
	v_mad_u64_u32 v[2:3], null, s0, v1, 0
	s_add_u32 s4, s4, s8
	s_addc_u32 s5, s5, s9
	s_load_dwordx2 s[4:5], s[4:5], 0x0
	v_mad_u64_u32 v[3:4], null, s1, v1, v[3:4]
	v_mov_b32_e32 v1, 0
	s_lshl_b64 s[0:1], s[6:7], 1
	v_lshlrev_b64 v[4:5], 1, v[2:3]
	v_lshlrev_b64 v[2:3], 1, v[0:1]
	s_waitcnt lgkmcnt(0)
	s_add_u32 s0, s4, s0
	s_addc_u32 s1, s5, s1
	s_and_b32 vcc_lo, exec_lo, s3
	s_cbranch_vccnz .LBB145_3
; %bb.2:
	v_add_co_u32 v0, vcc_lo, s0, v4
	v_add_co_ci_u32_e64 v1, null, s1, v5, vcc_lo
	v_add_co_u32 v0, vcc_lo, v0, v2
	v_add_co_ci_u32_e64 v1, null, v1, v3, vcc_lo
	flat_load_ushort v0, v[0:1]
	s_waitcnt vmcnt(0) lgkmcnt(0)
	v_mul_f16_e32 v1, s2, v0
.LBB145_3:
	v_add_co_u32 v0, vcc_lo, s0, v4
	v_add_co_ci_u32_e64 v4, null, s1, v5, vcc_lo
	v_add_co_u32 v2, vcc_lo, v0, v2
	v_add_co_ci_u32_e64 v3, null, v4, v3, vcc_lo
	flat_store_short v[2:3], v1
.LBB145_4:
	s_endpgm
	.section	.rodata,"a",@progbits
	.p2align	6, 0x0
	.amdhsa_kernel _ZN12_GLOBAL__N_125rocblas_gemm_scale_kernelILi32ELi32EDF16_PKPDF16_EEviiT1_T2_llli
		.amdhsa_group_segment_fixed_size 0
		.amdhsa_private_segment_fixed_size 0
		.amdhsa_kernarg_size 52
		.amdhsa_user_sgpr_count 6
		.amdhsa_user_sgpr_private_segment_buffer 1
		.amdhsa_user_sgpr_dispatch_ptr 0
		.amdhsa_user_sgpr_queue_ptr 0
		.amdhsa_user_sgpr_kernarg_segment_ptr 1
		.amdhsa_user_sgpr_dispatch_id 0
		.amdhsa_user_sgpr_flat_scratch_init 0
		.amdhsa_user_sgpr_private_segment_size 0
		.amdhsa_wavefront_size32 1
		.amdhsa_uses_dynamic_stack 0
		.amdhsa_system_sgpr_private_segment_wavefront_offset 0
		.amdhsa_system_sgpr_workgroup_id_x 1
		.amdhsa_system_sgpr_workgroup_id_y 1
		.amdhsa_system_sgpr_workgroup_id_z 1
		.amdhsa_system_sgpr_workgroup_info 0
		.amdhsa_system_vgpr_workitem_id 1
		.amdhsa_next_free_vgpr 6
		.amdhsa_next_free_sgpr 10
		.amdhsa_reserve_vcc 1
		.amdhsa_reserve_flat_scratch 0
		.amdhsa_float_round_mode_32 0
		.amdhsa_float_round_mode_16_64 0
		.amdhsa_float_denorm_mode_32 3
		.amdhsa_float_denorm_mode_16_64 3
		.amdhsa_dx10_clamp 1
		.amdhsa_ieee_mode 1
		.amdhsa_fp16_overflow 0
		.amdhsa_workgroup_processor_mode 1
		.amdhsa_memory_ordered 1
		.amdhsa_forward_progress 1
		.amdhsa_shared_vgpr_count 0
		.amdhsa_exception_fp_ieee_invalid_op 0
		.amdhsa_exception_fp_denorm_src 0
		.amdhsa_exception_fp_ieee_div_zero 0
		.amdhsa_exception_fp_ieee_overflow 0
		.amdhsa_exception_fp_ieee_underflow 0
		.amdhsa_exception_fp_ieee_inexact 0
		.amdhsa_exception_int_div_zero 0
	.end_amdhsa_kernel
	.section	.text._ZN12_GLOBAL__N_125rocblas_gemm_scale_kernelILi32ELi32EDF16_PKPDF16_EEviiT1_T2_llli,"axG",@progbits,_ZN12_GLOBAL__N_125rocblas_gemm_scale_kernelILi32ELi32EDF16_PKPDF16_EEviiT1_T2_llli,comdat
.Lfunc_end145:
	.size	_ZN12_GLOBAL__N_125rocblas_gemm_scale_kernelILi32ELi32EDF16_PKPDF16_EEviiT1_T2_llli, .Lfunc_end145-_ZN12_GLOBAL__N_125rocblas_gemm_scale_kernelILi32ELi32EDF16_PKPDF16_EEviiT1_T2_llli
                                        ; -- End function
	.set _ZN12_GLOBAL__N_125rocblas_gemm_scale_kernelILi32ELi32EDF16_PKPDF16_EEviiT1_T2_llli.num_vgpr, 6
	.set _ZN12_GLOBAL__N_125rocblas_gemm_scale_kernelILi32ELi32EDF16_PKPDF16_EEviiT1_T2_llli.num_agpr, 0
	.set _ZN12_GLOBAL__N_125rocblas_gemm_scale_kernelILi32ELi32EDF16_PKPDF16_EEviiT1_T2_llli.numbered_sgpr, 10
	.set _ZN12_GLOBAL__N_125rocblas_gemm_scale_kernelILi32ELi32EDF16_PKPDF16_EEviiT1_T2_llli.num_named_barrier, 0
	.set _ZN12_GLOBAL__N_125rocblas_gemm_scale_kernelILi32ELi32EDF16_PKPDF16_EEviiT1_T2_llli.private_seg_size, 0
	.set _ZN12_GLOBAL__N_125rocblas_gemm_scale_kernelILi32ELi32EDF16_PKPDF16_EEviiT1_T2_llli.uses_vcc, 1
	.set _ZN12_GLOBAL__N_125rocblas_gemm_scale_kernelILi32ELi32EDF16_PKPDF16_EEviiT1_T2_llli.uses_flat_scratch, 0
	.set _ZN12_GLOBAL__N_125rocblas_gemm_scale_kernelILi32ELi32EDF16_PKPDF16_EEviiT1_T2_llli.has_dyn_sized_stack, 0
	.set _ZN12_GLOBAL__N_125rocblas_gemm_scale_kernelILi32ELi32EDF16_PKPDF16_EEviiT1_T2_llli.has_recursion, 0
	.set _ZN12_GLOBAL__N_125rocblas_gemm_scale_kernelILi32ELi32EDF16_PKPDF16_EEviiT1_T2_llli.has_indirect_call, 0
	.section	.AMDGPU.csdata,"",@progbits
; Kernel info:
; codeLenInByte = 260
; TotalNumSgprs: 12
; NumVgprs: 6
; ScratchSize: 0
; MemoryBound: 0
; FloatMode: 240
; IeeeMode: 1
; LDSByteSize: 0 bytes/workgroup (compile time only)
; SGPRBlocks: 0
; VGPRBlocks: 0
; NumSGPRsForWavesPerEU: 12
; NumVGPRsForWavesPerEU: 6
; Occupancy: 16
; WaveLimiterHint : 1
; COMPUTE_PGM_RSRC2:SCRATCH_EN: 0
; COMPUTE_PGM_RSRC2:USER_SGPR: 6
; COMPUTE_PGM_RSRC2:TRAP_HANDLER: 0
; COMPUTE_PGM_RSRC2:TGID_X_EN: 1
; COMPUTE_PGM_RSRC2:TGID_Y_EN: 1
; COMPUTE_PGM_RSRC2:TGID_Z_EN: 1
; COMPUTE_PGM_RSRC2:TIDIG_COMP_CNT: 1
	.section	.text._ZN12_GLOBAL__N_120gemm_ex_scale_kernelILi32ELi32EDF16_PKPKDF16_PKPDF16_EEviiT1_T2_lllT3_llli,"axG",@progbits,_ZN12_GLOBAL__N_120gemm_ex_scale_kernelILi32ELi32EDF16_PKPKDF16_PKPDF16_EEviiT1_T2_lllT3_llli,comdat
	.globl	_ZN12_GLOBAL__N_120gemm_ex_scale_kernelILi32ELi32EDF16_PKPKDF16_PKPDF16_EEviiT1_T2_lllT3_llli ; -- Begin function _ZN12_GLOBAL__N_120gemm_ex_scale_kernelILi32ELi32EDF16_PKPKDF16_PKPDF16_EEviiT1_T2_lllT3_llli
	.p2align	8
	.type	_ZN12_GLOBAL__N_120gemm_ex_scale_kernelILi32ELi32EDF16_PKPKDF16_PKPDF16_EEviiT1_T2_lllT3_llli,@function
_ZN12_GLOBAL__N_120gemm_ex_scale_kernelILi32ELi32EDF16_PKPKDF16_PKPDF16_EEviiT1_T2_lllT3_llli: ; @_ZN12_GLOBAL__N_120gemm_ex_scale_kernelILi32ELi32EDF16_PKPKDF16_PKPDF16_EEviiT1_T2_lllT3_llli
; %bb.0:
	s_clause 0x1
	s_load_dwordx8 s[12:19], s[4:5], 0x0
	s_load_dwordx2 s[10:11], s[4:5], 0x20
	s_mov_b32 s9, 0
	s_waitcnt lgkmcnt(0)
	v_cmp_eq_f16_e64 s15, s14, 0
	s_and_b32 vcc_lo, exec_lo, s15
	s_cbranch_vccnz .LBB146_2
; %bb.1:
	s_lshl_b64 s[0:1], s[8:9], 3
	s_add_u32 s0, s16, s0
	s_addc_u32 s1, s17, s1
	s_lshl_b64 s[2:3], s[18:19], 1
	s_load_dwordx2 s[0:1], s[0:1], 0x0
	s_waitcnt lgkmcnt(0)
	s_add_u32 s16, s0, s2
	s_addc_u32 s17, s1, s3
	s_branch .LBB146_3
.LBB146_2:
	s_mov_b64 s[16:17], 0
.LBB146_3:
	v_lshl_add_u32 v0, s6, 5, v0
	v_lshl_add_u32 v4, s7, 5, v1
	v_cmp_gt_u32_e32 vcc_lo, s12, v0
	v_cmp_gt_u32_e64 s0, s13, v4
	s_and_b32 s0, vcc_lo, s0
	s_and_saveexec_b32 s1, s0
	s_cbranch_execz .LBB146_9
; %bb.4:
	s_load_dwordx4 s[0:3], s[4:5], 0x30
	s_lshl_b64 s[6:7], s[8:9], 3
	s_load_dwordx2 s[4:5], s[4:5], 0x40
	v_mov_b32_e32 v1, 0
	s_waitcnt lgkmcnt(0)
	s_add_u32 s0, s0, s6
	s_addc_u32 s1, s1, s7
	s_andn2_b32 vcc_lo, exec_lo, s15
	s_load_dwordx2 s[0:1], s[0:1], 0x0
	s_cbranch_vccnz .LBB146_6
; %bb.5:
	v_mov_b32_e32 v3, 0
	v_mov_b32_e32 v2, v0
	s_cbranch_execz .LBB146_7
	s_branch .LBB146_8
.LBB146_6:
	v_mov_b32_e32 v3, v1
	v_mov_b32_e32 v2, v0
.LBB146_7:
	v_mad_u64_u32 v[5:6], null, s10, v4, 0
	v_lshlrev_b64 v[0:1], 1, v[0:1]
	v_mad_u64_u32 v[6:7], null, s11, v4, v[6:7]
	v_lshlrev_b64 v[5:6], 1, v[5:6]
	v_add_co_u32 v5, vcc_lo, s16, v5
	v_add_co_ci_u32_e64 v6, null, s17, v6, vcc_lo
	v_add_co_u32 v0, vcc_lo, v5, v0
	v_add_co_ci_u32_e64 v1, null, v6, v1, vcc_lo
	flat_load_ushort v0, v[0:1]
	s_waitcnt vmcnt(0) lgkmcnt(0)
	v_mul_f16_e32 v1, s14, v0
.LBB146_8:
	v_mad_u64_u32 v[5:6], null, s4, v4, 0
	s_lshl_b64 s[2:3], s[2:3], 1
	v_lshlrev_b64 v[2:3], 1, v[2:3]
	s_waitcnt lgkmcnt(0)
	s_add_u32 s0, s0, s2
	s_addc_u32 s1, s1, s3
	v_mov_b32_e32 v0, v6
	v_mad_u64_u32 v[6:7], null, s5, v4, v[0:1]
	v_lshlrev_b64 v[4:5], 1, v[5:6]
	v_add_co_u32 v0, vcc_lo, s0, v4
	v_add_co_ci_u32_e64 v4, null, s1, v5, vcc_lo
	v_add_co_u32 v2, vcc_lo, v0, v2
	v_add_co_ci_u32_e64 v3, null, v4, v3, vcc_lo
	flat_store_short v[2:3], v1
.LBB146_9:
	s_endpgm
	.section	.rodata,"a",@progbits
	.p2align	6, 0x0
	.amdhsa_kernel _ZN12_GLOBAL__N_120gemm_ex_scale_kernelILi32ELi32EDF16_PKPKDF16_PKPDF16_EEviiT1_T2_lllT3_llli
		.amdhsa_group_segment_fixed_size 0
		.amdhsa_private_segment_fixed_size 0
		.amdhsa_kernarg_size 84
		.amdhsa_user_sgpr_count 6
		.amdhsa_user_sgpr_private_segment_buffer 1
		.amdhsa_user_sgpr_dispatch_ptr 0
		.amdhsa_user_sgpr_queue_ptr 0
		.amdhsa_user_sgpr_kernarg_segment_ptr 1
		.amdhsa_user_sgpr_dispatch_id 0
		.amdhsa_user_sgpr_flat_scratch_init 0
		.amdhsa_user_sgpr_private_segment_size 0
		.amdhsa_wavefront_size32 1
		.amdhsa_uses_dynamic_stack 0
		.amdhsa_system_sgpr_private_segment_wavefront_offset 0
		.amdhsa_system_sgpr_workgroup_id_x 1
		.amdhsa_system_sgpr_workgroup_id_y 1
		.amdhsa_system_sgpr_workgroup_id_z 1
		.amdhsa_system_sgpr_workgroup_info 0
		.amdhsa_system_vgpr_workitem_id 1
		.amdhsa_next_free_vgpr 8
		.amdhsa_next_free_sgpr 20
		.amdhsa_reserve_vcc 1
		.amdhsa_reserve_flat_scratch 0
		.amdhsa_float_round_mode_32 0
		.amdhsa_float_round_mode_16_64 0
		.amdhsa_float_denorm_mode_32 3
		.amdhsa_float_denorm_mode_16_64 3
		.amdhsa_dx10_clamp 1
		.amdhsa_ieee_mode 1
		.amdhsa_fp16_overflow 0
		.amdhsa_workgroup_processor_mode 1
		.amdhsa_memory_ordered 1
		.amdhsa_forward_progress 1
		.amdhsa_shared_vgpr_count 0
		.amdhsa_exception_fp_ieee_invalid_op 0
		.amdhsa_exception_fp_denorm_src 0
		.amdhsa_exception_fp_ieee_div_zero 0
		.amdhsa_exception_fp_ieee_overflow 0
		.amdhsa_exception_fp_ieee_underflow 0
		.amdhsa_exception_fp_ieee_inexact 0
		.amdhsa_exception_int_div_zero 0
	.end_amdhsa_kernel
	.section	.text._ZN12_GLOBAL__N_120gemm_ex_scale_kernelILi32ELi32EDF16_PKPKDF16_PKPDF16_EEviiT1_T2_lllT3_llli,"axG",@progbits,_ZN12_GLOBAL__N_120gemm_ex_scale_kernelILi32ELi32EDF16_PKPKDF16_PKPDF16_EEviiT1_T2_lllT3_llli,comdat
.Lfunc_end146:
	.size	_ZN12_GLOBAL__N_120gemm_ex_scale_kernelILi32ELi32EDF16_PKPKDF16_PKPDF16_EEviiT1_T2_lllT3_llli, .Lfunc_end146-_ZN12_GLOBAL__N_120gemm_ex_scale_kernelILi32ELi32EDF16_PKPKDF16_PKPDF16_EEviiT1_T2_lllT3_llli
                                        ; -- End function
	.set _ZN12_GLOBAL__N_120gemm_ex_scale_kernelILi32ELi32EDF16_PKPKDF16_PKPDF16_EEviiT1_T2_lllT3_llli.num_vgpr, 8
	.set _ZN12_GLOBAL__N_120gemm_ex_scale_kernelILi32ELi32EDF16_PKPKDF16_PKPDF16_EEviiT1_T2_lllT3_llli.num_agpr, 0
	.set _ZN12_GLOBAL__N_120gemm_ex_scale_kernelILi32ELi32EDF16_PKPKDF16_PKPDF16_EEviiT1_T2_lllT3_llli.numbered_sgpr, 20
	.set _ZN12_GLOBAL__N_120gemm_ex_scale_kernelILi32ELi32EDF16_PKPKDF16_PKPDF16_EEviiT1_T2_lllT3_llli.num_named_barrier, 0
	.set _ZN12_GLOBAL__N_120gemm_ex_scale_kernelILi32ELi32EDF16_PKPKDF16_PKPDF16_EEviiT1_T2_lllT3_llli.private_seg_size, 0
	.set _ZN12_GLOBAL__N_120gemm_ex_scale_kernelILi32ELi32EDF16_PKPKDF16_PKPDF16_EEviiT1_T2_lllT3_llli.uses_vcc, 1
	.set _ZN12_GLOBAL__N_120gemm_ex_scale_kernelILi32ELi32EDF16_PKPKDF16_PKPDF16_EEviiT1_T2_lllT3_llli.uses_flat_scratch, 0
	.set _ZN12_GLOBAL__N_120gemm_ex_scale_kernelILi32ELi32EDF16_PKPKDF16_PKPDF16_EEviiT1_T2_lllT3_llli.has_dyn_sized_stack, 0
	.set _ZN12_GLOBAL__N_120gemm_ex_scale_kernelILi32ELi32EDF16_PKPKDF16_PKPDF16_EEviiT1_T2_lllT3_llli.has_recursion, 0
	.set _ZN12_GLOBAL__N_120gemm_ex_scale_kernelILi32ELi32EDF16_PKPKDF16_PKPDF16_EEviiT1_T2_lllT3_llli.has_indirect_call, 0
	.section	.AMDGPU.csdata,"",@progbits
; Kernel info:
; codeLenInByte = 380
; TotalNumSgprs: 22
; NumVgprs: 8
; ScratchSize: 0
; MemoryBound: 0
; FloatMode: 240
; IeeeMode: 1
; LDSByteSize: 0 bytes/workgroup (compile time only)
; SGPRBlocks: 0
; VGPRBlocks: 0
; NumSGPRsForWavesPerEU: 22
; NumVGPRsForWavesPerEU: 8
; Occupancy: 16
; WaveLimiterHint : 1
; COMPUTE_PGM_RSRC2:SCRATCH_EN: 0
; COMPUTE_PGM_RSRC2:USER_SGPR: 6
; COMPUTE_PGM_RSRC2:TRAP_HANDLER: 0
; COMPUTE_PGM_RSRC2:TGID_X_EN: 1
; COMPUTE_PGM_RSRC2:TGID_Y_EN: 1
; COMPUTE_PGM_RSRC2:TGID_Z_EN: 1
; COMPUTE_PGM_RSRC2:TIDIG_COMP_CNT: 1
	.section	.text._ZN12_GLOBAL__N_127rocblas_gemm_batched_kernelIDF16_Li16ELi16ELi64ELi64ELi4ELi64ELi4ELi4ELi64ELc78ELc78EKPKDF16_S3_KPDF16_EEvlllT_PT11_llS8_llS6_PT12_llPT13_lli,"axG",@progbits,_ZN12_GLOBAL__N_127rocblas_gemm_batched_kernelIDF16_Li16ELi16ELi64ELi64ELi4ELi64ELi4ELi4ELi64ELc78ELc78EKPKDF16_S3_KPDF16_EEvlllT_PT11_llS8_llS6_PT12_llPT13_lli,comdat
	.globl	_ZN12_GLOBAL__N_127rocblas_gemm_batched_kernelIDF16_Li16ELi16ELi64ELi64ELi4ELi64ELi4ELi4ELi64ELc78ELc78EKPKDF16_S3_KPDF16_EEvlllT_PT11_llS8_llS6_PT12_llPT13_lli ; -- Begin function _ZN12_GLOBAL__N_127rocblas_gemm_batched_kernelIDF16_Li16ELi16ELi64ELi64ELi4ELi64ELi4ELi4ELi64ELc78ELc78EKPKDF16_S3_KPDF16_EEvlllT_PT11_llS8_llS6_PT12_llPT13_lli
	.p2align	8
	.type	_ZN12_GLOBAL__N_127rocblas_gemm_batched_kernelIDF16_Li16ELi16ELi64ELi64ELi4ELi64ELi4ELi4ELi64ELc78ELc78EKPKDF16_S3_KPDF16_EEvlllT_PT11_llS8_llS6_PT12_llPT13_lli,@function
_ZN12_GLOBAL__N_127rocblas_gemm_batched_kernelIDF16_Li16ELi16ELi64ELi64ELi4ELi64ELi4ELi4ELi64ELc78ELc78EKPKDF16_S3_KPDF16_EEvlllT_PT11_llS8_llS6_PT12_llPT13_lli: ; @_ZN12_GLOBAL__N_127rocblas_gemm_batched_kernelIDF16_Li16ELi16ELi64ELi64ELi4ELi64ELi4ELi4ELi64ELc78ELc78EKPKDF16_S3_KPDF16_EEvlllT_PT11_llS8_llS6_PT12_llPT13_lli
; %bb.0:
	s_clause 0x1
	s_load_dwordx8 s[12:19], s[4:5], 0x58
	s_load_dwordx2 s[30:31], s[4:5], 0x10
	s_mov_b32 s9, 0
	s_mov_b32 s0, s7
	s_lshl_b64 s[34:35], s[8:9], 3
	s_load_dwordx4 s[8:11], s[4:5], 0x78
	s_waitcnt lgkmcnt(0)
	s_add_u32 s2, s12, s34
	s_addc_u32 s3, s13, s35
	s_add_u32 s18, s18, s34
	s_addc_u32 s19, s19, s35
	s_load_dwordx2 s[12:13], s[2:3], 0x0
	s_load_dwordx2 s[18:19], s[18:19], 0x0
	v_cmp_lt_i64_e64 s2, s[30:31], 1
	s_ashr_i32 s7, s6, 31
	s_ashr_i32 s1, s0, 31
	s_lshl_b64 s[6:7], s[6:7], 6
	s_lshl_b64 s[28:29], s[0:1], 6
	s_and_b32 vcc_lo, exec_lo, s2
	s_cbranch_vccnz .LBB147_3
; %bb.1:
	s_load_dwordx4 s[0:3], s[4:5], 0x40
	v_lshl_add_u32 v2, v1, 4, v0
	s_load_dwordx8 s[20:27], s[4:5], 0x20
	v_and_b32_e32 v3, 3, v0
	v_lshlrev_b32_e32 v14, 1, v0
	v_lshl_add_u32 v15, v1, 3, 0x200
	v_lshrrev_b32_e32 v4, 2, v2
	v_and_b32_e32 v7, 63, v2
	v_lshrrev_b32_e32 v8, 6, v2
	v_lshlrev_b32_e32 v9, 1, v3
	v_mov_b32_e32 v13, 0
	v_add_co_u32 v5, s33, v4, s28
	v_add_co_ci_u32_e64 v6, null, 0, s29, s33
	v_lshl_or_b32 v12, v4, 3, v9
	v_lshlrev_b32_e32 v10, 1, v7
	v_add_nc_u32_e32 v17, 0x200, v12
	s_waitcnt lgkmcnt(0)
	v_mul_lo_u32 v11, s1, v5
	v_mul_lo_u32 v6, s0, v6
	v_mad_u64_u32 v[2:3], null, s0, v5, 0
	v_mad_u64_u32 v[4:5], null, s22, v8, s[6:7]
	s_add_u32 s0, s20, s34
	s_addc_u32 s1, s21, s35
	s_add_u32 s20, s26, s34
	s_addc_u32 s21, s27, s35
	v_add3_u32 v3, v3, v6, v11
	s_load_dwordx2 s[20:21], s[20:21], 0x0
	s_load_dwordx2 s[0:1], s[0:1], 0x0
	v_mad_u64_u32 v[5:6], null, s23, v8, v[5:6]
	v_lshlrev_b64 v[2:3], 1, v[2:3]
	s_lshl_b64 s[2:3], s[2:3], 1
	v_lshl_or_b32 v16, v8, 7, v10
	v_mov_b32_e32 v10, 0
	v_mov_b32_e32 v11, 0
	;; [unrolled: 1-line block ×3, first 2 shown]
	v_add_co_u32 v6, vcc_lo, v2, s2
	v_add_co_ci_u32_e64 v8, null, s3, v3, vcc_lo
	v_add_co_u32 v2, vcc_lo, v4, v7
	v_add_co_ci_u32_e64 v3, null, 0, v5, vcc_lo
	;; [unrolled: 2-line block ×3, first 2 shown]
	v_lshlrev_b64 v[4:5], 1, v[2:3]
	s_lshl_b64 s[2:3], s[24:25], 1
	s_waitcnt lgkmcnt(0)
	v_add_co_u32 v2, vcc_lo, s20, v6
	s_add_u32 s0, s0, s2
	v_add_co_ci_u32_e64 v3, null, s21, v7, vcc_lo
	s_addc_u32 s1, s1, s3
	v_add_co_u32 v4, vcc_lo, s0, v4
	v_add_co_ci_u32_e64 v5, null, s1, v5, vcc_lo
	v_mov_b32_e32 v6, 0
	v_mov_b32_e32 v7, 0
	;; [unrolled: 1-line block ×4, first 2 shown]
	s_lshl_b64 s[2:3], s[22:23], 3
	s_mov_b64 s[20:21], 0
.LBB147_2:                              ; =>This Inner Loop Header: Depth=1
	flat_load_ushort v18, v[4:5]
	s_add_u32 s20, s20, 4
	s_addc_u32 s21, s21, 0
	v_add_co_u32 v4, vcc_lo, v4, s2
	v_cmp_lt_i64_e64 s0, s[20:21], s[30:31]
	v_add_co_ci_u32_e64 v5, null, s3, v5, vcc_lo
	s_and_b32 vcc_lo, exec_lo, s0
	s_waitcnt vmcnt(0) lgkmcnt(0)
	ds_write_b16 v16, v18
	flat_load_ushort v18, v[2:3]
	v_add_co_u32 v2, s0, v2, 8
	v_add_co_ci_u32_e64 v3, null, 0, v3, s0
	s_waitcnt vmcnt(0) lgkmcnt(0)
	ds_write_b16 v17, v18
	s_waitcnt lgkmcnt(0)
	s_barrier
	buffer_gl0_inv
	ds_read_u16 v26, v14 offset:32
	ds_read_u16 v27, v14 offset:96
	;; [unrolled: 1-line block ×8, first 2 shown]
	ds_read2_b64 v[18:21], v15 offset1:16
	ds_read2_b64 v[22:25], v15 offset0:32 offset1:48
	s_waitcnt lgkmcnt(9)
	ds_read_u16_d16_hi v26, v14
	s_waitcnt lgkmcnt(9)
	ds_read_u16_d16_hi v27, v14 offset:64
	s_waitcnt lgkmcnt(9)
	ds_read_u16_d16_hi v28, v14 offset:128
	;; [unrolled: 2-line block ×7, first 2 shown]
	s_waitcnt lgkmcnt(0)
	s_barrier
	buffer_gl0_inv
	v_pk_fma_f16 v13, v26, v18, v13 op_sel_hi:[1,0,1]
	v_pk_fma_f16 v12, v27, v18, v12 op_sel_hi:[1,0,1]
	;; [unrolled: 1-line block ×8, first 2 shown]
	v_pk_fma_f16 v13, v28, v18, v13 op_sel:[0,1,0]
	v_pk_fma_f16 v12, v29, v18, v12 op_sel:[0,1,0]
	;; [unrolled: 1-line block ×8, first 2 shown]
	v_pk_fma_f16 v13, v30, v19, v13 op_sel_hi:[1,0,1]
	v_pk_fma_f16 v12, v31, v19, v12 op_sel_hi:[1,0,1]
	;; [unrolled: 1-line block ×8, first 2 shown]
	v_pk_fma_f16 v13, v32, v19, v13 op_sel:[0,1,0]
	v_pk_fma_f16 v12, v33, v19, v12 op_sel:[0,1,0]
	;; [unrolled: 1-line block ×8, first 2 shown]
	s_cbranch_vccnz .LBB147_2
	s_branch .LBB147_4
.LBB147_3:
	v_mov_b32_e32 v13, 0
	v_mov_b32_e32 v12, 0
	;; [unrolled: 1-line block ×8, first 2 shown]
.LBB147_4:
	s_clause 0x1
	s_load_dword s1, s[4:5], 0x50
	s_load_dword s0, s[4:5], 0x18
	v_add_co_u32 v17, s4, s28, v1
	v_add_co_ci_u32_e64 v21, null, s29, 0, s4
	v_add_co_u32 v0, s4, s6, v0
	v_add_co_ci_u32_e64 v1, null, s7, 0, s4
	v_mul_lo_u32 v19, v21, s8
	v_mul_lo_u32 v20, v17, s9
	s_lshl_b64 s[2:3], s[10:11], 1
	v_lshlrev_b64 v[0:1], 1, v[0:1]
	v_lshrrev_b32_e32 v18, 16, v13
	v_lshrrev_b32_e32 v16, 16, v12
	;; [unrolled: 1-line block ×6, first 2 shown]
	s_waitcnt lgkmcnt(0)
	v_cmp_neq_f16_e64 s4, s1, 0
	v_lshrrev_b32_e32 v3, 16, v7
	v_lshrrev_b32_e32 v2, 16, v6
	s_add_u32 s2, s18, s2
	s_addc_u32 s3, s19, s3
	s_and_b32 vcc_lo, exec_lo, s4
	s_mov_b32 s4, 0
	s_cbranch_vccnz .LBB147_8
; %bb.5:
	v_mad_u64_u32 v[22:23], null, v17, s8, 0
	s_lshl_b64 s[6:7], s[8:9], 5
	v_mul_f16_sdwa v26, s0, v13 dst_sel:DWORD dst_unused:UNUSED_PAD src0_sel:DWORD src1_sel:WORD_1
	v_mul_f16_e32 v27, s0, v13
	v_mul_f16_sdwa v28, s0, v12 dst_sel:DWORD dst_unused:UNUSED_PAD src0_sel:DWORD src1_sel:WORD_1
	v_mul_f16_e32 v29, s0, v12
	v_mul_f16_sdwa v30, s0, v11 dst_sel:DWORD dst_unused:UNUSED_PAD src0_sel:DWORD src1_sel:WORD_1
	v_add3_u32 v23, v23, v20, v19
	v_mul_f16_e32 v31, s0, v11
	v_mul_f16_sdwa v32, s0, v10 dst_sel:DWORD dst_unused:UNUSED_PAD src0_sel:DWORD src1_sel:WORD_1
	v_mul_f16_e32 v33, s0, v10
	v_lshlrev_b64 v[22:23], 1, v[22:23]
	v_add_co_u32 v22, vcc_lo, s2, v22
	v_add_co_ci_u32_e64 v23, null, s3, v23, vcc_lo
	v_add_co_u32 v34, vcc_lo, v22, s6
	v_add_co_ci_u32_e64 v35, null, s7, v23, vcc_lo
	v_add_co_u32 v22, vcc_lo, v22, v0
	v_add_co_ci_u32_e64 v23, null, v23, v1, vcc_lo
	v_add_co_u32 v24, vcc_lo, v34, v0
	v_add_co_ci_u32_e64 v25, null, v35, v1, vcc_lo
	flat_store_short v[22:23], v26
	flat_store_short v[22:23], v27 offset:32
	flat_store_short v[22:23], v28 offset:64
	;; [unrolled: 1-line block ×3, first 2 shown]
	flat_store_short v[24:25], v30
	flat_store_short v[24:25], v31 offset:32
	v_add_co_u32 v26, vcc_lo, v34, s6
	v_add_co_ci_u32_e64 v27, null, s7, v35, vcc_lo
	v_mul_f16_sdwa v28, s0, v9 dst_sel:DWORD dst_unused:UNUSED_PAD src0_sel:DWORD src1_sel:WORD_1
	v_add_co_u32 v22, vcc_lo, v26, v0
	v_add_co_ci_u32_e64 v23, null, v27, v1, vcc_lo
	v_mul_f16_e32 v29, s0, v9
	v_mul_f16_sdwa v30, s0, v8 dst_sel:DWORD dst_unused:UNUSED_PAD src0_sel:DWORD src1_sel:WORD_1
	flat_store_short v[24:25], v32 offset:64
	flat_store_short v[24:25], v33 offset:96
	flat_store_short v[22:23], v28
	flat_store_short v[22:23], v29 offset:32
	flat_store_short v[22:23], v30 offset:64
	v_add_co_u32 v24, vcc_lo, v26, s6
	v_add_co_ci_u32_e64 v25, null, s7, v27, vcc_lo
	v_mul_f16_e32 v28, s0, v8
	v_add_co_u32 v24, vcc_lo, v24, v0
	v_mul_f16_sdwa v26, s0, v7 dst_sel:DWORD dst_unused:UNUSED_PAD src0_sel:DWORD src1_sel:WORD_1
	v_add_co_ci_u32_e64 v25, null, v25, v1, vcc_lo
	v_mul_f16_e32 v27, s0, v7
	v_mul_f16_sdwa v29, s0, v6 dst_sel:DWORD dst_unused:UNUSED_PAD src0_sel:DWORD src1_sel:WORD_1
	v_mul_f16_e32 v30, s0, v6
	flat_store_short v[22:23], v28 offset:96
	flat_store_short v[24:25], v26
	flat_store_short v[24:25], v27 offset:32
	flat_store_short v[24:25], v29 offset:64
	;; [unrolled: 1-line block ×3, first 2 shown]
	s_andn2_b32 vcc_lo, exec_lo, s4
	s_cbranch_vccnz .LBB147_7
.LBB147_6:
	v_mul_lo_u32 v23, v21, s14
	v_mul_lo_u32 v24, v17, s15
	v_mad_u64_u32 v[21:22], null, v17, s14, 0
	s_lshl_b64 s[4:5], s[16:17], 1
	s_add_u32 s4, s12, s4
	s_addc_u32 s5, s13, s5
	v_add3_u32 v22, v22, v24, v23
	v_mad_u64_u32 v[23:24], null, v17, s8, 0
	v_lshlrev_b64 v[21:22], 1, v[21:22]
	v_add3_u32 v24, v24, v20, v19
	v_add_co_u32 v25, vcc_lo, s4, v21
	v_add_co_ci_u32_e64 v26, null, s5, v22, vcc_lo
	v_lshlrev_b64 v[19:20], 1, v[23:24]
	v_add_co_u32 v21, vcc_lo, v25, v0
	v_add_co_ci_u32_e64 v22, null, v26, v1, vcc_lo
	s_lshl_b64 s[4:5], s[8:9], 5
	v_add_co_u32 v17, vcc_lo, s2, v19
	flat_load_ushort v27, v[21:22]
	v_add_co_ci_u32_e64 v23, null, s3, v20, vcc_lo
	v_add_co_u32 v19, vcc_lo, v17, v0
	s_lshl_b64 s[2:3], s[14:15], 5
	v_add_co_ci_u32_e64 v20, null, v23, v1, vcc_lo
	s_waitcnt vmcnt(0) lgkmcnt(0)
	v_mul_f16_e32 v24, s1, v27
	v_fmac_f16_e32 v24, s0, v18
	flat_store_short v[19:20], v24
	flat_load_ushort v18, v[21:22] offset:32
	s_waitcnt vmcnt(0) lgkmcnt(0)
	v_mul_f16_e32 v18, s1, v18
	v_fmac_f16_e32 v18, s0, v13
	flat_store_short v[19:20], v18 offset:32
	flat_load_ushort v13, v[21:22] offset:64
	v_add_co_u32 v18, vcc_lo, v25, s2
	s_waitcnt vmcnt(0) lgkmcnt(0)
	v_mul_f16_e32 v13, s1, v13
	v_fmac_f16_e32 v13, s0, v16
	flat_store_short v[19:20], v13 offset:64
	flat_load_ushort v13, v[21:22] offset:96
	v_add_co_ci_u32_e64 v21, null, s3, v26, vcc_lo
	s_waitcnt vmcnt(0) lgkmcnt(0)
	v_mul_f16_e32 v16, s1, v13
	v_fmac_f16_e32 v16, s0, v12
	v_add_co_u32 v12, vcc_lo, v18, v0
	v_add_co_ci_u32_e64 v13, null, v21, v1, vcc_lo
	flat_store_short v[19:20], v16 offset:96
	v_add_co_u32 v19, vcc_lo, v17, s4
	flat_load_ushort v16, v[12:13]
	v_add_co_ci_u32_e64 v20, null, s5, v23, vcc_lo
	s_waitcnt vmcnt(0) lgkmcnt(0)
	v_mul_f16_e32 v22, s1, v16
	v_add_co_u32 v16, vcc_lo, v19, v0
	v_add_co_ci_u32_e64 v17, null, v20, v1, vcc_lo
	v_fmac_f16_e32 v22, s0, v15
	flat_store_short v[16:17], v22
	flat_load_ushort v15, v[12:13] offset:32
	s_waitcnt vmcnt(0) lgkmcnt(0)
	v_mul_f16_e32 v15, s1, v15
	v_fmac_f16_e32 v15, s0, v11
	flat_store_short v[16:17], v15 offset:32
	flat_load_ushort v11, v[12:13] offset:64
	s_waitcnt vmcnt(0) lgkmcnt(0)
	v_mul_f16_e32 v11, s1, v11
	v_fmac_f16_e32 v11, s0, v14
	v_add_co_u32 v14, vcc_lo, v18, s2
	v_add_co_ci_u32_e64 v15, null, s3, v21, vcc_lo
	flat_store_short v[16:17], v11 offset:64
	flat_load_ushort v11, v[12:13] offset:96
	s_waitcnt vmcnt(0) lgkmcnt(0)
	v_mul_f16_e32 v12, s1, v11
	v_fmac_f16_e32 v12, s0, v10
	v_add_co_u32 v10, vcc_lo, v14, v0
	v_add_co_ci_u32_e64 v11, null, v15, v1, vcc_lo
	flat_store_short v[16:17], v12 offset:96
	v_add_co_u32 v16, vcc_lo, v19, s4
	flat_load_ushort v12, v[10:11]
	v_add_co_ci_u32_e64 v17, null, s5, v20, vcc_lo
	s_waitcnt vmcnt(0) lgkmcnt(0)
	v_mul_f16_e32 v18, s1, v12
	v_add_co_u32 v12, vcc_lo, v16, v0
	v_add_co_ci_u32_e64 v13, null, v17, v1, vcc_lo
	v_fmac_f16_e32 v18, s0, v5
	flat_store_short v[12:13], v18
	flat_load_ushort v5, v[10:11] offset:32
	s_waitcnt vmcnt(0) lgkmcnt(0)
	v_mul_f16_e32 v5, s1, v5
	v_fmac_f16_e32 v5, s0, v9
	flat_store_short v[12:13], v5 offset:32
	flat_load_ushort v5, v[10:11] offset:64
	s_waitcnt vmcnt(0) lgkmcnt(0)
	v_mul_f16_e32 v5, s1, v5
	v_fmac_f16_e32 v5, s0, v4
	flat_store_short v[12:13], v5 offset:64
	flat_load_ushort v4, v[10:11] offset:96
	s_waitcnt vmcnt(0) lgkmcnt(0)
	v_mul_f16_e32 v9, s1, v4
	v_add_co_u32 v4, vcc_lo, v14, s2
	v_add_co_ci_u32_e64 v5, null, s3, v15, vcc_lo
	v_fmac_f16_e32 v9, s0, v8
	v_add_co_u32 v4, vcc_lo, v4, v0
	v_add_co_ci_u32_e64 v5, null, v5, v1, vcc_lo
	flat_store_short v[12:13], v9 offset:96
	v_add_co_u32 v9, vcc_lo, v16, s4
	flat_load_ushort v8, v[4:5]
	v_add_co_ci_u32_e64 v10, null, s5, v17, vcc_lo
	v_add_co_u32 v0, vcc_lo, v9, v0
	v_add_co_ci_u32_e64 v1, null, v10, v1, vcc_lo
	s_waitcnt vmcnt(0) lgkmcnt(0)
	v_mul_f16_e32 v8, s1, v8
	v_fmac_f16_e32 v8, s0, v3
	flat_store_short v[0:1], v8
	flat_load_ushort v3, v[4:5] offset:32
	s_waitcnt vmcnt(0) lgkmcnt(0)
	v_mul_f16_e32 v3, s1, v3
	v_fmac_f16_e32 v3, s0, v7
	flat_store_short v[0:1], v3 offset:32
	flat_load_ushort v3, v[4:5] offset:64
	s_waitcnt vmcnt(0) lgkmcnt(0)
	v_mul_f16_e32 v3, s1, v3
	v_fmac_f16_e32 v3, s0, v2
	flat_store_short v[0:1], v3 offset:64
	flat_load_ushort v2, v[4:5] offset:96
	s_waitcnt vmcnt(0) lgkmcnt(0)
	v_mul_f16_e32 v2, s1, v2
	v_fmac_f16_e32 v2, s0, v6
	flat_store_short v[0:1], v2 offset:96
.LBB147_7:
	s_endpgm
.LBB147_8:
	s_branch .LBB147_6
	.section	.rodata,"a",@progbits
	.p2align	6, 0x0
	.amdhsa_kernel _ZN12_GLOBAL__N_127rocblas_gemm_batched_kernelIDF16_Li16ELi16ELi64ELi64ELi4ELi64ELi4ELi4ELi64ELc78ELc78EKPKDF16_S3_KPDF16_EEvlllT_PT11_llS8_llS6_PT12_llPT13_lli
		.amdhsa_group_segment_fixed_size 1024
		.amdhsa_private_segment_fixed_size 0
		.amdhsa_kernarg_size 140
		.amdhsa_user_sgpr_count 6
		.amdhsa_user_sgpr_private_segment_buffer 1
		.amdhsa_user_sgpr_dispatch_ptr 0
		.amdhsa_user_sgpr_queue_ptr 0
		.amdhsa_user_sgpr_kernarg_segment_ptr 1
		.amdhsa_user_sgpr_dispatch_id 0
		.amdhsa_user_sgpr_flat_scratch_init 0
		.amdhsa_user_sgpr_private_segment_size 0
		.amdhsa_wavefront_size32 1
		.amdhsa_uses_dynamic_stack 0
		.amdhsa_system_sgpr_private_segment_wavefront_offset 0
		.amdhsa_system_sgpr_workgroup_id_x 1
		.amdhsa_system_sgpr_workgroup_id_y 1
		.amdhsa_system_sgpr_workgroup_id_z 1
		.amdhsa_system_sgpr_workgroup_info 0
		.amdhsa_system_vgpr_workitem_id 1
		.amdhsa_next_free_vgpr 36
		.amdhsa_next_free_sgpr 36
		.amdhsa_reserve_vcc 1
		.amdhsa_reserve_flat_scratch 0
		.amdhsa_float_round_mode_32 0
		.amdhsa_float_round_mode_16_64 0
		.amdhsa_float_denorm_mode_32 3
		.amdhsa_float_denorm_mode_16_64 3
		.amdhsa_dx10_clamp 1
		.amdhsa_ieee_mode 1
		.amdhsa_fp16_overflow 0
		.amdhsa_workgroup_processor_mode 1
		.amdhsa_memory_ordered 1
		.amdhsa_forward_progress 1
		.amdhsa_shared_vgpr_count 0
		.amdhsa_exception_fp_ieee_invalid_op 0
		.amdhsa_exception_fp_denorm_src 0
		.amdhsa_exception_fp_ieee_div_zero 0
		.amdhsa_exception_fp_ieee_overflow 0
		.amdhsa_exception_fp_ieee_underflow 0
		.amdhsa_exception_fp_ieee_inexact 0
		.amdhsa_exception_int_div_zero 0
	.end_amdhsa_kernel
	.section	.text._ZN12_GLOBAL__N_127rocblas_gemm_batched_kernelIDF16_Li16ELi16ELi64ELi64ELi4ELi64ELi4ELi4ELi64ELc78ELc78EKPKDF16_S3_KPDF16_EEvlllT_PT11_llS8_llS6_PT12_llPT13_lli,"axG",@progbits,_ZN12_GLOBAL__N_127rocblas_gemm_batched_kernelIDF16_Li16ELi16ELi64ELi64ELi4ELi64ELi4ELi4ELi64ELc78ELc78EKPKDF16_S3_KPDF16_EEvlllT_PT11_llS8_llS6_PT12_llPT13_lli,comdat
.Lfunc_end147:
	.size	_ZN12_GLOBAL__N_127rocblas_gemm_batched_kernelIDF16_Li16ELi16ELi64ELi64ELi4ELi64ELi4ELi4ELi64ELc78ELc78EKPKDF16_S3_KPDF16_EEvlllT_PT11_llS8_llS6_PT12_llPT13_lli, .Lfunc_end147-_ZN12_GLOBAL__N_127rocblas_gemm_batched_kernelIDF16_Li16ELi16ELi64ELi64ELi4ELi64ELi4ELi4ELi64ELc78ELc78EKPKDF16_S3_KPDF16_EEvlllT_PT11_llS8_llS6_PT12_llPT13_lli
                                        ; -- End function
	.set _ZN12_GLOBAL__N_127rocblas_gemm_batched_kernelIDF16_Li16ELi16ELi64ELi64ELi4ELi64ELi4ELi4ELi64ELc78ELc78EKPKDF16_S3_KPDF16_EEvlllT_PT11_llS8_llS6_PT12_llPT13_lli.num_vgpr, 36
	.set _ZN12_GLOBAL__N_127rocblas_gemm_batched_kernelIDF16_Li16ELi16ELi64ELi64ELi4ELi64ELi4ELi4ELi64ELc78ELc78EKPKDF16_S3_KPDF16_EEvlllT_PT11_llS8_llS6_PT12_llPT13_lli.num_agpr, 0
	.set _ZN12_GLOBAL__N_127rocblas_gemm_batched_kernelIDF16_Li16ELi16ELi64ELi64ELi4ELi64ELi4ELi4ELi64ELc78ELc78EKPKDF16_S3_KPDF16_EEvlllT_PT11_llS8_llS6_PT12_llPT13_lli.numbered_sgpr, 36
	.set _ZN12_GLOBAL__N_127rocblas_gemm_batched_kernelIDF16_Li16ELi16ELi64ELi64ELi4ELi64ELi4ELi4ELi64ELc78ELc78EKPKDF16_S3_KPDF16_EEvlllT_PT11_llS8_llS6_PT12_llPT13_lli.num_named_barrier, 0
	.set _ZN12_GLOBAL__N_127rocblas_gemm_batched_kernelIDF16_Li16ELi16ELi64ELi64ELi4ELi64ELi4ELi4ELi64ELc78ELc78EKPKDF16_S3_KPDF16_EEvlllT_PT11_llS8_llS6_PT12_llPT13_lli.private_seg_size, 0
	.set _ZN12_GLOBAL__N_127rocblas_gemm_batched_kernelIDF16_Li16ELi16ELi64ELi64ELi4ELi64ELi4ELi4ELi64ELc78ELc78EKPKDF16_S3_KPDF16_EEvlllT_PT11_llS8_llS6_PT12_llPT13_lli.uses_vcc, 1
	.set _ZN12_GLOBAL__N_127rocblas_gemm_batched_kernelIDF16_Li16ELi16ELi64ELi64ELi4ELi64ELi4ELi4ELi64ELc78ELc78EKPKDF16_S3_KPDF16_EEvlllT_PT11_llS8_llS6_PT12_llPT13_lli.uses_flat_scratch, 0
	.set _ZN12_GLOBAL__N_127rocblas_gemm_batched_kernelIDF16_Li16ELi16ELi64ELi64ELi4ELi64ELi4ELi4ELi64ELc78ELc78EKPKDF16_S3_KPDF16_EEvlllT_PT11_llS8_llS6_PT12_llPT13_lli.has_dyn_sized_stack, 0
	.set _ZN12_GLOBAL__N_127rocblas_gemm_batched_kernelIDF16_Li16ELi16ELi64ELi64ELi4ELi64ELi4ELi4ELi64ELc78ELc78EKPKDF16_S3_KPDF16_EEvlllT_PT11_llS8_llS6_PT12_llPT13_lli.has_recursion, 0
	.set _ZN12_GLOBAL__N_127rocblas_gemm_batched_kernelIDF16_Li16ELi16ELi64ELi64ELi4ELi64ELi4ELi4ELi64ELc78ELc78EKPKDF16_S3_KPDF16_EEvlllT_PT11_llS8_llS6_PT12_llPT13_lli.has_indirect_call, 0
	.section	.AMDGPU.csdata,"",@progbits
; Kernel info:
; codeLenInByte = 2376
; TotalNumSgprs: 38
; NumVgprs: 36
; ScratchSize: 0
; MemoryBound: 0
; FloatMode: 240
; IeeeMode: 1
; LDSByteSize: 1024 bytes/workgroup (compile time only)
; SGPRBlocks: 0
; VGPRBlocks: 4
; NumSGPRsForWavesPerEU: 38
; NumVGPRsForWavesPerEU: 36
; Occupancy: 16
; WaveLimiterHint : 1
; COMPUTE_PGM_RSRC2:SCRATCH_EN: 0
; COMPUTE_PGM_RSRC2:USER_SGPR: 6
; COMPUTE_PGM_RSRC2:TRAP_HANDLER: 0
; COMPUTE_PGM_RSRC2:TGID_X_EN: 1
; COMPUTE_PGM_RSRC2:TGID_Y_EN: 1
; COMPUTE_PGM_RSRC2:TGID_Z_EN: 1
; COMPUTE_PGM_RSRC2:TIDIG_COMP_CNT: 1
	.section	.text._ZN12_GLOBAL__N_127rocblas_gemm_batched_kernelIDF16_Li16ELi16ELi64ELi64ELi4ELi64ELi4ELi4ELi64ELc84ELc78EKPKDF16_S3_KPDF16_EEvlllT_PT11_llS8_llS6_PT12_llPT13_lli,"axG",@progbits,_ZN12_GLOBAL__N_127rocblas_gemm_batched_kernelIDF16_Li16ELi16ELi64ELi64ELi4ELi64ELi4ELi4ELi64ELc84ELc78EKPKDF16_S3_KPDF16_EEvlllT_PT11_llS8_llS6_PT12_llPT13_lli,comdat
	.globl	_ZN12_GLOBAL__N_127rocblas_gemm_batched_kernelIDF16_Li16ELi16ELi64ELi64ELi4ELi64ELi4ELi4ELi64ELc84ELc78EKPKDF16_S3_KPDF16_EEvlllT_PT11_llS8_llS6_PT12_llPT13_lli ; -- Begin function _ZN12_GLOBAL__N_127rocblas_gemm_batched_kernelIDF16_Li16ELi16ELi64ELi64ELi4ELi64ELi4ELi4ELi64ELc84ELc78EKPKDF16_S3_KPDF16_EEvlllT_PT11_llS8_llS6_PT12_llPT13_lli
	.p2align	8
	.type	_ZN12_GLOBAL__N_127rocblas_gemm_batched_kernelIDF16_Li16ELi16ELi64ELi64ELi4ELi64ELi4ELi4ELi64ELc84ELc78EKPKDF16_S3_KPDF16_EEvlllT_PT11_llS8_llS6_PT12_llPT13_lli,@function
_ZN12_GLOBAL__N_127rocblas_gemm_batched_kernelIDF16_Li16ELi16ELi64ELi64ELi4ELi64ELi4ELi4ELi64ELc84ELc78EKPKDF16_S3_KPDF16_EEvlllT_PT11_llS8_llS6_PT12_llPT13_lli: ; @_ZN12_GLOBAL__N_127rocblas_gemm_batched_kernelIDF16_Li16ELi16ELi64ELi64ELi4ELi64ELi4ELi4ELi64ELc84ELc78EKPKDF16_S3_KPDF16_EEvlllT_PT11_llS8_llS6_PT12_llPT13_lli
; %bb.0:
	s_clause 0x1
	s_load_dwordx8 s[12:19], s[4:5], 0x58
	s_load_dwordx2 s[30:31], s[4:5], 0x10
	s_mov_b32 s9, 0
	s_mov_b32 s0, s7
	s_lshl_b64 s[34:35], s[8:9], 3
	s_load_dwordx4 s[8:11], s[4:5], 0x78
	s_waitcnt lgkmcnt(0)
	s_add_u32 s2, s12, s34
	s_addc_u32 s3, s13, s35
	s_add_u32 s18, s18, s34
	s_addc_u32 s19, s19, s35
	s_load_dwordx2 s[12:13], s[2:3], 0x0
	s_load_dwordx2 s[18:19], s[18:19], 0x0
	v_cmp_lt_i64_e64 s2, s[30:31], 1
	s_ashr_i32 s7, s6, 31
	s_ashr_i32 s1, s0, 31
	s_lshl_b64 s[6:7], s[6:7], 6
	s_lshl_b64 s[28:29], s[0:1], 6
	s_and_b32 vcc_lo, exec_lo, s2
	s_cbranch_vccnz .LBB148_3
; %bb.1:
	s_clause 0x1
	s_load_dwordx8 s[20:27], s[4:5], 0x20
	s_load_dwordx4 s[0:3], s[4:5], 0x40
	v_lshl_add_u32 v2, v1, 4, v0
	v_and_b32_e32 v3, 3, v0
	v_lshlrev_b32_e32 v16, 1, v0
	v_lshl_add_u32 v17, v1, 3, 0x200
	v_lshrrev_b32_e32 v6, 2, v2
	v_and_b32_e32 v7, 63, v2
	v_lshrrev_b32_e32 v8, 6, v2
	v_lshlrev_b32_e32 v9, 1, v3
	v_add_co_u32 v2, s33, v6, s28
	v_add_co_ci_u32_e64 v3, null, 0, s29, s33
	v_add_co_u32 v4, s33, s6, v7
	v_add_co_ci_u32_e64 v5, null, s7, 0, s33
	s_waitcnt lgkmcnt(0)
	s_add_u32 s20, s20, s34
	v_mul_lo_u32 v10, s1, v2
	v_mul_lo_u32 v11, s0, v3
	v_mad_u64_u32 v[2:3], null, s0, v2, 0
	v_mul_lo_u32 v12, s23, v4
	v_mul_lo_u32 v13, s22, v5
	v_mad_u64_u32 v[4:5], null, s22, v4, 0
	s_addc_u32 s21, s21, s35
	s_add_u32 s0, s26, s34
	v_add3_u32 v3, v3, v11, v10
	s_addc_u32 s1, s27, s35
	s_load_dwordx2 s[20:21], s[20:21], 0x0
	s_load_dwordx2 s[0:1], s[0:1], 0x0
	v_add3_u32 v5, v5, v13, v12
	v_lshlrev_b64 v[2:3], 1, v[2:3]
	s_lshl_b64 s[2:3], s[2:3], 1
	v_lshl_or_b32 v6, v6, 3, v9
	v_lshlrev_b32_e32 v7, 1, v7
	v_lshlrev_b64 v[4:5], 1, v[4:5]
	v_mov_b32_e32 v10, 0
	v_add_co_u32 v2, vcc_lo, v2, s2
	v_add_co_ci_u32_e64 v3, null, s3, v3, vcc_lo
	s_lshl_b64 s[2:3], s[24:25], 1
	v_add_nc_u32_e32 v15, 0x200, v6
	v_add_co_u32 v4, vcc_lo, v4, s2
	v_lshlrev_b32_e32 v6, 1, v8
	v_add_co_ci_u32_e64 v5, null, s3, v5, vcc_lo
	v_add_co_u32 v2, vcc_lo, v2, v9
	v_add_co_ci_u32_e64 v3, null, 0, v3, vcc_lo
	v_add_co_u32 v4, vcc_lo, v4, v6
	v_add_co_ci_u32_e64 v5, null, 0, v5, vcc_lo
	s_waitcnt lgkmcnt(0)
	v_add_co_u32 v2, vcc_lo, s0, v2
	v_add_co_ci_u32_e64 v3, null, s1, v3, vcc_lo
	v_add_co_u32 v4, vcc_lo, s20, v4
	v_lshl_or_b32 v14, v8, 7, v7
	v_add_co_ci_u32_e64 v5, null, s21, v5, vcc_lo
	v_mov_b32_e32 v6, 0
	v_mov_b32_e32 v7, 0
	;; [unrolled: 1-line block ×7, first 2 shown]
	s_mov_b64 s[2:3], 0
.LBB148_2:                              ; =>This Inner Loop Header: Depth=1
	flat_load_ushort v18, v[4:5]
	s_add_u32 s2, s2, 4
	s_addc_u32 s3, s3, 0
	v_add_co_u32 v4, vcc_lo, v4, 8
	v_cmp_lt_i64_e64 s0, s[2:3], s[30:31]
	v_add_co_ci_u32_e64 v5, null, 0, v5, vcc_lo
	s_and_b32 vcc_lo, exec_lo, s0
	s_waitcnt vmcnt(0) lgkmcnt(0)
	ds_write_b16 v14, v18
	flat_load_ushort v18, v[2:3]
	v_add_co_u32 v2, s0, v2, 8
	v_add_co_ci_u32_e64 v3, null, 0, v3, s0
	s_waitcnt vmcnt(0) lgkmcnt(0)
	ds_write_b16 v15, v18
	s_waitcnt lgkmcnt(0)
	s_barrier
	buffer_gl0_inv
	ds_read_u16 v26, v16 offset:32
	ds_read_u16 v27, v16 offset:96
	;; [unrolled: 1-line block ×8, first 2 shown]
	ds_read2_b64 v[18:21], v17 offset1:16
	ds_read2_b64 v[22:25], v17 offset0:32 offset1:48
	s_waitcnt lgkmcnt(9)
	ds_read_u16_d16_hi v26, v16
	s_waitcnt lgkmcnt(9)
	ds_read_u16_d16_hi v27, v16 offset:64
	s_waitcnt lgkmcnt(9)
	ds_read_u16_d16_hi v28, v16 offset:128
	;; [unrolled: 2-line block ×7, first 2 shown]
	s_waitcnt lgkmcnt(0)
	s_barrier
	buffer_gl0_inv
	v_pk_fma_f16 v13, v26, v18, v13 op_sel_hi:[1,0,1]
	v_pk_fma_f16 v12, v27, v18, v12 op_sel_hi:[1,0,1]
	;; [unrolled: 1-line block ×8, first 2 shown]
	v_pk_fma_f16 v13, v28, v18, v13 op_sel:[0,1,0]
	v_pk_fma_f16 v12, v29, v18, v12 op_sel:[0,1,0]
	;; [unrolled: 1-line block ×8, first 2 shown]
	v_pk_fma_f16 v13, v30, v19, v13 op_sel_hi:[1,0,1]
	v_pk_fma_f16 v12, v31, v19, v12 op_sel_hi:[1,0,1]
	v_pk_fma_f16 v11, v30, v21, v11 op_sel_hi:[1,0,1]
	v_pk_fma_f16 v10, v31, v21, v10 op_sel_hi:[1,0,1]
	v_pk_fma_f16 v9, v30, v23, v9 op_sel_hi:[1,0,1]
	v_pk_fma_f16 v8, v31, v23, v8 op_sel_hi:[1,0,1]
	v_pk_fma_f16 v7, v30, v25, v7 op_sel_hi:[1,0,1]
	v_pk_fma_f16 v6, v31, v25, v6 op_sel_hi:[1,0,1]
	v_pk_fma_f16 v13, v32, v19, v13 op_sel:[0,1,0]
	v_pk_fma_f16 v12, v33, v19, v12 op_sel:[0,1,0]
	;; [unrolled: 1-line block ×8, first 2 shown]
	s_cbranch_vccnz .LBB148_2
	s_branch .LBB148_4
.LBB148_3:
	v_mov_b32_e32 v13, 0
	v_mov_b32_e32 v12, 0
	;; [unrolled: 1-line block ×8, first 2 shown]
.LBB148_4:
	s_clause 0x1
	s_load_dword s1, s[4:5], 0x50
	s_load_dword s0, s[4:5], 0x18
	v_add_co_u32 v17, s4, s28, v1
	v_add_co_ci_u32_e64 v21, null, s29, 0, s4
	v_add_co_u32 v0, s4, s6, v0
	v_add_co_ci_u32_e64 v1, null, s7, 0, s4
	v_mul_lo_u32 v19, v21, s8
	v_mul_lo_u32 v20, v17, s9
	s_lshl_b64 s[2:3], s[10:11], 1
	v_lshlrev_b64 v[0:1], 1, v[0:1]
	v_lshrrev_b32_e32 v18, 16, v13
	v_lshrrev_b32_e32 v16, 16, v12
	;; [unrolled: 1-line block ×6, first 2 shown]
	s_waitcnt lgkmcnt(0)
	v_cmp_neq_f16_e64 s4, s1, 0
	v_lshrrev_b32_e32 v3, 16, v7
	v_lshrrev_b32_e32 v2, 16, v6
	s_add_u32 s2, s18, s2
	s_addc_u32 s3, s19, s3
	s_and_b32 vcc_lo, exec_lo, s4
	s_mov_b32 s4, 0
	s_cbranch_vccnz .LBB148_8
; %bb.5:
	v_mad_u64_u32 v[22:23], null, v17, s8, 0
	s_lshl_b64 s[6:7], s[8:9], 5
	v_mul_f16_sdwa v26, s0, v13 dst_sel:DWORD dst_unused:UNUSED_PAD src0_sel:DWORD src1_sel:WORD_1
	v_mul_f16_e32 v27, s0, v13
	v_mul_f16_sdwa v28, s0, v12 dst_sel:DWORD dst_unused:UNUSED_PAD src0_sel:DWORD src1_sel:WORD_1
	v_mul_f16_e32 v29, s0, v12
	v_mul_f16_sdwa v30, s0, v11 dst_sel:DWORD dst_unused:UNUSED_PAD src0_sel:DWORD src1_sel:WORD_1
	v_add3_u32 v23, v23, v20, v19
	v_mul_f16_e32 v31, s0, v11
	v_mul_f16_sdwa v32, s0, v10 dst_sel:DWORD dst_unused:UNUSED_PAD src0_sel:DWORD src1_sel:WORD_1
	v_mul_f16_e32 v33, s0, v10
	v_lshlrev_b64 v[22:23], 1, v[22:23]
	v_add_co_u32 v22, vcc_lo, s2, v22
	v_add_co_ci_u32_e64 v23, null, s3, v23, vcc_lo
	v_add_co_u32 v34, vcc_lo, v22, s6
	v_add_co_ci_u32_e64 v35, null, s7, v23, vcc_lo
	;; [unrolled: 2-line block ×4, first 2 shown]
	flat_store_short v[22:23], v26
	flat_store_short v[22:23], v27 offset:32
	flat_store_short v[22:23], v28 offset:64
	;; [unrolled: 1-line block ×3, first 2 shown]
	flat_store_short v[24:25], v30
	flat_store_short v[24:25], v31 offset:32
	v_add_co_u32 v26, vcc_lo, v34, s6
	v_add_co_ci_u32_e64 v27, null, s7, v35, vcc_lo
	v_mul_f16_sdwa v28, s0, v9 dst_sel:DWORD dst_unused:UNUSED_PAD src0_sel:DWORD src1_sel:WORD_1
	v_add_co_u32 v22, vcc_lo, v26, v0
	v_add_co_ci_u32_e64 v23, null, v27, v1, vcc_lo
	v_mul_f16_e32 v29, s0, v9
	v_mul_f16_sdwa v30, s0, v8 dst_sel:DWORD dst_unused:UNUSED_PAD src0_sel:DWORD src1_sel:WORD_1
	flat_store_short v[24:25], v32 offset:64
	flat_store_short v[24:25], v33 offset:96
	flat_store_short v[22:23], v28
	flat_store_short v[22:23], v29 offset:32
	flat_store_short v[22:23], v30 offset:64
	v_add_co_u32 v24, vcc_lo, v26, s6
	v_add_co_ci_u32_e64 v25, null, s7, v27, vcc_lo
	v_mul_f16_e32 v28, s0, v8
	v_add_co_u32 v24, vcc_lo, v24, v0
	v_mul_f16_sdwa v26, s0, v7 dst_sel:DWORD dst_unused:UNUSED_PAD src0_sel:DWORD src1_sel:WORD_1
	v_add_co_ci_u32_e64 v25, null, v25, v1, vcc_lo
	v_mul_f16_e32 v27, s0, v7
	v_mul_f16_sdwa v29, s0, v6 dst_sel:DWORD dst_unused:UNUSED_PAD src0_sel:DWORD src1_sel:WORD_1
	v_mul_f16_e32 v30, s0, v6
	flat_store_short v[22:23], v28 offset:96
	flat_store_short v[24:25], v26
	flat_store_short v[24:25], v27 offset:32
	flat_store_short v[24:25], v29 offset:64
	;; [unrolled: 1-line block ×3, first 2 shown]
	s_andn2_b32 vcc_lo, exec_lo, s4
	s_cbranch_vccnz .LBB148_7
.LBB148_6:
	v_mul_lo_u32 v23, v21, s14
	v_mul_lo_u32 v24, v17, s15
	v_mad_u64_u32 v[21:22], null, v17, s14, 0
	s_lshl_b64 s[4:5], s[16:17], 1
	s_add_u32 s4, s12, s4
	s_addc_u32 s5, s13, s5
	v_add3_u32 v22, v22, v24, v23
	v_mad_u64_u32 v[23:24], null, v17, s8, 0
	v_lshlrev_b64 v[21:22], 1, v[21:22]
	v_add3_u32 v24, v24, v20, v19
	v_add_co_u32 v25, vcc_lo, s4, v21
	v_add_co_ci_u32_e64 v26, null, s5, v22, vcc_lo
	v_lshlrev_b64 v[19:20], 1, v[23:24]
	v_add_co_u32 v21, vcc_lo, v25, v0
	v_add_co_ci_u32_e64 v22, null, v26, v1, vcc_lo
	s_lshl_b64 s[4:5], s[8:9], 5
	v_add_co_u32 v17, vcc_lo, s2, v19
	flat_load_ushort v27, v[21:22]
	v_add_co_ci_u32_e64 v23, null, s3, v20, vcc_lo
	v_add_co_u32 v19, vcc_lo, v17, v0
	s_lshl_b64 s[2:3], s[14:15], 5
	v_add_co_ci_u32_e64 v20, null, v23, v1, vcc_lo
	s_waitcnt vmcnt(0) lgkmcnt(0)
	v_mul_f16_e32 v24, s1, v27
	v_fmac_f16_e32 v24, s0, v18
	flat_store_short v[19:20], v24
	flat_load_ushort v18, v[21:22] offset:32
	s_waitcnt vmcnt(0) lgkmcnt(0)
	v_mul_f16_e32 v18, s1, v18
	v_fmac_f16_e32 v18, s0, v13
	flat_store_short v[19:20], v18 offset:32
	flat_load_ushort v13, v[21:22] offset:64
	v_add_co_u32 v18, vcc_lo, v25, s2
	s_waitcnt vmcnt(0) lgkmcnt(0)
	v_mul_f16_e32 v13, s1, v13
	v_fmac_f16_e32 v13, s0, v16
	flat_store_short v[19:20], v13 offset:64
	flat_load_ushort v13, v[21:22] offset:96
	v_add_co_ci_u32_e64 v21, null, s3, v26, vcc_lo
	s_waitcnt vmcnt(0) lgkmcnt(0)
	v_mul_f16_e32 v16, s1, v13
	v_fmac_f16_e32 v16, s0, v12
	v_add_co_u32 v12, vcc_lo, v18, v0
	v_add_co_ci_u32_e64 v13, null, v21, v1, vcc_lo
	flat_store_short v[19:20], v16 offset:96
	v_add_co_u32 v19, vcc_lo, v17, s4
	flat_load_ushort v16, v[12:13]
	v_add_co_ci_u32_e64 v20, null, s5, v23, vcc_lo
	s_waitcnt vmcnt(0) lgkmcnt(0)
	v_mul_f16_e32 v22, s1, v16
	v_add_co_u32 v16, vcc_lo, v19, v0
	v_add_co_ci_u32_e64 v17, null, v20, v1, vcc_lo
	v_fmac_f16_e32 v22, s0, v15
	flat_store_short v[16:17], v22
	flat_load_ushort v15, v[12:13] offset:32
	s_waitcnt vmcnt(0) lgkmcnt(0)
	v_mul_f16_e32 v15, s1, v15
	v_fmac_f16_e32 v15, s0, v11
	flat_store_short v[16:17], v15 offset:32
	flat_load_ushort v11, v[12:13] offset:64
	s_waitcnt vmcnt(0) lgkmcnt(0)
	v_mul_f16_e32 v11, s1, v11
	v_fmac_f16_e32 v11, s0, v14
	v_add_co_u32 v14, vcc_lo, v18, s2
	v_add_co_ci_u32_e64 v15, null, s3, v21, vcc_lo
	flat_store_short v[16:17], v11 offset:64
	flat_load_ushort v11, v[12:13] offset:96
	s_waitcnt vmcnt(0) lgkmcnt(0)
	v_mul_f16_e32 v12, s1, v11
	v_fmac_f16_e32 v12, s0, v10
	v_add_co_u32 v10, vcc_lo, v14, v0
	v_add_co_ci_u32_e64 v11, null, v15, v1, vcc_lo
	flat_store_short v[16:17], v12 offset:96
	v_add_co_u32 v16, vcc_lo, v19, s4
	flat_load_ushort v12, v[10:11]
	v_add_co_ci_u32_e64 v17, null, s5, v20, vcc_lo
	s_waitcnt vmcnt(0) lgkmcnt(0)
	v_mul_f16_e32 v18, s1, v12
	v_add_co_u32 v12, vcc_lo, v16, v0
	v_add_co_ci_u32_e64 v13, null, v17, v1, vcc_lo
	v_fmac_f16_e32 v18, s0, v5
	flat_store_short v[12:13], v18
	flat_load_ushort v5, v[10:11] offset:32
	s_waitcnt vmcnt(0) lgkmcnt(0)
	v_mul_f16_e32 v5, s1, v5
	v_fmac_f16_e32 v5, s0, v9
	flat_store_short v[12:13], v5 offset:32
	flat_load_ushort v5, v[10:11] offset:64
	s_waitcnt vmcnt(0) lgkmcnt(0)
	v_mul_f16_e32 v5, s1, v5
	v_fmac_f16_e32 v5, s0, v4
	flat_store_short v[12:13], v5 offset:64
	flat_load_ushort v4, v[10:11] offset:96
	s_waitcnt vmcnt(0) lgkmcnt(0)
	v_mul_f16_e32 v9, s1, v4
	v_add_co_u32 v4, vcc_lo, v14, s2
	v_add_co_ci_u32_e64 v5, null, s3, v15, vcc_lo
	v_fmac_f16_e32 v9, s0, v8
	v_add_co_u32 v4, vcc_lo, v4, v0
	v_add_co_ci_u32_e64 v5, null, v5, v1, vcc_lo
	flat_store_short v[12:13], v9 offset:96
	v_add_co_u32 v9, vcc_lo, v16, s4
	flat_load_ushort v8, v[4:5]
	v_add_co_ci_u32_e64 v10, null, s5, v17, vcc_lo
	v_add_co_u32 v0, vcc_lo, v9, v0
	v_add_co_ci_u32_e64 v1, null, v10, v1, vcc_lo
	s_waitcnt vmcnt(0) lgkmcnt(0)
	v_mul_f16_e32 v8, s1, v8
	v_fmac_f16_e32 v8, s0, v3
	flat_store_short v[0:1], v8
	flat_load_ushort v3, v[4:5] offset:32
	s_waitcnt vmcnt(0) lgkmcnt(0)
	v_mul_f16_e32 v3, s1, v3
	v_fmac_f16_e32 v3, s0, v7
	flat_store_short v[0:1], v3 offset:32
	flat_load_ushort v3, v[4:5] offset:64
	s_waitcnt vmcnt(0) lgkmcnt(0)
	v_mul_f16_e32 v3, s1, v3
	v_fmac_f16_e32 v3, s0, v2
	flat_store_short v[0:1], v3 offset:64
	;; [unrolled: 5-line block ×3, first 2 shown]
.LBB148_7:
	s_endpgm
.LBB148_8:
	s_branch .LBB148_6
	.section	.rodata,"a",@progbits
	.p2align	6, 0x0
	.amdhsa_kernel _ZN12_GLOBAL__N_127rocblas_gemm_batched_kernelIDF16_Li16ELi16ELi64ELi64ELi4ELi64ELi4ELi4ELi64ELc84ELc78EKPKDF16_S3_KPDF16_EEvlllT_PT11_llS8_llS6_PT12_llPT13_lli
		.amdhsa_group_segment_fixed_size 1024
		.amdhsa_private_segment_fixed_size 0
		.amdhsa_kernarg_size 140
		.amdhsa_user_sgpr_count 6
		.amdhsa_user_sgpr_private_segment_buffer 1
		.amdhsa_user_sgpr_dispatch_ptr 0
		.amdhsa_user_sgpr_queue_ptr 0
		.amdhsa_user_sgpr_kernarg_segment_ptr 1
		.amdhsa_user_sgpr_dispatch_id 0
		.amdhsa_user_sgpr_flat_scratch_init 0
		.amdhsa_user_sgpr_private_segment_size 0
		.amdhsa_wavefront_size32 1
		.amdhsa_uses_dynamic_stack 0
		.amdhsa_system_sgpr_private_segment_wavefront_offset 0
		.amdhsa_system_sgpr_workgroup_id_x 1
		.amdhsa_system_sgpr_workgroup_id_y 1
		.amdhsa_system_sgpr_workgroup_id_z 1
		.amdhsa_system_sgpr_workgroup_info 0
		.amdhsa_system_vgpr_workitem_id 1
		.amdhsa_next_free_vgpr 36
		.amdhsa_next_free_sgpr 36
		.amdhsa_reserve_vcc 1
		.amdhsa_reserve_flat_scratch 0
		.amdhsa_float_round_mode_32 0
		.amdhsa_float_round_mode_16_64 0
		.amdhsa_float_denorm_mode_32 3
		.amdhsa_float_denorm_mode_16_64 3
		.amdhsa_dx10_clamp 1
		.amdhsa_ieee_mode 1
		.amdhsa_fp16_overflow 0
		.amdhsa_workgroup_processor_mode 1
		.amdhsa_memory_ordered 1
		.amdhsa_forward_progress 1
		.amdhsa_shared_vgpr_count 0
		.amdhsa_exception_fp_ieee_invalid_op 0
		.amdhsa_exception_fp_denorm_src 0
		.amdhsa_exception_fp_ieee_div_zero 0
		.amdhsa_exception_fp_ieee_overflow 0
		.amdhsa_exception_fp_ieee_underflow 0
		.amdhsa_exception_fp_ieee_inexact 0
		.amdhsa_exception_int_div_zero 0
	.end_amdhsa_kernel
	.section	.text._ZN12_GLOBAL__N_127rocblas_gemm_batched_kernelIDF16_Li16ELi16ELi64ELi64ELi4ELi64ELi4ELi4ELi64ELc84ELc78EKPKDF16_S3_KPDF16_EEvlllT_PT11_llS8_llS6_PT12_llPT13_lli,"axG",@progbits,_ZN12_GLOBAL__N_127rocblas_gemm_batched_kernelIDF16_Li16ELi16ELi64ELi64ELi4ELi64ELi4ELi4ELi64ELc84ELc78EKPKDF16_S3_KPDF16_EEvlllT_PT11_llS8_llS6_PT12_llPT13_lli,comdat
.Lfunc_end148:
	.size	_ZN12_GLOBAL__N_127rocblas_gemm_batched_kernelIDF16_Li16ELi16ELi64ELi64ELi4ELi64ELi4ELi4ELi64ELc84ELc78EKPKDF16_S3_KPDF16_EEvlllT_PT11_llS8_llS6_PT12_llPT13_lli, .Lfunc_end148-_ZN12_GLOBAL__N_127rocblas_gemm_batched_kernelIDF16_Li16ELi16ELi64ELi64ELi4ELi64ELi4ELi4ELi64ELc84ELc78EKPKDF16_S3_KPDF16_EEvlllT_PT11_llS8_llS6_PT12_llPT13_lli
                                        ; -- End function
	.set _ZN12_GLOBAL__N_127rocblas_gemm_batched_kernelIDF16_Li16ELi16ELi64ELi64ELi4ELi64ELi4ELi4ELi64ELc84ELc78EKPKDF16_S3_KPDF16_EEvlllT_PT11_llS8_llS6_PT12_llPT13_lli.num_vgpr, 36
	.set _ZN12_GLOBAL__N_127rocblas_gemm_batched_kernelIDF16_Li16ELi16ELi64ELi64ELi4ELi64ELi4ELi4ELi64ELc84ELc78EKPKDF16_S3_KPDF16_EEvlllT_PT11_llS8_llS6_PT12_llPT13_lli.num_agpr, 0
	.set _ZN12_GLOBAL__N_127rocblas_gemm_batched_kernelIDF16_Li16ELi16ELi64ELi64ELi4ELi64ELi4ELi4ELi64ELc84ELc78EKPKDF16_S3_KPDF16_EEvlllT_PT11_llS8_llS6_PT12_llPT13_lli.numbered_sgpr, 36
	.set _ZN12_GLOBAL__N_127rocblas_gemm_batched_kernelIDF16_Li16ELi16ELi64ELi64ELi4ELi64ELi4ELi4ELi64ELc84ELc78EKPKDF16_S3_KPDF16_EEvlllT_PT11_llS8_llS6_PT12_llPT13_lli.num_named_barrier, 0
	.set _ZN12_GLOBAL__N_127rocblas_gemm_batched_kernelIDF16_Li16ELi16ELi64ELi64ELi4ELi64ELi4ELi4ELi64ELc84ELc78EKPKDF16_S3_KPDF16_EEvlllT_PT11_llS8_llS6_PT12_llPT13_lli.private_seg_size, 0
	.set _ZN12_GLOBAL__N_127rocblas_gemm_batched_kernelIDF16_Li16ELi16ELi64ELi64ELi4ELi64ELi4ELi4ELi64ELc84ELc78EKPKDF16_S3_KPDF16_EEvlllT_PT11_llS8_llS6_PT12_llPT13_lli.uses_vcc, 1
	.set _ZN12_GLOBAL__N_127rocblas_gemm_batched_kernelIDF16_Li16ELi16ELi64ELi64ELi4ELi64ELi4ELi4ELi64ELc84ELc78EKPKDF16_S3_KPDF16_EEvlllT_PT11_llS8_llS6_PT12_llPT13_lli.uses_flat_scratch, 0
	.set _ZN12_GLOBAL__N_127rocblas_gemm_batched_kernelIDF16_Li16ELi16ELi64ELi64ELi4ELi64ELi4ELi4ELi64ELc84ELc78EKPKDF16_S3_KPDF16_EEvlllT_PT11_llS8_llS6_PT12_llPT13_lli.has_dyn_sized_stack, 0
	.set _ZN12_GLOBAL__N_127rocblas_gemm_batched_kernelIDF16_Li16ELi16ELi64ELi64ELi4ELi64ELi4ELi4ELi64ELc84ELc78EKPKDF16_S3_KPDF16_EEvlllT_PT11_llS8_llS6_PT12_llPT13_lli.has_recursion, 0
	.set _ZN12_GLOBAL__N_127rocblas_gemm_batched_kernelIDF16_Li16ELi16ELi64ELi64ELi4ELi64ELi4ELi4ELi64ELc84ELc78EKPKDF16_S3_KPDF16_EEvlllT_PT11_llS8_llS6_PT12_llPT13_lli.has_indirect_call, 0
	.section	.AMDGPU.csdata,"",@progbits
; Kernel info:
; codeLenInByte = 2420
; TotalNumSgprs: 38
; NumVgprs: 36
; ScratchSize: 0
; MemoryBound: 0
; FloatMode: 240
; IeeeMode: 1
; LDSByteSize: 1024 bytes/workgroup (compile time only)
; SGPRBlocks: 0
; VGPRBlocks: 4
; NumSGPRsForWavesPerEU: 38
; NumVGPRsForWavesPerEU: 36
; Occupancy: 16
; WaveLimiterHint : 1
; COMPUTE_PGM_RSRC2:SCRATCH_EN: 0
; COMPUTE_PGM_RSRC2:USER_SGPR: 6
; COMPUTE_PGM_RSRC2:TRAP_HANDLER: 0
; COMPUTE_PGM_RSRC2:TGID_X_EN: 1
; COMPUTE_PGM_RSRC2:TGID_Y_EN: 1
; COMPUTE_PGM_RSRC2:TGID_Z_EN: 1
; COMPUTE_PGM_RSRC2:TIDIG_COMP_CNT: 1
	.section	.text._ZN12_GLOBAL__N_127rocblas_gemm_batched_kernelIDF16_Li16ELi16ELi64ELi64ELi4ELi64ELi4ELi4ELi64ELc78ELc84EKPKDF16_S3_KPDF16_EEvlllT_PT11_llS8_llS6_PT12_llPT13_lli,"axG",@progbits,_ZN12_GLOBAL__N_127rocblas_gemm_batched_kernelIDF16_Li16ELi16ELi64ELi64ELi4ELi64ELi4ELi4ELi64ELc78ELc84EKPKDF16_S3_KPDF16_EEvlllT_PT11_llS8_llS6_PT12_llPT13_lli,comdat
	.globl	_ZN12_GLOBAL__N_127rocblas_gemm_batched_kernelIDF16_Li16ELi16ELi64ELi64ELi4ELi64ELi4ELi4ELi64ELc78ELc84EKPKDF16_S3_KPDF16_EEvlllT_PT11_llS8_llS6_PT12_llPT13_lli ; -- Begin function _ZN12_GLOBAL__N_127rocblas_gemm_batched_kernelIDF16_Li16ELi16ELi64ELi64ELi4ELi64ELi4ELi4ELi64ELc78ELc84EKPKDF16_S3_KPDF16_EEvlllT_PT11_llS8_llS6_PT12_llPT13_lli
	.p2align	8
	.type	_ZN12_GLOBAL__N_127rocblas_gemm_batched_kernelIDF16_Li16ELi16ELi64ELi64ELi4ELi64ELi4ELi4ELi64ELc78ELc84EKPKDF16_S3_KPDF16_EEvlllT_PT11_llS8_llS6_PT12_llPT13_lli,@function
_ZN12_GLOBAL__N_127rocblas_gemm_batched_kernelIDF16_Li16ELi16ELi64ELi64ELi4ELi64ELi4ELi4ELi64ELc78ELc84EKPKDF16_S3_KPDF16_EEvlllT_PT11_llS8_llS6_PT12_llPT13_lli: ; @_ZN12_GLOBAL__N_127rocblas_gemm_batched_kernelIDF16_Li16ELi16ELi64ELi64ELi4ELi64ELi4ELi4ELi64ELc78ELc84EKPKDF16_S3_KPDF16_EEvlllT_PT11_llS8_llS6_PT12_llPT13_lli
; %bb.0:
	s_clause 0x1
	s_load_dwordx8 s[12:19], s[4:5], 0x58
	s_load_dwordx2 s[30:31], s[4:5], 0x10
	s_mov_b32 s9, 0
	s_mov_b32 s0, s7
	s_lshl_b64 s[34:35], s[8:9], 3
	s_load_dwordx4 s[8:11], s[4:5], 0x78
	v_mov_b32_e32 v3, 0
	s_waitcnt lgkmcnt(0)
	s_add_u32 s2, s12, s34
	s_addc_u32 s3, s13, s35
	s_add_u32 s18, s18, s34
	s_addc_u32 s19, s19, s35
	s_load_dwordx2 s[12:13], s[2:3], 0x0
	s_load_dwordx2 s[18:19], s[18:19], 0x0
	v_cmp_lt_i64_e64 s2, s[30:31], 1
	s_ashr_i32 s7, s6, 31
	s_ashr_i32 s1, s0, 31
	s_lshl_b64 s[6:7], s[6:7], 6
	s_lshl_b64 s[28:29], s[0:1], 6
	s_and_b32 vcc_lo, exec_lo, s2
	s_cbranch_vccnz .LBB149_3
; %bb.1:
	s_clause 0x1
	s_load_dwordx8 s[20:27], s[4:5], 0x20
	s_load_dwordx4 s[0:3], s[4:5], 0x40
	v_lshl_add_u32 v4, v1, 4, v0
	v_and_b32_e32 v8, 3, v0
	v_lshlrev_b32_e32 v14, 1, v0
	v_lshl_add_u32 v15, v1, 3, 0x200
	v_mov_b32_e32 v13, 0
	v_lshrrev_b32_e32 v2, 2, v4
	v_lshrrev_b32_e32 v9, 6, v4
	v_and_b32_e32 v10, 63, v4
	v_lshlrev_b32_e32 v11, 1, v8
	v_lshlrev_b32_e32 v12, 1, v10
	v_lshl_or_b32 v11, v2, 3, v11
	v_lshl_or_b32 v16, v9, 7, v12
	s_waitcnt lgkmcnt(0)
	v_mad_u64_u32 v[6:7], null, s22, v9, s[6:7]
	v_mad_u64_u32 v[4:5], null, s0, v8, v[2:3]
	s_add_u32 s20, s20, s34
	s_addc_u32 s21, s21, s35
	s_add_u32 s26, s26, s34
	s_addc_u32 s27, s27, s35
	s_load_dwordx2 s[20:21], s[20:21], 0x0
	s_load_dwordx2 s[26:27], s[26:27], 0x0
	v_mov_b32_e32 v2, v5
	v_mov_b32_e32 v5, v7
	v_add_co_u32 v4, vcc_lo, v4, s28
	s_lshl_b64 s[2:3], s[2:3], 1
	v_mad_u64_u32 v[7:8], null, s1, v8, v[2:3]
	v_mad_u64_u32 v[8:9], null, s23, v9, v[5:6]
	v_add_nc_u32_e32 v17, 0x200, v11
	v_mov_b32_e32 v2, 0
	v_mov_b32_e32 v9, 0
	;; [unrolled: 1-line block ×3, first 2 shown]
	v_add_co_ci_u32_e64 v5, null, s29, v7, vcc_lo
	v_add_co_u32 v6, vcc_lo, v6, v10
	v_add_co_ci_u32_e64 v7, null, 0, v8, vcc_lo
	v_lshlrev_b64 v[4:5], 1, v[4:5]
	s_waitcnt lgkmcnt(0)
	s_add_u32 s26, s26, s2
	s_addc_u32 s27, s27, s3
	v_lshlrev_b64 v[6:7], 1, v[6:7]
	s_lshl_b64 s[2:3], s[0:1], 3
	s_lshl_b64 s[0:1], s[24:25], 1
	v_add_co_u32 v4, vcc_lo, s26, v4
	s_add_u32 s0, s20, s0
	s_addc_u32 s1, s21, s1
	v_add_co_ci_u32_e64 v5, null, s27, v5, vcc_lo
	v_add_co_u32 v6, vcc_lo, s0, v6
	v_add_co_ci_u32_e64 v7, null, s1, v7, vcc_lo
	v_mov_b32_e32 v8, 0
	v_mov_b32_e32 v10, 0
	;; [unrolled: 1-line block ×3, first 2 shown]
	s_lshl_b64 s[20:21], s[22:23], 3
	s_mov_b64 s[22:23], 0
.LBB149_2:                              ; =>This Inner Loop Header: Depth=1
	flat_load_ushort v18, v[6:7]
	s_add_u32 s22, s22, 4
	s_addc_u32 s23, s23, 0
	v_add_co_u32 v6, vcc_lo, v6, s20
	v_cmp_lt_i64_e64 s0, s[22:23], s[30:31]
	v_add_co_ci_u32_e64 v7, null, s21, v7, vcc_lo
	s_and_b32 vcc_lo, exec_lo, s0
	s_waitcnt vmcnt(0) lgkmcnt(0)
	ds_write_b16 v16, v18
	flat_load_ushort v18, v[4:5]
	v_add_co_u32 v4, s0, v4, s2
	v_add_co_ci_u32_e64 v5, null, s3, v5, s0
	s_waitcnt vmcnt(0) lgkmcnt(0)
	ds_write_b16 v17, v18
	s_waitcnt lgkmcnt(0)
	s_barrier
	buffer_gl0_inv
	ds_read_u16 v26, v14 offset:32
	ds_read_u16 v27, v14 offset:96
	;; [unrolled: 1-line block ×8, first 2 shown]
	ds_read2_b64 v[18:21], v15 offset1:16
	ds_read2_b64 v[22:25], v15 offset0:32 offset1:48
	s_waitcnt lgkmcnt(9)
	ds_read_u16_d16_hi v26, v14
	s_waitcnt lgkmcnt(9)
	ds_read_u16_d16_hi v27, v14 offset:64
	s_waitcnt lgkmcnt(9)
	ds_read_u16_d16_hi v28, v14 offset:128
	;; [unrolled: 2-line block ×7, first 2 shown]
	s_waitcnt lgkmcnt(0)
	s_barrier
	buffer_gl0_inv
	v_pk_fma_f16 v3, v26, v18, v3 op_sel_hi:[1,0,1]
	v_pk_fma_f16 v13, v27, v18, v13 op_sel_hi:[1,0,1]
	;; [unrolled: 1-line block ×8, first 2 shown]
	v_pk_fma_f16 v3, v28, v18, v3 op_sel:[0,1,0]
	v_pk_fma_f16 v13, v29, v18, v13 op_sel:[0,1,0]
	;; [unrolled: 1-line block ×8, first 2 shown]
	v_pk_fma_f16 v3, v30, v19, v3 op_sel_hi:[1,0,1]
	v_pk_fma_f16 v13, v31, v19, v13 op_sel_hi:[1,0,1]
	;; [unrolled: 1-line block ×8, first 2 shown]
	v_pk_fma_f16 v3, v32, v19, v3 op_sel:[0,1,0]
	v_pk_fma_f16 v13, v33, v19, v13 op_sel:[0,1,0]
	v_pk_fma_f16 v12, v32, v21, v12 op_sel:[0,1,0]
	v_pk_fma_f16 v11, v33, v21, v11 op_sel:[0,1,0]
	v_pk_fma_f16 v10, v32, v23, v10 op_sel:[0,1,0]
	v_pk_fma_f16 v9, v33, v23, v9 op_sel:[0,1,0]
	v_pk_fma_f16 v8, v32, v25, v8 op_sel:[0,1,0]
	v_pk_fma_f16 v2, v33, v25, v2 op_sel:[0,1,0]
	s_cbranch_vccnz .LBB149_2
	s_branch .LBB149_4
.LBB149_3:
	v_mov_b32_e32 v13, 0
	v_mov_b32_e32 v12, 0
	v_mov_b32_e32 v11, 0
	v_mov_b32_e32 v10, 0
	v_mov_b32_e32 v9, 0
	v_mov_b32_e32 v8, 0
	v_mov_b32_e32 v2, 0
.LBB149_4:
	s_clause 0x1
	s_load_dword s1, s[4:5], 0x50
	s_load_dword s0, s[4:5], 0x18
	v_add_co_u32 v17, s4, s28, v1
	v_add_co_ci_u32_e64 v21, null, s29, 0, s4
	v_add_co_u32 v0, s4, s6, v0
	v_add_co_ci_u32_e64 v1, null, s7, 0, s4
	v_mul_lo_u32 v19, v21, s8
	v_mul_lo_u32 v20, v17, s9
	s_lshl_b64 s[2:3], s[10:11], 1
	v_lshlrev_b64 v[0:1], 1, v[0:1]
	v_lshrrev_b32_e32 v18, 16, v3
	v_lshrrev_b32_e32 v16, 16, v13
	;; [unrolled: 1-line block ×6, first 2 shown]
	s_waitcnt lgkmcnt(0)
	v_cmp_neq_f16_e64 s4, s1, 0
	v_lshrrev_b32_e32 v5, 16, v8
	v_lshrrev_b32_e32 v4, 16, v2
	s_add_u32 s2, s18, s2
	s_addc_u32 s3, s19, s3
	s_and_b32 vcc_lo, exec_lo, s4
	s_mov_b32 s4, 0
	s_cbranch_vccnz .LBB149_8
; %bb.5:
	v_mad_u64_u32 v[22:23], null, v17, s8, 0
	s_lshl_b64 s[6:7], s[8:9], 5
	v_mul_f16_sdwa v26, s0, v3 dst_sel:DWORD dst_unused:UNUSED_PAD src0_sel:DWORD src1_sel:WORD_1
	v_mul_f16_e32 v27, s0, v3
	v_mul_f16_sdwa v28, s0, v13 dst_sel:DWORD dst_unused:UNUSED_PAD src0_sel:DWORD src1_sel:WORD_1
	v_mul_f16_e32 v29, s0, v13
	v_mul_f16_sdwa v30, s0, v12 dst_sel:DWORD dst_unused:UNUSED_PAD src0_sel:DWORD src1_sel:WORD_1
	v_add3_u32 v23, v23, v20, v19
	v_mul_f16_e32 v31, s0, v12
	v_mul_f16_sdwa v32, s0, v11 dst_sel:DWORD dst_unused:UNUSED_PAD src0_sel:DWORD src1_sel:WORD_1
	v_mul_f16_e32 v33, s0, v11
	v_lshlrev_b64 v[22:23], 1, v[22:23]
	v_add_co_u32 v22, vcc_lo, s2, v22
	v_add_co_ci_u32_e64 v23, null, s3, v23, vcc_lo
	v_add_co_u32 v34, vcc_lo, v22, s6
	v_add_co_ci_u32_e64 v35, null, s7, v23, vcc_lo
	;; [unrolled: 2-line block ×4, first 2 shown]
	flat_store_short v[22:23], v26
	flat_store_short v[22:23], v27 offset:32
	flat_store_short v[22:23], v28 offset:64
	flat_store_short v[22:23], v29 offset:96
	flat_store_short v[24:25], v30
	flat_store_short v[24:25], v31 offset:32
	v_add_co_u32 v26, vcc_lo, v34, s6
	v_add_co_ci_u32_e64 v27, null, s7, v35, vcc_lo
	v_mul_f16_sdwa v28, s0, v10 dst_sel:DWORD dst_unused:UNUSED_PAD src0_sel:DWORD src1_sel:WORD_1
	v_add_co_u32 v22, vcc_lo, v26, v0
	v_add_co_ci_u32_e64 v23, null, v27, v1, vcc_lo
	v_mul_f16_e32 v29, s0, v10
	v_mul_f16_sdwa v30, s0, v9 dst_sel:DWORD dst_unused:UNUSED_PAD src0_sel:DWORD src1_sel:WORD_1
	flat_store_short v[24:25], v32 offset:64
	flat_store_short v[24:25], v33 offset:96
	flat_store_short v[22:23], v28
	flat_store_short v[22:23], v29 offset:32
	flat_store_short v[22:23], v30 offset:64
	v_add_co_u32 v24, vcc_lo, v26, s6
	v_add_co_ci_u32_e64 v25, null, s7, v27, vcc_lo
	v_mul_f16_e32 v28, s0, v9
	v_add_co_u32 v24, vcc_lo, v24, v0
	v_mul_f16_sdwa v26, s0, v8 dst_sel:DWORD dst_unused:UNUSED_PAD src0_sel:DWORD src1_sel:WORD_1
	v_add_co_ci_u32_e64 v25, null, v25, v1, vcc_lo
	v_mul_f16_e32 v27, s0, v8
	v_mul_f16_sdwa v29, s0, v2 dst_sel:DWORD dst_unused:UNUSED_PAD src0_sel:DWORD src1_sel:WORD_1
	v_mul_f16_e32 v30, s0, v2
	flat_store_short v[22:23], v28 offset:96
	flat_store_short v[24:25], v26
	flat_store_short v[24:25], v27 offset:32
	flat_store_short v[24:25], v29 offset:64
	;; [unrolled: 1-line block ×3, first 2 shown]
	s_andn2_b32 vcc_lo, exec_lo, s4
	s_cbranch_vccnz .LBB149_7
.LBB149_6:
	v_mul_lo_u32 v23, v21, s14
	v_mul_lo_u32 v24, v17, s15
	v_mad_u64_u32 v[21:22], null, v17, s14, 0
	s_lshl_b64 s[4:5], s[16:17], 1
	s_add_u32 s4, s12, s4
	s_addc_u32 s5, s13, s5
	v_add3_u32 v22, v22, v24, v23
	v_mad_u64_u32 v[23:24], null, v17, s8, 0
	v_lshlrev_b64 v[21:22], 1, v[21:22]
	v_add3_u32 v24, v24, v20, v19
	v_add_co_u32 v25, vcc_lo, s4, v21
	v_add_co_ci_u32_e64 v26, null, s5, v22, vcc_lo
	v_lshlrev_b64 v[19:20], 1, v[23:24]
	v_add_co_u32 v21, vcc_lo, v25, v0
	v_add_co_ci_u32_e64 v22, null, v26, v1, vcc_lo
	s_lshl_b64 s[4:5], s[8:9], 5
	v_add_co_u32 v23, vcc_lo, s2, v19
	flat_load_ushort v27, v[21:22]
	v_add_co_ci_u32_e64 v24, null, s3, v20, vcc_lo
	v_add_co_u32 v19, vcc_lo, v23, v0
	s_lshl_b64 s[2:3], s[14:15], 5
	v_add_co_ci_u32_e64 v20, null, v24, v1, vcc_lo
	s_waitcnt vmcnt(0) lgkmcnt(0)
	v_mul_f16_e32 v17, s1, v27
	v_fmac_f16_e32 v17, s0, v18
	flat_store_short v[19:20], v17
	flat_load_ushort v17, v[21:22] offset:32
	s_waitcnt vmcnt(0) lgkmcnt(0)
	v_mul_f16_e32 v17, s1, v17
	v_fmac_f16_e32 v17, s0, v3
	flat_store_short v[19:20], v17 offset:32
	flat_load_ushort v3, v[21:22] offset:64
	s_waitcnt vmcnt(0) lgkmcnt(0)
	v_mul_f16_e32 v3, s1, v3
	v_fmac_f16_e32 v3, s0, v16
	flat_store_short v[19:20], v3 offset:64
	flat_load_ushort v3, v[21:22] offset:96
	v_add_co_u32 v21, vcc_lo, v25, s2
	v_add_co_ci_u32_e64 v22, null, s3, v26, vcc_lo
	v_add_co_u32 v16, vcc_lo, v21, v0
	v_add_co_ci_u32_e64 v17, null, v22, v1, vcc_lo
	s_waitcnt vmcnt(0) lgkmcnt(0)
	v_mul_f16_e32 v3, s1, v3
	v_fmac_f16_e32 v3, s0, v13
	v_add_co_u32 v13, vcc_lo, v23, s4
	flat_store_short v[19:20], v3 offset:96
	flat_load_ushort v3, v[16:17]
	v_add_co_ci_u32_e64 v20, null, s5, v24, vcc_lo
	v_add_co_u32 v18, vcc_lo, v13, v0
	v_add_co_ci_u32_e64 v19, null, v20, v1, vcc_lo
	s_waitcnt vmcnt(0) lgkmcnt(0)
	v_mul_f16_e32 v3, s1, v3
	v_fmac_f16_e32 v3, s0, v15
	v_add_co_u32 v15, vcc_lo, v21, s2
	flat_store_short v[18:19], v3
	flat_load_ushort v3, v[16:17] offset:32
	s_waitcnt vmcnt(0) lgkmcnt(0)
	v_mul_f16_e32 v3, s1, v3
	v_fmac_f16_e32 v3, s0, v12
	flat_store_short v[18:19], v3 offset:32
	flat_load_ushort v3, v[16:17] offset:64
	s_waitcnt vmcnt(0) lgkmcnt(0)
	v_mul_f16_e32 v3, s1, v3
	v_fmac_f16_e32 v3, s0, v14
	flat_store_short v[18:19], v3 offset:64
	flat_load_ushort v3, v[16:17] offset:96
	v_add_co_ci_u32_e64 v16, null, s3, v22, vcc_lo
	s_waitcnt vmcnt(0) lgkmcnt(0)
	v_mul_f16_e32 v3, s1, v3
	v_fmac_f16_e32 v3, s0, v11
	v_add_co_u32 v11, vcc_lo, v15, v0
	v_add_co_ci_u32_e64 v12, null, v16, v1, vcc_lo
	flat_store_short v[18:19], v3 offset:96
	v_add_co_u32 v17, vcc_lo, v13, s4
	flat_load_ushort v3, v[11:12]
	v_add_co_ci_u32_e64 v18, null, s5, v20, vcc_lo
	v_add_co_u32 v13, vcc_lo, v17, v0
	v_add_co_ci_u32_e64 v14, null, v18, v1, vcc_lo
	s_waitcnt vmcnt(0) lgkmcnt(0)
	v_mul_f16_e32 v3, s1, v3
	v_fmac_f16_e32 v3, s0, v7
	flat_store_short v[13:14], v3
	flat_load_ushort v3, v[11:12] offset:32
	s_waitcnt vmcnt(0) lgkmcnt(0)
	v_mul_f16_e32 v3, s1, v3
	v_fmac_f16_e32 v3, s0, v10
	flat_store_short v[13:14], v3 offset:32
	flat_load_ushort v3, v[11:12] offset:64
	s_waitcnt vmcnt(0) lgkmcnt(0)
	v_mul_f16_e32 v3, s1, v3
	v_fmac_f16_e32 v3, s0, v6
	v_add_co_u32 v6, vcc_lo, v15, s2
	v_add_co_ci_u32_e64 v7, null, s3, v16, vcc_lo
	flat_store_short v[13:14], v3 offset:64
	flat_load_ushort v3, v[11:12] offset:96
	v_add_co_u32 v6, vcc_lo, v6, v0
	v_add_co_ci_u32_e64 v7, null, v7, v1, vcc_lo
	s_waitcnt vmcnt(0) lgkmcnt(0)
	v_mul_f16_e32 v3, s1, v3
	v_fmac_f16_e32 v3, s0, v9
	v_add_co_u32 v9, vcc_lo, v17, s4
	v_add_co_ci_u32_e64 v10, null, s5, v18, vcc_lo
	flat_store_short v[13:14], v3 offset:96
	flat_load_ushort v3, v[6:7]
	v_add_co_u32 v0, vcc_lo, v9, v0
	v_add_co_ci_u32_e64 v1, null, v10, v1, vcc_lo
	s_waitcnt vmcnt(0) lgkmcnt(0)
	v_mul_f16_e32 v3, s1, v3
	v_fmac_f16_e32 v3, s0, v5
	flat_store_short v[0:1], v3
	flat_load_ushort v3, v[6:7] offset:32
	s_waitcnt vmcnt(0) lgkmcnt(0)
	v_mul_f16_e32 v3, s1, v3
	v_fmac_f16_e32 v3, s0, v8
	flat_store_short v[0:1], v3 offset:32
	flat_load_ushort v3, v[6:7] offset:64
	s_waitcnt vmcnt(0) lgkmcnt(0)
	v_mul_f16_e32 v3, s1, v3
	v_fmac_f16_e32 v3, s0, v4
	flat_store_short v[0:1], v3 offset:64
	;; [unrolled: 5-line block ×3, first 2 shown]
.LBB149_7:
	s_endpgm
.LBB149_8:
	s_branch .LBB149_6
	.section	.rodata,"a",@progbits
	.p2align	6, 0x0
	.amdhsa_kernel _ZN12_GLOBAL__N_127rocblas_gemm_batched_kernelIDF16_Li16ELi16ELi64ELi64ELi4ELi64ELi4ELi4ELi64ELc78ELc84EKPKDF16_S3_KPDF16_EEvlllT_PT11_llS8_llS6_PT12_llPT13_lli
		.amdhsa_group_segment_fixed_size 1024
		.amdhsa_private_segment_fixed_size 0
		.amdhsa_kernarg_size 140
		.amdhsa_user_sgpr_count 6
		.amdhsa_user_sgpr_private_segment_buffer 1
		.amdhsa_user_sgpr_dispatch_ptr 0
		.amdhsa_user_sgpr_queue_ptr 0
		.amdhsa_user_sgpr_kernarg_segment_ptr 1
		.amdhsa_user_sgpr_dispatch_id 0
		.amdhsa_user_sgpr_flat_scratch_init 0
		.amdhsa_user_sgpr_private_segment_size 0
		.amdhsa_wavefront_size32 1
		.amdhsa_uses_dynamic_stack 0
		.amdhsa_system_sgpr_private_segment_wavefront_offset 0
		.amdhsa_system_sgpr_workgroup_id_x 1
		.amdhsa_system_sgpr_workgroup_id_y 1
		.amdhsa_system_sgpr_workgroup_id_z 1
		.amdhsa_system_sgpr_workgroup_info 0
		.amdhsa_system_vgpr_workitem_id 1
		.amdhsa_next_free_vgpr 36
		.amdhsa_next_free_sgpr 36
		.amdhsa_reserve_vcc 1
		.amdhsa_reserve_flat_scratch 0
		.amdhsa_float_round_mode_32 0
		.amdhsa_float_round_mode_16_64 0
		.amdhsa_float_denorm_mode_32 3
		.amdhsa_float_denorm_mode_16_64 3
		.amdhsa_dx10_clamp 1
		.amdhsa_ieee_mode 1
		.amdhsa_fp16_overflow 0
		.amdhsa_workgroup_processor_mode 1
		.amdhsa_memory_ordered 1
		.amdhsa_forward_progress 1
		.amdhsa_shared_vgpr_count 0
		.amdhsa_exception_fp_ieee_invalid_op 0
		.amdhsa_exception_fp_denorm_src 0
		.amdhsa_exception_fp_ieee_div_zero 0
		.amdhsa_exception_fp_ieee_overflow 0
		.amdhsa_exception_fp_ieee_underflow 0
		.amdhsa_exception_fp_ieee_inexact 0
		.amdhsa_exception_int_div_zero 0
	.end_amdhsa_kernel
	.section	.text._ZN12_GLOBAL__N_127rocblas_gemm_batched_kernelIDF16_Li16ELi16ELi64ELi64ELi4ELi64ELi4ELi4ELi64ELc78ELc84EKPKDF16_S3_KPDF16_EEvlllT_PT11_llS8_llS6_PT12_llPT13_lli,"axG",@progbits,_ZN12_GLOBAL__N_127rocblas_gemm_batched_kernelIDF16_Li16ELi16ELi64ELi64ELi4ELi64ELi4ELi4ELi64ELc78ELc84EKPKDF16_S3_KPDF16_EEvlllT_PT11_llS8_llS6_PT12_llPT13_lli,comdat
.Lfunc_end149:
	.size	_ZN12_GLOBAL__N_127rocblas_gemm_batched_kernelIDF16_Li16ELi16ELi64ELi64ELi4ELi64ELi4ELi4ELi64ELc78ELc84EKPKDF16_S3_KPDF16_EEvlllT_PT11_llS8_llS6_PT12_llPT13_lli, .Lfunc_end149-_ZN12_GLOBAL__N_127rocblas_gemm_batched_kernelIDF16_Li16ELi16ELi64ELi64ELi4ELi64ELi4ELi4ELi64ELc78ELc84EKPKDF16_S3_KPDF16_EEvlllT_PT11_llS8_llS6_PT12_llPT13_lli
                                        ; -- End function
	.set _ZN12_GLOBAL__N_127rocblas_gemm_batched_kernelIDF16_Li16ELi16ELi64ELi64ELi4ELi64ELi4ELi4ELi64ELc78ELc84EKPKDF16_S3_KPDF16_EEvlllT_PT11_llS8_llS6_PT12_llPT13_lli.num_vgpr, 36
	.set _ZN12_GLOBAL__N_127rocblas_gemm_batched_kernelIDF16_Li16ELi16ELi64ELi64ELi4ELi64ELi4ELi4ELi64ELc78ELc84EKPKDF16_S3_KPDF16_EEvlllT_PT11_llS8_llS6_PT12_llPT13_lli.num_agpr, 0
	.set _ZN12_GLOBAL__N_127rocblas_gemm_batched_kernelIDF16_Li16ELi16ELi64ELi64ELi4ELi64ELi4ELi4ELi64ELc78ELc84EKPKDF16_S3_KPDF16_EEvlllT_PT11_llS8_llS6_PT12_llPT13_lli.numbered_sgpr, 36
	.set _ZN12_GLOBAL__N_127rocblas_gemm_batched_kernelIDF16_Li16ELi16ELi64ELi64ELi4ELi64ELi4ELi4ELi64ELc78ELc84EKPKDF16_S3_KPDF16_EEvlllT_PT11_llS8_llS6_PT12_llPT13_lli.num_named_barrier, 0
	.set _ZN12_GLOBAL__N_127rocblas_gemm_batched_kernelIDF16_Li16ELi16ELi64ELi64ELi4ELi64ELi4ELi4ELi64ELc78ELc84EKPKDF16_S3_KPDF16_EEvlllT_PT11_llS8_llS6_PT12_llPT13_lli.private_seg_size, 0
	.set _ZN12_GLOBAL__N_127rocblas_gemm_batched_kernelIDF16_Li16ELi16ELi64ELi64ELi4ELi64ELi4ELi4ELi64ELc78ELc84EKPKDF16_S3_KPDF16_EEvlllT_PT11_llS8_llS6_PT12_llPT13_lli.uses_vcc, 1
	.set _ZN12_GLOBAL__N_127rocblas_gemm_batched_kernelIDF16_Li16ELi16ELi64ELi64ELi4ELi64ELi4ELi4ELi64ELc78ELc84EKPKDF16_S3_KPDF16_EEvlllT_PT11_llS8_llS6_PT12_llPT13_lli.uses_flat_scratch, 0
	.set _ZN12_GLOBAL__N_127rocblas_gemm_batched_kernelIDF16_Li16ELi16ELi64ELi64ELi4ELi64ELi4ELi4ELi64ELc78ELc84EKPKDF16_S3_KPDF16_EEvlllT_PT11_llS8_llS6_PT12_llPT13_lli.has_dyn_sized_stack, 0
	.set _ZN12_GLOBAL__N_127rocblas_gemm_batched_kernelIDF16_Li16ELi16ELi64ELi64ELi4ELi64ELi4ELi4ELi64ELc78ELc84EKPKDF16_S3_KPDF16_EEvlllT_PT11_llS8_llS6_PT12_llPT13_lli.has_recursion, 0
	.set _ZN12_GLOBAL__N_127rocblas_gemm_batched_kernelIDF16_Li16ELi16ELi64ELi64ELi4ELi64ELi4ELi4ELi64ELc78ELc84EKPKDF16_S3_KPDF16_EEvlllT_PT11_llS8_llS6_PT12_llPT13_lli.has_indirect_call, 0
	.section	.AMDGPU.csdata,"",@progbits
; Kernel info:
; codeLenInByte = 2348
; TotalNumSgprs: 38
; NumVgprs: 36
; ScratchSize: 0
; MemoryBound: 0
; FloatMode: 240
; IeeeMode: 1
; LDSByteSize: 1024 bytes/workgroup (compile time only)
; SGPRBlocks: 0
; VGPRBlocks: 4
; NumSGPRsForWavesPerEU: 38
; NumVGPRsForWavesPerEU: 36
; Occupancy: 16
; WaveLimiterHint : 1
; COMPUTE_PGM_RSRC2:SCRATCH_EN: 0
; COMPUTE_PGM_RSRC2:USER_SGPR: 6
; COMPUTE_PGM_RSRC2:TRAP_HANDLER: 0
; COMPUTE_PGM_RSRC2:TGID_X_EN: 1
; COMPUTE_PGM_RSRC2:TGID_Y_EN: 1
; COMPUTE_PGM_RSRC2:TGID_Z_EN: 1
; COMPUTE_PGM_RSRC2:TIDIG_COMP_CNT: 1
	.section	.text._ZN12_GLOBAL__N_127rocblas_gemm_batched_kernelIDF16_Li16ELi16ELi64ELi64ELi4ELi64ELi4ELi4ELi64ELc84ELc84EKPKDF16_S3_KPDF16_EEvlllT_PT11_llS8_llS6_PT12_llPT13_lli,"axG",@progbits,_ZN12_GLOBAL__N_127rocblas_gemm_batched_kernelIDF16_Li16ELi16ELi64ELi64ELi4ELi64ELi4ELi4ELi64ELc84ELc84EKPKDF16_S3_KPDF16_EEvlllT_PT11_llS8_llS6_PT12_llPT13_lli,comdat
	.globl	_ZN12_GLOBAL__N_127rocblas_gemm_batched_kernelIDF16_Li16ELi16ELi64ELi64ELi4ELi64ELi4ELi4ELi64ELc84ELc84EKPKDF16_S3_KPDF16_EEvlllT_PT11_llS8_llS6_PT12_llPT13_lli ; -- Begin function _ZN12_GLOBAL__N_127rocblas_gemm_batched_kernelIDF16_Li16ELi16ELi64ELi64ELi4ELi64ELi4ELi4ELi64ELc84ELc84EKPKDF16_S3_KPDF16_EEvlllT_PT11_llS8_llS6_PT12_llPT13_lli
	.p2align	8
	.type	_ZN12_GLOBAL__N_127rocblas_gemm_batched_kernelIDF16_Li16ELi16ELi64ELi64ELi4ELi64ELi4ELi4ELi64ELc84ELc84EKPKDF16_S3_KPDF16_EEvlllT_PT11_llS8_llS6_PT12_llPT13_lli,@function
_ZN12_GLOBAL__N_127rocblas_gemm_batched_kernelIDF16_Li16ELi16ELi64ELi64ELi4ELi64ELi4ELi4ELi64ELc84ELc84EKPKDF16_S3_KPDF16_EEvlllT_PT11_llS8_llS6_PT12_llPT13_lli: ; @_ZN12_GLOBAL__N_127rocblas_gemm_batched_kernelIDF16_Li16ELi16ELi64ELi64ELi4ELi64ELi4ELi4ELi64ELc84ELc84EKPKDF16_S3_KPDF16_EEvlllT_PT11_llS8_llS6_PT12_llPT13_lli
; %bb.0:
	s_clause 0x1
	s_load_dwordx8 s[12:19], s[4:5], 0x58
	s_load_dwordx2 s[30:31], s[4:5], 0x10
	s_mov_b32 s9, 0
	s_mov_b32 s0, s7
	s_lshl_b64 s[34:35], s[8:9], 3
	s_load_dwordx4 s[8:11], s[4:5], 0x78
	v_mov_b32_e32 v3, 0
	s_waitcnt lgkmcnt(0)
	s_add_u32 s2, s12, s34
	s_addc_u32 s3, s13, s35
	s_add_u32 s18, s18, s34
	s_addc_u32 s19, s19, s35
	s_load_dwordx2 s[12:13], s[2:3], 0x0
	s_load_dwordx2 s[18:19], s[18:19], 0x0
	v_cmp_lt_i64_e64 s2, s[30:31], 1
	s_ashr_i32 s7, s6, 31
	s_ashr_i32 s1, s0, 31
	s_lshl_b64 s[6:7], s[6:7], 6
	s_lshl_b64 s[28:29], s[0:1], 6
	s_and_b32 vcc_lo, exec_lo, s2
	s_cbranch_vccnz .LBB150_3
; %bb.1:
	s_clause 0x1
	s_load_dwordx8 s[20:27], s[4:5], 0x20
	s_load_dwordx4 s[0:3], s[4:5], 0x40
	v_lshl_add_u32 v8, v1, 4, v0
	v_and_b32_e32 v9, 3, v0
	v_lshlrev_b32_e32 v14, 1, v0
	v_lshl_add_u32 v15, v1, 3, 0x200
	v_and_b32_e32 v10, 63, v8
	v_lshrrev_b32_e32 v2, 2, v8
	v_lshlrev_b32_e32 v11, 1, v9
	v_lshrrev_b32_e32 v8, 6, v8
	v_add_co_u32 v6, s33, s6, v10
	v_add_co_ci_u32_e64 v7, null, s7, 0, s33
	v_lshlrev_b32_e32 v10, 1, v10
	v_lshl_or_b32 v11, v2, 3, v11
	v_lshlrev_b32_e32 v18, 1, v8
	s_waitcnt lgkmcnt(0)
	s_add_u32 s20, s20, s34
	s_addc_u32 s21, s21, s35
	s_add_u32 s26, s26, s34
	s_addc_u32 s27, s27, s35
	v_mad_u64_u32 v[4:5], null, s0, v9, v[2:3]
	s_load_dwordx2 s[26:27], s[26:27], 0x0
	v_mul_lo_u32 v12, s23, v6
	v_mul_lo_u32 v13, s22, v7
	v_mad_u64_u32 v[6:7], null, s22, v6, 0
	v_lshl_or_b32 v16, v8, 7, v10
	v_mov_b32_e32 v2, v5
	s_load_dwordx2 s[20:21], s[20:21], 0x0
	s_lshl_b64 s[2:3], s[2:3], 1
	v_add_nc_u32_e32 v17, 0x200, v11
	v_mov_b32_e32 v10, 0
	v_add3_u32 v7, v7, v13, v12
	v_mad_u64_u32 v[8:9], null, s1, v9, v[2:3]
	v_mov_b32_e32 v9, 0
	v_mov_b32_e32 v11, 0
	v_lshlrev_b64 v[5:6], 1, v[6:7]
	v_add_co_u32 v7, vcc_lo, v4, s28
	v_mov_b32_e32 v12, 0
	v_add_co_ci_u32_e64 v8, null, s29, v8, vcc_lo
	s_waitcnt lgkmcnt(0)
	s_add_u32 s22, s26, s2
	s_addc_u32 s23, s27, s3
	s_lshl_b64 s[2:3], s[24:25], 1
	v_mov_b32_e32 v13, 0
	v_add_co_u32 v2, vcc_lo, v5, s2
	v_add_co_ci_u32_e64 v6, null, s3, v6, vcc_lo
	v_lshlrev_b64 v[4:5], 1, v[7:8]
	v_add_co_u32 v2, vcc_lo, v2, v18
	v_add_co_ci_u32_e64 v7, null, 0, v6, vcc_lo
	v_mov_b32_e32 v8, 0
	v_add_co_u32 v4, vcc_lo, s22, v4
	v_add_co_ci_u32_e64 v5, null, s23, v5, vcc_lo
	v_add_co_u32 v6, vcc_lo, s20, v2
	v_add_co_ci_u32_e64 v7, null, s21, v7, vcc_lo
	v_mov_b32_e32 v2, 0
	s_lshl_b64 s[2:3], s[0:1], 3
	s_mov_b64 s[20:21], 0
.LBB150_2:                              ; =>This Inner Loop Header: Depth=1
	flat_load_ushort v18, v[6:7]
	s_add_u32 s20, s20, 4
	s_addc_u32 s21, s21, 0
	v_add_co_u32 v6, vcc_lo, v6, 8
	v_cmp_lt_i64_e64 s0, s[20:21], s[30:31]
	v_add_co_ci_u32_e64 v7, null, 0, v7, vcc_lo
	s_and_b32 vcc_lo, exec_lo, s0
	s_waitcnt vmcnt(0) lgkmcnt(0)
	ds_write_b16 v16, v18
	flat_load_ushort v18, v[4:5]
	v_add_co_u32 v4, s0, v4, s2
	v_add_co_ci_u32_e64 v5, null, s3, v5, s0
	s_waitcnt vmcnt(0) lgkmcnt(0)
	ds_write_b16 v17, v18
	s_waitcnt lgkmcnt(0)
	s_barrier
	buffer_gl0_inv
	ds_read_u16 v26, v14 offset:32
	ds_read_u16 v27, v14 offset:96
	ds_read_u16 v28, v14 offset:160
	ds_read_u16 v29, v14 offset:224
	ds_read_u16 v30, v14 offset:288
	ds_read_u16 v31, v14 offset:352
	ds_read_u16 v32, v14 offset:416
	ds_read_u16 v33, v14 offset:480
	ds_read2_b64 v[18:21], v15 offset1:16
	ds_read2_b64 v[22:25], v15 offset0:32 offset1:48
	s_waitcnt lgkmcnt(9)
	ds_read_u16_d16_hi v26, v14
	s_waitcnt lgkmcnt(9)
	ds_read_u16_d16_hi v27, v14 offset:64
	s_waitcnt lgkmcnt(9)
	ds_read_u16_d16_hi v28, v14 offset:128
	;; [unrolled: 2-line block ×7, first 2 shown]
	s_waitcnt lgkmcnt(0)
	s_barrier
	buffer_gl0_inv
	v_pk_fma_f16 v3, v26, v18, v3 op_sel_hi:[1,0,1]
	v_pk_fma_f16 v13, v27, v18, v13 op_sel_hi:[1,0,1]
	;; [unrolled: 1-line block ×8, first 2 shown]
	v_pk_fma_f16 v3, v28, v18, v3 op_sel:[0,1,0]
	v_pk_fma_f16 v13, v29, v18, v13 op_sel:[0,1,0]
	;; [unrolled: 1-line block ×8, first 2 shown]
	v_pk_fma_f16 v3, v30, v19, v3 op_sel_hi:[1,0,1]
	v_pk_fma_f16 v13, v31, v19, v13 op_sel_hi:[1,0,1]
	;; [unrolled: 1-line block ×8, first 2 shown]
	v_pk_fma_f16 v3, v32, v19, v3 op_sel:[0,1,0]
	v_pk_fma_f16 v13, v33, v19, v13 op_sel:[0,1,0]
	;; [unrolled: 1-line block ×8, first 2 shown]
	s_cbranch_vccnz .LBB150_2
	s_branch .LBB150_4
.LBB150_3:
	v_mov_b32_e32 v13, 0
	v_mov_b32_e32 v12, 0
	;; [unrolled: 1-line block ×7, first 2 shown]
.LBB150_4:
	s_clause 0x1
	s_load_dword s1, s[4:5], 0x50
	s_load_dword s0, s[4:5], 0x18
	v_add_co_u32 v17, s4, s28, v1
	v_add_co_ci_u32_e64 v21, null, s29, 0, s4
	v_add_co_u32 v0, s4, s6, v0
	v_add_co_ci_u32_e64 v1, null, s7, 0, s4
	v_mul_lo_u32 v19, v21, s8
	v_mul_lo_u32 v20, v17, s9
	s_lshl_b64 s[2:3], s[10:11], 1
	v_lshlrev_b64 v[0:1], 1, v[0:1]
	v_lshrrev_b32_e32 v18, 16, v3
	v_lshrrev_b32_e32 v16, 16, v13
	;; [unrolled: 1-line block ×6, first 2 shown]
	s_waitcnt lgkmcnt(0)
	v_cmp_neq_f16_e64 s4, s1, 0
	v_lshrrev_b32_e32 v5, 16, v8
	v_lshrrev_b32_e32 v4, 16, v2
	s_add_u32 s2, s18, s2
	s_addc_u32 s3, s19, s3
	s_and_b32 vcc_lo, exec_lo, s4
	s_mov_b32 s4, 0
	s_cbranch_vccnz .LBB150_8
; %bb.5:
	v_mad_u64_u32 v[22:23], null, v17, s8, 0
	s_lshl_b64 s[6:7], s[8:9], 5
	v_mul_f16_sdwa v26, s0, v3 dst_sel:DWORD dst_unused:UNUSED_PAD src0_sel:DWORD src1_sel:WORD_1
	v_mul_f16_e32 v27, s0, v3
	v_mul_f16_sdwa v28, s0, v13 dst_sel:DWORD dst_unused:UNUSED_PAD src0_sel:DWORD src1_sel:WORD_1
	v_mul_f16_e32 v29, s0, v13
	v_mul_f16_sdwa v30, s0, v12 dst_sel:DWORD dst_unused:UNUSED_PAD src0_sel:DWORD src1_sel:WORD_1
	v_add3_u32 v23, v23, v20, v19
	v_mul_f16_e32 v31, s0, v12
	v_mul_f16_sdwa v32, s0, v11 dst_sel:DWORD dst_unused:UNUSED_PAD src0_sel:DWORD src1_sel:WORD_1
	v_mul_f16_e32 v33, s0, v11
	v_lshlrev_b64 v[22:23], 1, v[22:23]
	v_add_co_u32 v22, vcc_lo, s2, v22
	v_add_co_ci_u32_e64 v23, null, s3, v23, vcc_lo
	v_add_co_u32 v34, vcc_lo, v22, s6
	v_add_co_ci_u32_e64 v35, null, s7, v23, vcc_lo
	;; [unrolled: 2-line block ×4, first 2 shown]
	flat_store_short v[22:23], v26
	flat_store_short v[22:23], v27 offset:32
	flat_store_short v[22:23], v28 offset:64
	;; [unrolled: 1-line block ×3, first 2 shown]
	flat_store_short v[24:25], v30
	flat_store_short v[24:25], v31 offset:32
	v_add_co_u32 v26, vcc_lo, v34, s6
	v_add_co_ci_u32_e64 v27, null, s7, v35, vcc_lo
	v_mul_f16_sdwa v28, s0, v10 dst_sel:DWORD dst_unused:UNUSED_PAD src0_sel:DWORD src1_sel:WORD_1
	v_add_co_u32 v22, vcc_lo, v26, v0
	v_add_co_ci_u32_e64 v23, null, v27, v1, vcc_lo
	v_mul_f16_e32 v29, s0, v10
	v_mul_f16_sdwa v30, s0, v9 dst_sel:DWORD dst_unused:UNUSED_PAD src0_sel:DWORD src1_sel:WORD_1
	flat_store_short v[24:25], v32 offset:64
	flat_store_short v[24:25], v33 offset:96
	flat_store_short v[22:23], v28
	flat_store_short v[22:23], v29 offset:32
	flat_store_short v[22:23], v30 offset:64
	v_add_co_u32 v24, vcc_lo, v26, s6
	v_add_co_ci_u32_e64 v25, null, s7, v27, vcc_lo
	v_mul_f16_e32 v28, s0, v9
	v_add_co_u32 v24, vcc_lo, v24, v0
	v_mul_f16_sdwa v26, s0, v8 dst_sel:DWORD dst_unused:UNUSED_PAD src0_sel:DWORD src1_sel:WORD_1
	v_add_co_ci_u32_e64 v25, null, v25, v1, vcc_lo
	v_mul_f16_e32 v27, s0, v8
	v_mul_f16_sdwa v29, s0, v2 dst_sel:DWORD dst_unused:UNUSED_PAD src0_sel:DWORD src1_sel:WORD_1
	v_mul_f16_e32 v30, s0, v2
	flat_store_short v[22:23], v28 offset:96
	flat_store_short v[24:25], v26
	flat_store_short v[24:25], v27 offset:32
	flat_store_short v[24:25], v29 offset:64
	;; [unrolled: 1-line block ×3, first 2 shown]
	s_andn2_b32 vcc_lo, exec_lo, s4
	s_cbranch_vccnz .LBB150_7
.LBB150_6:
	v_mul_lo_u32 v23, v21, s14
	v_mul_lo_u32 v24, v17, s15
	v_mad_u64_u32 v[21:22], null, v17, s14, 0
	s_lshl_b64 s[4:5], s[16:17], 1
	s_add_u32 s4, s12, s4
	s_addc_u32 s5, s13, s5
	v_add3_u32 v22, v22, v24, v23
	v_mad_u64_u32 v[23:24], null, v17, s8, 0
	v_lshlrev_b64 v[21:22], 1, v[21:22]
	v_add3_u32 v24, v24, v20, v19
	v_add_co_u32 v25, vcc_lo, s4, v21
	v_add_co_ci_u32_e64 v26, null, s5, v22, vcc_lo
	v_lshlrev_b64 v[19:20], 1, v[23:24]
	v_add_co_u32 v21, vcc_lo, v25, v0
	v_add_co_ci_u32_e64 v22, null, v26, v1, vcc_lo
	s_lshl_b64 s[4:5], s[8:9], 5
	v_add_co_u32 v23, vcc_lo, s2, v19
	flat_load_ushort v27, v[21:22]
	v_add_co_ci_u32_e64 v24, null, s3, v20, vcc_lo
	v_add_co_u32 v19, vcc_lo, v23, v0
	s_lshl_b64 s[2:3], s[14:15], 5
	v_add_co_ci_u32_e64 v20, null, v24, v1, vcc_lo
	s_waitcnt vmcnt(0) lgkmcnt(0)
	v_mul_f16_e32 v17, s1, v27
	v_fmac_f16_e32 v17, s0, v18
	flat_store_short v[19:20], v17
	flat_load_ushort v17, v[21:22] offset:32
	s_waitcnt vmcnt(0) lgkmcnt(0)
	v_mul_f16_e32 v17, s1, v17
	v_fmac_f16_e32 v17, s0, v3
	flat_store_short v[19:20], v17 offset:32
	flat_load_ushort v3, v[21:22] offset:64
	s_waitcnt vmcnt(0) lgkmcnt(0)
	v_mul_f16_e32 v3, s1, v3
	v_fmac_f16_e32 v3, s0, v16
	flat_store_short v[19:20], v3 offset:64
	flat_load_ushort v3, v[21:22] offset:96
	v_add_co_u32 v21, vcc_lo, v25, s2
	v_add_co_ci_u32_e64 v22, null, s3, v26, vcc_lo
	v_add_co_u32 v16, vcc_lo, v21, v0
	v_add_co_ci_u32_e64 v17, null, v22, v1, vcc_lo
	s_waitcnt vmcnt(0) lgkmcnt(0)
	v_mul_f16_e32 v3, s1, v3
	v_fmac_f16_e32 v3, s0, v13
	v_add_co_u32 v13, vcc_lo, v23, s4
	flat_store_short v[19:20], v3 offset:96
	flat_load_ushort v3, v[16:17]
	v_add_co_ci_u32_e64 v20, null, s5, v24, vcc_lo
	v_add_co_u32 v18, vcc_lo, v13, v0
	v_add_co_ci_u32_e64 v19, null, v20, v1, vcc_lo
	s_waitcnt vmcnt(0) lgkmcnt(0)
	v_mul_f16_e32 v3, s1, v3
	v_fmac_f16_e32 v3, s0, v15
	v_add_co_u32 v15, vcc_lo, v21, s2
	flat_store_short v[18:19], v3
	flat_load_ushort v3, v[16:17] offset:32
	s_waitcnt vmcnt(0) lgkmcnt(0)
	v_mul_f16_e32 v3, s1, v3
	v_fmac_f16_e32 v3, s0, v12
	flat_store_short v[18:19], v3 offset:32
	flat_load_ushort v3, v[16:17] offset:64
	s_waitcnt vmcnt(0) lgkmcnt(0)
	v_mul_f16_e32 v3, s1, v3
	v_fmac_f16_e32 v3, s0, v14
	flat_store_short v[18:19], v3 offset:64
	flat_load_ushort v3, v[16:17] offset:96
	v_add_co_ci_u32_e64 v16, null, s3, v22, vcc_lo
	s_waitcnt vmcnt(0) lgkmcnt(0)
	v_mul_f16_e32 v3, s1, v3
	v_fmac_f16_e32 v3, s0, v11
	v_add_co_u32 v11, vcc_lo, v15, v0
	v_add_co_ci_u32_e64 v12, null, v16, v1, vcc_lo
	flat_store_short v[18:19], v3 offset:96
	v_add_co_u32 v17, vcc_lo, v13, s4
	flat_load_ushort v3, v[11:12]
	v_add_co_ci_u32_e64 v18, null, s5, v20, vcc_lo
	v_add_co_u32 v13, vcc_lo, v17, v0
	v_add_co_ci_u32_e64 v14, null, v18, v1, vcc_lo
	s_waitcnt vmcnt(0) lgkmcnt(0)
	v_mul_f16_e32 v3, s1, v3
	v_fmac_f16_e32 v3, s0, v7
	flat_store_short v[13:14], v3
	flat_load_ushort v3, v[11:12] offset:32
	s_waitcnt vmcnt(0) lgkmcnt(0)
	v_mul_f16_e32 v3, s1, v3
	v_fmac_f16_e32 v3, s0, v10
	flat_store_short v[13:14], v3 offset:32
	flat_load_ushort v3, v[11:12] offset:64
	s_waitcnt vmcnt(0) lgkmcnt(0)
	v_mul_f16_e32 v3, s1, v3
	v_fmac_f16_e32 v3, s0, v6
	v_add_co_u32 v6, vcc_lo, v15, s2
	v_add_co_ci_u32_e64 v7, null, s3, v16, vcc_lo
	flat_store_short v[13:14], v3 offset:64
	flat_load_ushort v3, v[11:12] offset:96
	v_add_co_u32 v6, vcc_lo, v6, v0
	v_add_co_ci_u32_e64 v7, null, v7, v1, vcc_lo
	s_waitcnt vmcnt(0) lgkmcnt(0)
	v_mul_f16_e32 v3, s1, v3
	v_fmac_f16_e32 v3, s0, v9
	v_add_co_u32 v9, vcc_lo, v17, s4
	v_add_co_ci_u32_e64 v10, null, s5, v18, vcc_lo
	flat_store_short v[13:14], v3 offset:96
	flat_load_ushort v3, v[6:7]
	v_add_co_u32 v0, vcc_lo, v9, v0
	v_add_co_ci_u32_e64 v1, null, v10, v1, vcc_lo
	s_waitcnt vmcnt(0) lgkmcnt(0)
	v_mul_f16_e32 v3, s1, v3
	v_fmac_f16_e32 v3, s0, v5
	flat_store_short v[0:1], v3
	flat_load_ushort v3, v[6:7] offset:32
	s_waitcnt vmcnt(0) lgkmcnt(0)
	v_mul_f16_e32 v3, s1, v3
	v_fmac_f16_e32 v3, s0, v8
	flat_store_short v[0:1], v3 offset:32
	flat_load_ushort v3, v[6:7] offset:64
	s_waitcnt vmcnt(0) lgkmcnt(0)
	v_mul_f16_e32 v3, s1, v3
	v_fmac_f16_e32 v3, s0, v4
	flat_store_short v[0:1], v3 offset:64
	;; [unrolled: 5-line block ×3, first 2 shown]
.LBB150_7:
	s_endpgm
.LBB150_8:
	s_branch .LBB150_6
	.section	.rodata,"a",@progbits
	.p2align	6, 0x0
	.amdhsa_kernel _ZN12_GLOBAL__N_127rocblas_gemm_batched_kernelIDF16_Li16ELi16ELi64ELi64ELi4ELi64ELi4ELi4ELi64ELc84ELc84EKPKDF16_S3_KPDF16_EEvlllT_PT11_llS8_llS6_PT12_llPT13_lli
		.amdhsa_group_segment_fixed_size 1024
		.amdhsa_private_segment_fixed_size 0
		.amdhsa_kernarg_size 140
		.amdhsa_user_sgpr_count 6
		.amdhsa_user_sgpr_private_segment_buffer 1
		.amdhsa_user_sgpr_dispatch_ptr 0
		.amdhsa_user_sgpr_queue_ptr 0
		.amdhsa_user_sgpr_kernarg_segment_ptr 1
		.amdhsa_user_sgpr_dispatch_id 0
		.amdhsa_user_sgpr_flat_scratch_init 0
		.amdhsa_user_sgpr_private_segment_size 0
		.amdhsa_wavefront_size32 1
		.amdhsa_uses_dynamic_stack 0
		.amdhsa_system_sgpr_private_segment_wavefront_offset 0
		.amdhsa_system_sgpr_workgroup_id_x 1
		.amdhsa_system_sgpr_workgroup_id_y 1
		.amdhsa_system_sgpr_workgroup_id_z 1
		.amdhsa_system_sgpr_workgroup_info 0
		.amdhsa_system_vgpr_workitem_id 1
		.amdhsa_next_free_vgpr 36
		.amdhsa_next_free_sgpr 36
		.amdhsa_reserve_vcc 1
		.amdhsa_reserve_flat_scratch 0
		.amdhsa_float_round_mode_32 0
		.amdhsa_float_round_mode_16_64 0
		.amdhsa_float_denorm_mode_32 3
		.amdhsa_float_denorm_mode_16_64 3
		.amdhsa_dx10_clamp 1
		.amdhsa_ieee_mode 1
		.amdhsa_fp16_overflow 0
		.amdhsa_workgroup_processor_mode 1
		.amdhsa_memory_ordered 1
		.amdhsa_forward_progress 1
		.amdhsa_shared_vgpr_count 0
		.amdhsa_exception_fp_ieee_invalid_op 0
		.amdhsa_exception_fp_denorm_src 0
		.amdhsa_exception_fp_ieee_div_zero 0
		.amdhsa_exception_fp_ieee_overflow 0
		.amdhsa_exception_fp_ieee_underflow 0
		.amdhsa_exception_fp_ieee_inexact 0
		.amdhsa_exception_int_div_zero 0
	.end_amdhsa_kernel
	.section	.text._ZN12_GLOBAL__N_127rocblas_gemm_batched_kernelIDF16_Li16ELi16ELi64ELi64ELi4ELi64ELi4ELi4ELi64ELc84ELc84EKPKDF16_S3_KPDF16_EEvlllT_PT11_llS8_llS6_PT12_llPT13_lli,"axG",@progbits,_ZN12_GLOBAL__N_127rocblas_gemm_batched_kernelIDF16_Li16ELi16ELi64ELi64ELi4ELi64ELi4ELi4ELi64ELc84ELc84EKPKDF16_S3_KPDF16_EEvlllT_PT11_llS8_llS6_PT12_llPT13_lli,comdat
.Lfunc_end150:
	.size	_ZN12_GLOBAL__N_127rocblas_gemm_batched_kernelIDF16_Li16ELi16ELi64ELi64ELi4ELi64ELi4ELi4ELi64ELc84ELc84EKPKDF16_S3_KPDF16_EEvlllT_PT11_llS8_llS6_PT12_llPT13_lli, .Lfunc_end150-_ZN12_GLOBAL__N_127rocblas_gemm_batched_kernelIDF16_Li16ELi16ELi64ELi64ELi4ELi64ELi4ELi4ELi64ELc84ELc84EKPKDF16_S3_KPDF16_EEvlllT_PT11_llS8_llS6_PT12_llPT13_lli
                                        ; -- End function
	.set _ZN12_GLOBAL__N_127rocblas_gemm_batched_kernelIDF16_Li16ELi16ELi64ELi64ELi4ELi64ELi4ELi4ELi64ELc84ELc84EKPKDF16_S3_KPDF16_EEvlllT_PT11_llS8_llS6_PT12_llPT13_lli.num_vgpr, 36
	.set _ZN12_GLOBAL__N_127rocblas_gemm_batched_kernelIDF16_Li16ELi16ELi64ELi64ELi4ELi64ELi4ELi4ELi64ELc84ELc84EKPKDF16_S3_KPDF16_EEvlllT_PT11_llS8_llS6_PT12_llPT13_lli.num_agpr, 0
	.set _ZN12_GLOBAL__N_127rocblas_gemm_batched_kernelIDF16_Li16ELi16ELi64ELi64ELi4ELi64ELi4ELi4ELi64ELc84ELc84EKPKDF16_S3_KPDF16_EEvlllT_PT11_llS8_llS6_PT12_llPT13_lli.numbered_sgpr, 36
	.set _ZN12_GLOBAL__N_127rocblas_gemm_batched_kernelIDF16_Li16ELi16ELi64ELi64ELi4ELi64ELi4ELi4ELi64ELc84ELc84EKPKDF16_S3_KPDF16_EEvlllT_PT11_llS8_llS6_PT12_llPT13_lli.num_named_barrier, 0
	.set _ZN12_GLOBAL__N_127rocblas_gemm_batched_kernelIDF16_Li16ELi16ELi64ELi64ELi4ELi64ELi4ELi4ELi64ELc84ELc84EKPKDF16_S3_KPDF16_EEvlllT_PT11_llS8_llS6_PT12_llPT13_lli.private_seg_size, 0
	.set _ZN12_GLOBAL__N_127rocblas_gemm_batched_kernelIDF16_Li16ELi16ELi64ELi64ELi4ELi64ELi4ELi4ELi64ELc84ELc84EKPKDF16_S3_KPDF16_EEvlllT_PT11_llS8_llS6_PT12_llPT13_lli.uses_vcc, 1
	.set _ZN12_GLOBAL__N_127rocblas_gemm_batched_kernelIDF16_Li16ELi16ELi64ELi64ELi4ELi64ELi4ELi4ELi64ELc84ELc84EKPKDF16_S3_KPDF16_EEvlllT_PT11_llS8_llS6_PT12_llPT13_lli.uses_flat_scratch, 0
	.set _ZN12_GLOBAL__N_127rocblas_gemm_batched_kernelIDF16_Li16ELi16ELi64ELi64ELi4ELi64ELi4ELi4ELi64ELc84ELc84EKPKDF16_S3_KPDF16_EEvlllT_PT11_llS8_llS6_PT12_llPT13_lli.has_dyn_sized_stack, 0
	.set _ZN12_GLOBAL__N_127rocblas_gemm_batched_kernelIDF16_Li16ELi16ELi64ELi64ELi4ELi64ELi4ELi4ELi64ELc84ELc84EKPKDF16_S3_KPDF16_EEvlllT_PT11_llS8_llS6_PT12_llPT13_lli.has_recursion, 0
	.set _ZN12_GLOBAL__N_127rocblas_gemm_batched_kernelIDF16_Li16ELi16ELi64ELi64ELi4ELi64ELi4ELi4ELi64ELc84ELc84EKPKDF16_S3_KPDF16_EEvlllT_PT11_llS8_llS6_PT12_llPT13_lli.has_indirect_call, 0
	.section	.AMDGPU.csdata,"",@progbits
; Kernel info:
; codeLenInByte = 2384
; TotalNumSgprs: 38
; NumVgprs: 36
; ScratchSize: 0
; MemoryBound: 0
; FloatMode: 240
; IeeeMode: 1
; LDSByteSize: 1024 bytes/workgroup (compile time only)
; SGPRBlocks: 0
; VGPRBlocks: 4
; NumSGPRsForWavesPerEU: 38
; NumVGPRsForWavesPerEU: 36
; Occupancy: 16
; WaveLimiterHint : 1
; COMPUTE_PGM_RSRC2:SCRATCH_EN: 0
; COMPUTE_PGM_RSRC2:USER_SGPR: 6
; COMPUTE_PGM_RSRC2:TRAP_HANDLER: 0
; COMPUTE_PGM_RSRC2:TGID_X_EN: 1
; COMPUTE_PGM_RSRC2:TGID_Y_EN: 1
; COMPUTE_PGM_RSRC2:TGID_Z_EN: 1
; COMPUTE_PGM_RSRC2:TIDIG_COMP_CNT: 1
	.section	.text._ZN12_GLOBAL__N_127rocblas_gemm_batched_kernelIDF16_Li16ELi16ELi64ELi64ELi4ELi64ELi4ELi4ELi64ELc67ELc67EKPKDF16_S3_KPDF16_EEvlllT_PT11_llS8_llS6_PT12_llPT13_lli,"axG",@progbits,_ZN12_GLOBAL__N_127rocblas_gemm_batched_kernelIDF16_Li16ELi16ELi64ELi64ELi4ELi64ELi4ELi4ELi64ELc67ELc67EKPKDF16_S3_KPDF16_EEvlllT_PT11_llS8_llS6_PT12_llPT13_lli,comdat
	.globl	_ZN12_GLOBAL__N_127rocblas_gemm_batched_kernelIDF16_Li16ELi16ELi64ELi64ELi4ELi64ELi4ELi4ELi64ELc67ELc67EKPKDF16_S3_KPDF16_EEvlllT_PT11_llS8_llS6_PT12_llPT13_lli ; -- Begin function _ZN12_GLOBAL__N_127rocblas_gemm_batched_kernelIDF16_Li16ELi16ELi64ELi64ELi4ELi64ELi4ELi4ELi64ELc67ELc67EKPKDF16_S3_KPDF16_EEvlllT_PT11_llS8_llS6_PT12_llPT13_lli
	.p2align	8
	.type	_ZN12_GLOBAL__N_127rocblas_gemm_batched_kernelIDF16_Li16ELi16ELi64ELi64ELi4ELi64ELi4ELi4ELi64ELc67ELc67EKPKDF16_S3_KPDF16_EEvlllT_PT11_llS8_llS6_PT12_llPT13_lli,@function
_ZN12_GLOBAL__N_127rocblas_gemm_batched_kernelIDF16_Li16ELi16ELi64ELi64ELi4ELi64ELi4ELi4ELi64ELc67ELc67EKPKDF16_S3_KPDF16_EEvlllT_PT11_llS8_llS6_PT12_llPT13_lli: ; @_ZN12_GLOBAL__N_127rocblas_gemm_batched_kernelIDF16_Li16ELi16ELi64ELi64ELi4ELi64ELi4ELi4ELi64ELc67ELc67EKPKDF16_S3_KPDF16_EEvlllT_PT11_llS8_llS6_PT12_llPT13_lli
; %bb.0:
	s_clause 0x1
	s_load_dwordx8 s[12:19], s[4:5], 0x58
	s_load_dwordx2 s[30:31], s[4:5], 0x10
	s_mov_b32 s9, 0
	s_mov_b32 s0, s7
	s_lshl_b64 s[34:35], s[8:9], 3
	s_load_dwordx4 s[8:11], s[4:5], 0x78
	v_mov_b32_e32 v3, 0
	s_waitcnt lgkmcnt(0)
	s_add_u32 s2, s12, s34
	s_addc_u32 s3, s13, s35
	s_add_u32 s18, s18, s34
	s_addc_u32 s19, s19, s35
	s_load_dwordx2 s[12:13], s[2:3], 0x0
	s_load_dwordx2 s[18:19], s[18:19], 0x0
	v_cmp_lt_i64_e64 s2, s[30:31], 1
	s_ashr_i32 s7, s6, 31
	s_ashr_i32 s1, s0, 31
	s_lshl_b64 s[6:7], s[6:7], 6
	s_lshl_b64 s[28:29], s[0:1], 6
	s_and_b32 vcc_lo, exec_lo, s2
	s_cbranch_vccnz .LBB151_3
; %bb.1:
	s_clause 0x1
	s_load_dwordx8 s[20:27], s[4:5], 0x20
	s_load_dwordx4 s[0:3], s[4:5], 0x40
	v_lshl_add_u32 v8, v1, 4, v0
	v_and_b32_e32 v9, 3, v0
	v_lshlrev_b32_e32 v14, 1, v0
	v_lshl_add_u32 v15, v1, 3, 0x200
	v_and_b32_e32 v10, 63, v8
	v_lshrrev_b32_e32 v2, 2, v8
	v_lshlrev_b32_e32 v11, 1, v9
	v_lshrrev_b32_e32 v8, 6, v8
	v_add_co_u32 v6, s33, s6, v10
	v_add_co_ci_u32_e64 v7, null, s7, 0, s33
	v_lshlrev_b32_e32 v10, 1, v10
	v_lshl_or_b32 v11, v2, 3, v11
	v_lshlrev_b32_e32 v18, 1, v8
	s_waitcnt lgkmcnt(0)
	s_add_u32 s20, s20, s34
	s_addc_u32 s21, s21, s35
	s_add_u32 s26, s26, s34
	s_addc_u32 s27, s27, s35
	v_mad_u64_u32 v[4:5], null, s0, v9, v[2:3]
	s_load_dwordx2 s[26:27], s[26:27], 0x0
	v_mul_lo_u32 v12, s23, v6
	v_mul_lo_u32 v13, s22, v7
	v_mad_u64_u32 v[6:7], null, s22, v6, 0
	v_lshl_or_b32 v16, v8, 7, v10
	v_mov_b32_e32 v2, v5
	s_load_dwordx2 s[20:21], s[20:21], 0x0
	s_lshl_b64 s[2:3], s[2:3], 1
	v_add_nc_u32_e32 v17, 0x200, v11
	v_mov_b32_e32 v10, 0
	v_add3_u32 v7, v7, v13, v12
	v_mad_u64_u32 v[8:9], null, s1, v9, v[2:3]
	v_mov_b32_e32 v9, 0
	v_mov_b32_e32 v11, 0
	v_lshlrev_b64 v[5:6], 1, v[6:7]
	v_add_co_u32 v7, vcc_lo, v4, s28
	v_mov_b32_e32 v12, 0
	v_add_co_ci_u32_e64 v8, null, s29, v8, vcc_lo
	s_waitcnt lgkmcnt(0)
	s_add_u32 s22, s26, s2
	s_addc_u32 s23, s27, s3
	s_lshl_b64 s[2:3], s[24:25], 1
	v_mov_b32_e32 v13, 0
	v_add_co_u32 v2, vcc_lo, v5, s2
	v_add_co_ci_u32_e64 v6, null, s3, v6, vcc_lo
	v_lshlrev_b64 v[4:5], 1, v[7:8]
	v_add_co_u32 v2, vcc_lo, v2, v18
	v_add_co_ci_u32_e64 v7, null, 0, v6, vcc_lo
	v_mov_b32_e32 v8, 0
	v_add_co_u32 v4, vcc_lo, s22, v4
	v_add_co_ci_u32_e64 v5, null, s23, v5, vcc_lo
	v_add_co_u32 v6, vcc_lo, s20, v2
	v_add_co_ci_u32_e64 v7, null, s21, v7, vcc_lo
	v_mov_b32_e32 v2, 0
	s_lshl_b64 s[2:3], s[0:1], 3
	s_mov_b64 s[20:21], 0
.LBB151_2:                              ; =>This Inner Loop Header: Depth=1
	flat_load_ushort v18, v[6:7]
	s_add_u32 s20, s20, 4
	s_addc_u32 s21, s21, 0
	v_add_co_u32 v6, vcc_lo, v6, 8
	v_cmp_lt_i64_e64 s0, s[20:21], s[30:31]
	v_add_co_ci_u32_e64 v7, null, 0, v7, vcc_lo
	s_and_b32 vcc_lo, exec_lo, s0
	s_waitcnt vmcnt(0) lgkmcnt(0)
	ds_write_b16 v16, v18
	flat_load_ushort v18, v[4:5]
	v_add_co_u32 v4, s0, v4, s2
	v_add_co_ci_u32_e64 v5, null, s3, v5, s0
	s_waitcnt vmcnt(0) lgkmcnt(0)
	ds_write_b16 v17, v18
	s_waitcnt lgkmcnt(0)
	s_barrier
	buffer_gl0_inv
	ds_read_u16 v26, v14 offset:32
	ds_read_u16 v27, v14 offset:96
	;; [unrolled: 1-line block ×8, first 2 shown]
	ds_read2_b64 v[18:21], v15 offset1:16
	ds_read2_b64 v[22:25], v15 offset0:32 offset1:48
	s_waitcnt lgkmcnt(9)
	ds_read_u16_d16_hi v26, v14
	s_waitcnt lgkmcnt(9)
	ds_read_u16_d16_hi v27, v14 offset:64
	s_waitcnt lgkmcnt(9)
	ds_read_u16_d16_hi v28, v14 offset:128
	;; [unrolled: 2-line block ×7, first 2 shown]
	s_waitcnt lgkmcnt(0)
	s_barrier
	buffer_gl0_inv
	v_pk_fma_f16 v3, v26, v18, v3 op_sel_hi:[1,0,1]
	v_pk_fma_f16 v13, v27, v18, v13 op_sel_hi:[1,0,1]
	;; [unrolled: 1-line block ×8, first 2 shown]
	v_pk_fma_f16 v3, v28, v18, v3 op_sel:[0,1,0]
	v_pk_fma_f16 v13, v29, v18, v13 op_sel:[0,1,0]
	;; [unrolled: 1-line block ×8, first 2 shown]
	v_pk_fma_f16 v3, v30, v19, v3 op_sel_hi:[1,0,1]
	v_pk_fma_f16 v13, v31, v19, v13 op_sel_hi:[1,0,1]
	;; [unrolled: 1-line block ×8, first 2 shown]
	v_pk_fma_f16 v3, v32, v19, v3 op_sel:[0,1,0]
	v_pk_fma_f16 v13, v33, v19, v13 op_sel:[0,1,0]
	;; [unrolled: 1-line block ×8, first 2 shown]
	s_cbranch_vccnz .LBB151_2
	s_branch .LBB151_4
.LBB151_3:
	v_mov_b32_e32 v13, 0
	v_mov_b32_e32 v12, 0
	;; [unrolled: 1-line block ×7, first 2 shown]
.LBB151_4:
	s_clause 0x1
	s_load_dword s1, s[4:5], 0x50
	s_load_dword s0, s[4:5], 0x18
	v_add_co_u32 v17, s4, s28, v1
	v_add_co_ci_u32_e64 v21, null, s29, 0, s4
	v_add_co_u32 v0, s4, s6, v0
	v_add_co_ci_u32_e64 v1, null, s7, 0, s4
	v_mul_lo_u32 v19, v21, s8
	v_mul_lo_u32 v20, v17, s9
	s_lshl_b64 s[2:3], s[10:11], 1
	v_lshlrev_b64 v[0:1], 1, v[0:1]
	v_lshrrev_b32_e32 v18, 16, v3
	v_lshrrev_b32_e32 v16, 16, v13
	;; [unrolled: 1-line block ×6, first 2 shown]
	s_waitcnt lgkmcnt(0)
	v_cmp_neq_f16_e64 s4, s1, 0
	v_lshrrev_b32_e32 v5, 16, v8
	v_lshrrev_b32_e32 v4, 16, v2
	s_add_u32 s2, s18, s2
	s_addc_u32 s3, s19, s3
	s_and_b32 vcc_lo, exec_lo, s4
	s_mov_b32 s4, 0
	s_cbranch_vccnz .LBB151_8
; %bb.5:
	v_mad_u64_u32 v[22:23], null, v17, s8, 0
	s_lshl_b64 s[6:7], s[8:9], 5
	v_mul_f16_sdwa v26, s0, v3 dst_sel:DWORD dst_unused:UNUSED_PAD src0_sel:DWORD src1_sel:WORD_1
	v_mul_f16_e32 v27, s0, v3
	v_mul_f16_sdwa v28, s0, v13 dst_sel:DWORD dst_unused:UNUSED_PAD src0_sel:DWORD src1_sel:WORD_1
	v_mul_f16_e32 v29, s0, v13
	v_mul_f16_sdwa v30, s0, v12 dst_sel:DWORD dst_unused:UNUSED_PAD src0_sel:DWORD src1_sel:WORD_1
	v_add3_u32 v23, v23, v20, v19
	v_mul_f16_e32 v31, s0, v12
	v_mul_f16_sdwa v32, s0, v11 dst_sel:DWORD dst_unused:UNUSED_PAD src0_sel:DWORD src1_sel:WORD_1
	v_mul_f16_e32 v33, s0, v11
	v_lshlrev_b64 v[22:23], 1, v[22:23]
	v_add_co_u32 v22, vcc_lo, s2, v22
	v_add_co_ci_u32_e64 v23, null, s3, v23, vcc_lo
	v_add_co_u32 v34, vcc_lo, v22, s6
	v_add_co_ci_u32_e64 v35, null, s7, v23, vcc_lo
	;; [unrolled: 2-line block ×4, first 2 shown]
	flat_store_short v[22:23], v26
	flat_store_short v[22:23], v27 offset:32
	flat_store_short v[22:23], v28 offset:64
	;; [unrolled: 1-line block ×3, first 2 shown]
	flat_store_short v[24:25], v30
	flat_store_short v[24:25], v31 offset:32
	v_add_co_u32 v26, vcc_lo, v34, s6
	v_add_co_ci_u32_e64 v27, null, s7, v35, vcc_lo
	v_mul_f16_sdwa v28, s0, v10 dst_sel:DWORD dst_unused:UNUSED_PAD src0_sel:DWORD src1_sel:WORD_1
	v_add_co_u32 v22, vcc_lo, v26, v0
	v_add_co_ci_u32_e64 v23, null, v27, v1, vcc_lo
	v_mul_f16_e32 v29, s0, v10
	v_mul_f16_sdwa v30, s0, v9 dst_sel:DWORD dst_unused:UNUSED_PAD src0_sel:DWORD src1_sel:WORD_1
	flat_store_short v[24:25], v32 offset:64
	flat_store_short v[24:25], v33 offset:96
	flat_store_short v[22:23], v28
	flat_store_short v[22:23], v29 offset:32
	flat_store_short v[22:23], v30 offset:64
	v_add_co_u32 v24, vcc_lo, v26, s6
	v_add_co_ci_u32_e64 v25, null, s7, v27, vcc_lo
	v_mul_f16_e32 v28, s0, v9
	v_add_co_u32 v24, vcc_lo, v24, v0
	v_mul_f16_sdwa v26, s0, v8 dst_sel:DWORD dst_unused:UNUSED_PAD src0_sel:DWORD src1_sel:WORD_1
	v_add_co_ci_u32_e64 v25, null, v25, v1, vcc_lo
	v_mul_f16_e32 v27, s0, v8
	v_mul_f16_sdwa v29, s0, v2 dst_sel:DWORD dst_unused:UNUSED_PAD src0_sel:DWORD src1_sel:WORD_1
	v_mul_f16_e32 v30, s0, v2
	flat_store_short v[22:23], v28 offset:96
	flat_store_short v[24:25], v26
	flat_store_short v[24:25], v27 offset:32
	flat_store_short v[24:25], v29 offset:64
	;; [unrolled: 1-line block ×3, first 2 shown]
	s_andn2_b32 vcc_lo, exec_lo, s4
	s_cbranch_vccnz .LBB151_7
.LBB151_6:
	v_mul_lo_u32 v23, v21, s14
	v_mul_lo_u32 v24, v17, s15
	v_mad_u64_u32 v[21:22], null, v17, s14, 0
	s_lshl_b64 s[4:5], s[16:17], 1
	s_add_u32 s4, s12, s4
	s_addc_u32 s5, s13, s5
	v_add3_u32 v22, v22, v24, v23
	v_mad_u64_u32 v[23:24], null, v17, s8, 0
	v_lshlrev_b64 v[21:22], 1, v[21:22]
	v_add3_u32 v24, v24, v20, v19
	v_add_co_u32 v25, vcc_lo, s4, v21
	v_add_co_ci_u32_e64 v26, null, s5, v22, vcc_lo
	v_lshlrev_b64 v[19:20], 1, v[23:24]
	v_add_co_u32 v21, vcc_lo, v25, v0
	v_add_co_ci_u32_e64 v22, null, v26, v1, vcc_lo
	s_lshl_b64 s[4:5], s[8:9], 5
	v_add_co_u32 v23, vcc_lo, s2, v19
	flat_load_ushort v27, v[21:22]
	v_add_co_ci_u32_e64 v24, null, s3, v20, vcc_lo
	v_add_co_u32 v19, vcc_lo, v23, v0
	s_lshl_b64 s[2:3], s[14:15], 5
	v_add_co_ci_u32_e64 v20, null, v24, v1, vcc_lo
	s_waitcnt vmcnt(0) lgkmcnt(0)
	v_mul_f16_e32 v17, s1, v27
	v_fmac_f16_e32 v17, s0, v18
	flat_store_short v[19:20], v17
	flat_load_ushort v17, v[21:22] offset:32
	s_waitcnt vmcnt(0) lgkmcnt(0)
	v_mul_f16_e32 v17, s1, v17
	v_fmac_f16_e32 v17, s0, v3
	flat_store_short v[19:20], v17 offset:32
	flat_load_ushort v3, v[21:22] offset:64
	s_waitcnt vmcnt(0) lgkmcnt(0)
	v_mul_f16_e32 v3, s1, v3
	v_fmac_f16_e32 v3, s0, v16
	flat_store_short v[19:20], v3 offset:64
	flat_load_ushort v3, v[21:22] offset:96
	v_add_co_u32 v21, vcc_lo, v25, s2
	v_add_co_ci_u32_e64 v22, null, s3, v26, vcc_lo
	v_add_co_u32 v16, vcc_lo, v21, v0
	v_add_co_ci_u32_e64 v17, null, v22, v1, vcc_lo
	s_waitcnt vmcnt(0) lgkmcnt(0)
	v_mul_f16_e32 v3, s1, v3
	v_fmac_f16_e32 v3, s0, v13
	v_add_co_u32 v13, vcc_lo, v23, s4
	flat_store_short v[19:20], v3 offset:96
	flat_load_ushort v3, v[16:17]
	v_add_co_ci_u32_e64 v20, null, s5, v24, vcc_lo
	v_add_co_u32 v18, vcc_lo, v13, v0
	v_add_co_ci_u32_e64 v19, null, v20, v1, vcc_lo
	s_waitcnt vmcnt(0) lgkmcnt(0)
	v_mul_f16_e32 v3, s1, v3
	v_fmac_f16_e32 v3, s0, v15
	v_add_co_u32 v15, vcc_lo, v21, s2
	flat_store_short v[18:19], v3
	flat_load_ushort v3, v[16:17] offset:32
	s_waitcnt vmcnt(0) lgkmcnt(0)
	v_mul_f16_e32 v3, s1, v3
	v_fmac_f16_e32 v3, s0, v12
	flat_store_short v[18:19], v3 offset:32
	flat_load_ushort v3, v[16:17] offset:64
	s_waitcnt vmcnt(0) lgkmcnt(0)
	v_mul_f16_e32 v3, s1, v3
	v_fmac_f16_e32 v3, s0, v14
	flat_store_short v[18:19], v3 offset:64
	flat_load_ushort v3, v[16:17] offset:96
	v_add_co_ci_u32_e64 v16, null, s3, v22, vcc_lo
	s_waitcnt vmcnt(0) lgkmcnt(0)
	v_mul_f16_e32 v3, s1, v3
	v_fmac_f16_e32 v3, s0, v11
	v_add_co_u32 v11, vcc_lo, v15, v0
	v_add_co_ci_u32_e64 v12, null, v16, v1, vcc_lo
	flat_store_short v[18:19], v3 offset:96
	v_add_co_u32 v17, vcc_lo, v13, s4
	flat_load_ushort v3, v[11:12]
	v_add_co_ci_u32_e64 v18, null, s5, v20, vcc_lo
	v_add_co_u32 v13, vcc_lo, v17, v0
	v_add_co_ci_u32_e64 v14, null, v18, v1, vcc_lo
	s_waitcnt vmcnt(0) lgkmcnt(0)
	v_mul_f16_e32 v3, s1, v3
	v_fmac_f16_e32 v3, s0, v7
	flat_store_short v[13:14], v3
	flat_load_ushort v3, v[11:12] offset:32
	s_waitcnt vmcnt(0) lgkmcnt(0)
	v_mul_f16_e32 v3, s1, v3
	v_fmac_f16_e32 v3, s0, v10
	flat_store_short v[13:14], v3 offset:32
	flat_load_ushort v3, v[11:12] offset:64
	s_waitcnt vmcnt(0) lgkmcnt(0)
	v_mul_f16_e32 v3, s1, v3
	v_fmac_f16_e32 v3, s0, v6
	v_add_co_u32 v6, vcc_lo, v15, s2
	v_add_co_ci_u32_e64 v7, null, s3, v16, vcc_lo
	flat_store_short v[13:14], v3 offset:64
	flat_load_ushort v3, v[11:12] offset:96
	v_add_co_u32 v6, vcc_lo, v6, v0
	v_add_co_ci_u32_e64 v7, null, v7, v1, vcc_lo
	s_waitcnt vmcnt(0) lgkmcnt(0)
	v_mul_f16_e32 v3, s1, v3
	v_fmac_f16_e32 v3, s0, v9
	v_add_co_u32 v9, vcc_lo, v17, s4
	v_add_co_ci_u32_e64 v10, null, s5, v18, vcc_lo
	flat_store_short v[13:14], v3 offset:96
	flat_load_ushort v3, v[6:7]
	v_add_co_u32 v0, vcc_lo, v9, v0
	v_add_co_ci_u32_e64 v1, null, v10, v1, vcc_lo
	s_waitcnt vmcnt(0) lgkmcnt(0)
	v_mul_f16_e32 v3, s1, v3
	v_fmac_f16_e32 v3, s0, v5
	flat_store_short v[0:1], v3
	flat_load_ushort v3, v[6:7] offset:32
	s_waitcnt vmcnt(0) lgkmcnt(0)
	v_mul_f16_e32 v3, s1, v3
	v_fmac_f16_e32 v3, s0, v8
	flat_store_short v[0:1], v3 offset:32
	flat_load_ushort v3, v[6:7] offset:64
	s_waitcnt vmcnt(0) lgkmcnt(0)
	v_mul_f16_e32 v3, s1, v3
	v_fmac_f16_e32 v3, s0, v4
	flat_store_short v[0:1], v3 offset:64
	flat_load_ushort v3, v[6:7] offset:96
	s_waitcnt vmcnt(0) lgkmcnt(0)
	v_mul_f16_e32 v3, s1, v3
	v_fmac_f16_e32 v3, s0, v2
	flat_store_short v[0:1], v3 offset:96
.LBB151_7:
	s_endpgm
.LBB151_8:
	s_branch .LBB151_6
	.section	.rodata,"a",@progbits
	.p2align	6, 0x0
	.amdhsa_kernel _ZN12_GLOBAL__N_127rocblas_gemm_batched_kernelIDF16_Li16ELi16ELi64ELi64ELi4ELi64ELi4ELi4ELi64ELc67ELc67EKPKDF16_S3_KPDF16_EEvlllT_PT11_llS8_llS6_PT12_llPT13_lli
		.amdhsa_group_segment_fixed_size 1024
		.amdhsa_private_segment_fixed_size 0
		.amdhsa_kernarg_size 140
		.amdhsa_user_sgpr_count 6
		.amdhsa_user_sgpr_private_segment_buffer 1
		.amdhsa_user_sgpr_dispatch_ptr 0
		.amdhsa_user_sgpr_queue_ptr 0
		.amdhsa_user_sgpr_kernarg_segment_ptr 1
		.amdhsa_user_sgpr_dispatch_id 0
		.amdhsa_user_sgpr_flat_scratch_init 0
		.amdhsa_user_sgpr_private_segment_size 0
		.amdhsa_wavefront_size32 1
		.amdhsa_uses_dynamic_stack 0
		.amdhsa_system_sgpr_private_segment_wavefront_offset 0
		.amdhsa_system_sgpr_workgroup_id_x 1
		.amdhsa_system_sgpr_workgroup_id_y 1
		.amdhsa_system_sgpr_workgroup_id_z 1
		.amdhsa_system_sgpr_workgroup_info 0
		.amdhsa_system_vgpr_workitem_id 1
		.amdhsa_next_free_vgpr 36
		.amdhsa_next_free_sgpr 36
		.amdhsa_reserve_vcc 1
		.amdhsa_reserve_flat_scratch 0
		.amdhsa_float_round_mode_32 0
		.amdhsa_float_round_mode_16_64 0
		.amdhsa_float_denorm_mode_32 3
		.amdhsa_float_denorm_mode_16_64 3
		.amdhsa_dx10_clamp 1
		.amdhsa_ieee_mode 1
		.amdhsa_fp16_overflow 0
		.amdhsa_workgroup_processor_mode 1
		.amdhsa_memory_ordered 1
		.amdhsa_forward_progress 1
		.amdhsa_shared_vgpr_count 0
		.amdhsa_exception_fp_ieee_invalid_op 0
		.amdhsa_exception_fp_denorm_src 0
		.amdhsa_exception_fp_ieee_div_zero 0
		.amdhsa_exception_fp_ieee_overflow 0
		.amdhsa_exception_fp_ieee_underflow 0
		.amdhsa_exception_fp_ieee_inexact 0
		.amdhsa_exception_int_div_zero 0
	.end_amdhsa_kernel
	.section	.text._ZN12_GLOBAL__N_127rocblas_gemm_batched_kernelIDF16_Li16ELi16ELi64ELi64ELi4ELi64ELi4ELi4ELi64ELc67ELc67EKPKDF16_S3_KPDF16_EEvlllT_PT11_llS8_llS6_PT12_llPT13_lli,"axG",@progbits,_ZN12_GLOBAL__N_127rocblas_gemm_batched_kernelIDF16_Li16ELi16ELi64ELi64ELi4ELi64ELi4ELi4ELi64ELc67ELc67EKPKDF16_S3_KPDF16_EEvlllT_PT11_llS8_llS6_PT12_llPT13_lli,comdat
.Lfunc_end151:
	.size	_ZN12_GLOBAL__N_127rocblas_gemm_batched_kernelIDF16_Li16ELi16ELi64ELi64ELi4ELi64ELi4ELi4ELi64ELc67ELc67EKPKDF16_S3_KPDF16_EEvlllT_PT11_llS8_llS6_PT12_llPT13_lli, .Lfunc_end151-_ZN12_GLOBAL__N_127rocblas_gemm_batched_kernelIDF16_Li16ELi16ELi64ELi64ELi4ELi64ELi4ELi4ELi64ELc67ELc67EKPKDF16_S3_KPDF16_EEvlllT_PT11_llS8_llS6_PT12_llPT13_lli
                                        ; -- End function
	.set _ZN12_GLOBAL__N_127rocblas_gemm_batched_kernelIDF16_Li16ELi16ELi64ELi64ELi4ELi64ELi4ELi4ELi64ELc67ELc67EKPKDF16_S3_KPDF16_EEvlllT_PT11_llS8_llS6_PT12_llPT13_lli.num_vgpr, 36
	.set _ZN12_GLOBAL__N_127rocblas_gemm_batched_kernelIDF16_Li16ELi16ELi64ELi64ELi4ELi64ELi4ELi4ELi64ELc67ELc67EKPKDF16_S3_KPDF16_EEvlllT_PT11_llS8_llS6_PT12_llPT13_lli.num_agpr, 0
	.set _ZN12_GLOBAL__N_127rocblas_gemm_batched_kernelIDF16_Li16ELi16ELi64ELi64ELi4ELi64ELi4ELi4ELi64ELc67ELc67EKPKDF16_S3_KPDF16_EEvlllT_PT11_llS8_llS6_PT12_llPT13_lli.numbered_sgpr, 36
	.set _ZN12_GLOBAL__N_127rocblas_gemm_batched_kernelIDF16_Li16ELi16ELi64ELi64ELi4ELi64ELi4ELi4ELi64ELc67ELc67EKPKDF16_S3_KPDF16_EEvlllT_PT11_llS8_llS6_PT12_llPT13_lli.num_named_barrier, 0
	.set _ZN12_GLOBAL__N_127rocblas_gemm_batched_kernelIDF16_Li16ELi16ELi64ELi64ELi4ELi64ELi4ELi4ELi64ELc67ELc67EKPKDF16_S3_KPDF16_EEvlllT_PT11_llS8_llS6_PT12_llPT13_lli.private_seg_size, 0
	.set _ZN12_GLOBAL__N_127rocblas_gemm_batched_kernelIDF16_Li16ELi16ELi64ELi64ELi4ELi64ELi4ELi4ELi64ELc67ELc67EKPKDF16_S3_KPDF16_EEvlllT_PT11_llS8_llS6_PT12_llPT13_lli.uses_vcc, 1
	.set _ZN12_GLOBAL__N_127rocblas_gemm_batched_kernelIDF16_Li16ELi16ELi64ELi64ELi4ELi64ELi4ELi4ELi64ELc67ELc67EKPKDF16_S3_KPDF16_EEvlllT_PT11_llS8_llS6_PT12_llPT13_lli.uses_flat_scratch, 0
	.set _ZN12_GLOBAL__N_127rocblas_gemm_batched_kernelIDF16_Li16ELi16ELi64ELi64ELi4ELi64ELi4ELi4ELi64ELc67ELc67EKPKDF16_S3_KPDF16_EEvlllT_PT11_llS8_llS6_PT12_llPT13_lli.has_dyn_sized_stack, 0
	.set _ZN12_GLOBAL__N_127rocblas_gemm_batched_kernelIDF16_Li16ELi16ELi64ELi64ELi4ELi64ELi4ELi4ELi64ELc67ELc67EKPKDF16_S3_KPDF16_EEvlllT_PT11_llS8_llS6_PT12_llPT13_lli.has_recursion, 0
	.set _ZN12_GLOBAL__N_127rocblas_gemm_batched_kernelIDF16_Li16ELi16ELi64ELi64ELi4ELi64ELi4ELi4ELi64ELc67ELc67EKPKDF16_S3_KPDF16_EEvlllT_PT11_llS8_llS6_PT12_llPT13_lli.has_indirect_call, 0
	.section	.AMDGPU.csdata,"",@progbits
; Kernel info:
; codeLenInByte = 2384
; TotalNumSgprs: 38
; NumVgprs: 36
; ScratchSize: 0
; MemoryBound: 0
; FloatMode: 240
; IeeeMode: 1
; LDSByteSize: 1024 bytes/workgroup (compile time only)
; SGPRBlocks: 0
; VGPRBlocks: 4
; NumSGPRsForWavesPerEU: 38
; NumVGPRsForWavesPerEU: 36
; Occupancy: 16
; WaveLimiterHint : 1
; COMPUTE_PGM_RSRC2:SCRATCH_EN: 0
; COMPUTE_PGM_RSRC2:USER_SGPR: 6
; COMPUTE_PGM_RSRC2:TRAP_HANDLER: 0
; COMPUTE_PGM_RSRC2:TGID_X_EN: 1
; COMPUTE_PGM_RSRC2:TGID_Y_EN: 1
; COMPUTE_PGM_RSRC2:TGID_Z_EN: 1
; COMPUTE_PGM_RSRC2:TIDIG_COMP_CNT: 1
	.section	.text._ZN12_GLOBAL__N_127rocblas_gemm_batched_kernelIDF16_Li16ELi16ELi64ELi64ELi4ELi64ELi4ELi4ELi64ELc67ELc78EKPKDF16_S3_KPDF16_EEvlllT_PT11_llS8_llS6_PT12_llPT13_lli,"axG",@progbits,_ZN12_GLOBAL__N_127rocblas_gemm_batched_kernelIDF16_Li16ELi16ELi64ELi64ELi4ELi64ELi4ELi4ELi64ELc67ELc78EKPKDF16_S3_KPDF16_EEvlllT_PT11_llS8_llS6_PT12_llPT13_lli,comdat
	.globl	_ZN12_GLOBAL__N_127rocblas_gemm_batched_kernelIDF16_Li16ELi16ELi64ELi64ELi4ELi64ELi4ELi4ELi64ELc67ELc78EKPKDF16_S3_KPDF16_EEvlllT_PT11_llS8_llS6_PT12_llPT13_lli ; -- Begin function _ZN12_GLOBAL__N_127rocblas_gemm_batched_kernelIDF16_Li16ELi16ELi64ELi64ELi4ELi64ELi4ELi4ELi64ELc67ELc78EKPKDF16_S3_KPDF16_EEvlllT_PT11_llS8_llS6_PT12_llPT13_lli
	.p2align	8
	.type	_ZN12_GLOBAL__N_127rocblas_gemm_batched_kernelIDF16_Li16ELi16ELi64ELi64ELi4ELi64ELi4ELi4ELi64ELc67ELc78EKPKDF16_S3_KPDF16_EEvlllT_PT11_llS8_llS6_PT12_llPT13_lli,@function
_ZN12_GLOBAL__N_127rocblas_gemm_batched_kernelIDF16_Li16ELi16ELi64ELi64ELi4ELi64ELi4ELi4ELi64ELc67ELc78EKPKDF16_S3_KPDF16_EEvlllT_PT11_llS8_llS6_PT12_llPT13_lli: ; @_ZN12_GLOBAL__N_127rocblas_gemm_batched_kernelIDF16_Li16ELi16ELi64ELi64ELi4ELi64ELi4ELi4ELi64ELc67ELc78EKPKDF16_S3_KPDF16_EEvlllT_PT11_llS8_llS6_PT12_llPT13_lli
; %bb.0:
	s_clause 0x1
	s_load_dwordx8 s[12:19], s[4:5], 0x58
	s_load_dwordx2 s[30:31], s[4:5], 0x10
	s_mov_b32 s9, 0
	s_mov_b32 s0, s7
	s_lshl_b64 s[34:35], s[8:9], 3
	s_load_dwordx4 s[8:11], s[4:5], 0x78
	s_waitcnt lgkmcnt(0)
	s_add_u32 s2, s12, s34
	s_addc_u32 s3, s13, s35
	s_add_u32 s18, s18, s34
	s_addc_u32 s19, s19, s35
	s_load_dwordx2 s[12:13], s[2:3], 0x0
	s_load_dwordx2 s[18:19], s[18:19], 0x0
	v_cmp_lt_i64_e64 s2, s[30:31], 1
	s_ashr_i32 s7, s6, 31
	s_ashr_i32 s1, s0, 31
	s_lshl_b64 s[6:7], s[6:7], 6
	s_lshl_b64 s[28:29], s[0:1], 6
	s_and_b32 vcc_lo, exec_lo, s2
	s_cbranch_vccnz .LBB152_3
; %bb.1:
	s_clause 0x1
	s_load_dwordx8 s[20:27], s[4:5], 0x20
	s_load_dwordx4 s[0:3], s[4:5], 0x40
	v_lshl_add_u32 v2, v1, 4, v0
	v_and_b32_e32 v3, 3, v0
	v_lshlrev_b32_e32 v16, 1, v0
	v_lshl_add_u32 v17, v1, 3, 0x200
	v_lshrrev_b32_e32 v6, 2, v2
	v_and_b32_e32 v7, 63, v2
	v_lshrrev_b32_e32 v8, 6, v2
	v_lshlrev_b32_e32 v9, 1, v3
	v_add_co_u32 v2, s33, v6, s28
	v_add_co_ci_u32_e64 v3, null, 0, s29, s33
	v_add_co_u32 v4, s33, s6, v7
	v_add_co_ci_u32_e64 v5, null, s7, 0, s33
	s_waitcnt lgkmcnt(0)
	s_add_u32 s20, s20, s34
	v_mul_lo_u32 v10, s1, v2
	v_mul_lo_u32 v11, s0, v3
	v_mad_u64_u32 v[2:3], null, s0, v2, 0
	v_mul_lo_u32 v12, s23, v4
	v_mul_lo_u32 v13, s22, v5
	v_mad_u64_u32 v[4:5], null, s22, v4, 0
	s_addc_u32 s21, s21, s35
	s_add_u32 s0, s26, s34
	v_add3_u32 v3, v3, v11, v10
	s_addc_u32 s1, s27, s35
	s_load_dwordx2 s[20:21], s[20:21], 0x0
	s_load_dwordx2 s[0:1], s[0:1], 0x0
	v_add3_u32 v5, v5, v13, v12
	v_lshlrev_b64 v[2:3], 1, v[2:3]
	s_lshl_b64 s[2:3], s[2:3], 1
	v_lshl_or_b32 v6, v6, 3, v9
	v_lshlrev_b32_e32 v7, 1, v7
	v_lshlrev_b64 v[4:5], 1, v[4:5]
	v_mov_b32_e32 v10, 0
	v_add_co_u32 v2, vcc_lo, v2, s2
	v_add_co_ci_u32_e64 v3, null, s3, v3, vcc_lo
	s_lshl_b64 s[2:3], s[24:25], 1
	v_add_nc_u32_e32 v15, 0x200, v6
	v_add_co_u32 v4, vcc_lo, v4, s2
	v_lshlrev_b32_e32 v6, 1, v8
	v_add_co_ci_u32_e64 v5, null, s3, v5, vcc_lo
	v_add_co_u32 v2, vcc_lo, v2, v9
	v_add_co_ci_u32_e64 v3, null, 0, v3, vcc_lo
	v_add_co_u32 v4, vcc_lo, v4, v6
	v_add_co_ci_u32_e64 v5, null, 0, v5, vcc_lo
	s_waitcnt lgkmcnt(0)
	v_add_co_u32 v2, vcc_lo, s0, v2
	v_add_co_ci_u32_e64 v3, null, s1, v3, vcc_lo
	v_add_co_u32 v4, vcc_lo, s20, v4
	v_lshl_or_b32 v14, v8, 7, v7
	v_add_co_ci_u32_e64 v5, null, s21, v5, vcc_lo
	v_mov_b32_e32 v6, 0
	v_mov_b32_e32 v7, 0
	;; [unrolled: 1-line block ×7, first 2 shown]
	s_mov_b64 s[2:3], 0
.LBB152_2:                              ; =>This Inner Loop Header: Depth=1
	flat_load_ushort v18, v[4:5]
	s_add_u32 s2, s2, 4
	s_addc_u32 s3, s3, 0
	v_add_co_u32 v4, vcc_lo, v4, 8
	v_cmp_lt_i64_e64 s0, s[2:3], s[30:31]
	v_add_co_ci_u32_e64 v5, null, 0, v5, vcc_lo
	s_and_b32 vcc_lo, exec_lo, s0
	s_waitcnt vmcnt(0) lgkmcnt(0)
	ds_write_b16 v14, v18
	flat_load_ushort v18, v[2:3]
	v_add_co_u32 v2, s0, v2, 8
	v_add_co_ci_u32_e64 v3, null, 0, v3, s0
	s_waitcnt vmcnt(0) lgkmcnt(0)
	ds_write_b16 v15, v18
	s_waitcnt lgkmcnt(0)
	s_barrier
	buffer_gl0_inv
	ds_read_u16 v26, v16 offset:32
	ds_read_u16 v27, v16 offset:96
	;; [unrolled: 1-line block ×8, first 2 shown]
	ds_read2_b64 v[18:21], v17 offset1:16
	ds_read2_b64 v[22:25], v17 offset0:32 offset1:48
	s_waitcnt lgkmcnt(9)
	ds_read_u16_d16_hi v26, v16
	s_waitcnt lgkmcnt(9)
	ds_read_u16_d16_hi v27, v16 offset:64
	s_waitcnt lgkmcnt(9)
	ds_read_u16_d16_hi v28, v16 offset:128
	;; [unrolled: 2-line block ×7, first 2 shown]
	s_waitcnt lgkmcnt(0)
	s_barrier
	buffer_gl0_inv
	v_pk_fma_f16 v13, v26, v18, v13 op_sel_hi:[1,0,1]
	v_pk_fma_f16 v12, v27, v18, v12 op_sel_hi:[1,0,1]
	;; [unrolled: 1-line block ×8, first 2 shown]
	v_pk_fma_f16 v13, v28, v18, v13 op_sel:[0,1,0]
	v_pk_fma_f16 v12, v29, v18, v12 op_sel:[0,1,0]
	;; [unrolled: 1-line block ×8, first 2 shown]
	v_pk_fma_f16 v13, v30, v19, v13 op_sel_hi:[1,0,1]
	v_pk_fma_f16 v12, v31, v19, v12 op_sel_hi:[1,0,1]
	;; [unrolled: 1-line block ×8, first 2 shown]
	v_pk_fma_f16 v13, v32, v19, v13 op_sel:[0,1,0]
	v_pk_fma_f16 v12, v33, v19, v12 op_sel:[0,1,0]
	;; [unrolled: 1-line block ×8, first 2 shown]
	s_cbranch_vccnz .LBB152_2
	s_branch .LBB152_4
.LBB152_3:
	v_mov_b32_e32 v13, 0
	v_mov_b32_e32 v12, 0
	;; [unrolled: 1-line block ×8, first 2 shown]
.LBB152_4:
	s_clause 0x1
	s_load_dword s1, s[4:5], 0x50
	s_load_dword s0, s[4:5], 0x18
	v_add_co_u32 v17, s4, s28, v1
	v_add_co_ci_u32_e64 v21, null, s29, 0, s4
	v_add_co_u32 v0, s4, s6, v0
	v_add_co_ci_u32_e64 v1, null, s7, 0, s4
	v_mul_lo_u32 v19, v21, s8
	v_mul_lo_u32 v20, v17, s9
	s_lshl_b64 s[2:3], s[10:11], 1
	v_lshlrev_b64 v[0:1], 1, v[0:1]
	v_lshrrev_b32_e32 v18, 16, v13
	v_lshrrev_b32_e32 v16, 16, v12
	;; [unrolled: 1-line block ×6, first 2 shown]
	s_waitcnt lgkmcnt(0)
	v_cmp_neq_f16_e64 s4, s1, 0
	v_lshrrev_b32_e32 v3, 16, v7
	v_lshrrev_b32_e32 v2, 16, v6
	s_add_u32 s2, s18, s2
	s_addc_u32 s3, s19, s3
	s_and_b32 vcc_lo, exec_lo, s4
	s_mov_b32 s4, 0
	s_cbranch_vccnz .LBB152_8
; %bb.5:
	v_mad_u64_u32 v[22:23], null, v17, s8, 0
	s_lshl_b64 s[6:7], s[8:9], 5
	v_mul_f16_sdwa v26, s0, v13 dst_sel:DWORD dst_unused:UNUSED_PAD src0_sel:DWORD src1_sel:WORD_1
	v_mul_f16_e32 v27, s0, v13
	v_mul_f16_sdwa v28, s0, v12 dst_sel:DWORD dst_unused:UNUSED_PAD src0_sel:DWORD src1_sel:WORD_1
	v_mul_f16_e32 v29, s0, v12
	v_mul_f16_sdwa v30, s0, v11 dst_sel:DWORD dst_unused:UNUSED_PAD src0_sel:DWORD src1_sel:WORD_1
	v_add3_u32 v23, v23, v20, v19
	v_mul_f16_e32 v31, s0, v11
	v_mul_f16_sdwa v32, s0, v10 dst_sel:DWORD dst_unused:UNUSED_PAD src0_sel:DWORD src1_sel:WORD_1
	v_mul_f16_e32 v33, s0, v10
	v_lshlrev_b64 v[22:23], 1, v[22:23]
	v_add_co_u32 v22, vcc_lo, s2, v22
	v_add_co_ci_u32_e64 v23, null, s3, v23, vcc_lo
	v_add_co_u32 v34, vcc_lo, v22, s6
	v_add_co_ci_u32_e64 v35, null, s7, v23, vcc_lo
	;; [unrolled: 2-line block ×4, first 2 shown]
	flat_store_short v[22:23], v26
	flat_store_short v[22:23], v27 offset:32
	flat_store_short v[22:23], v28 offset:64
	flat_store_short v[22:23], v29 offset:96
	flat_store_short v[24:25], v30
	flat_store_short v[24:25], v31 offset:32
	v_add_co_u32 v26, vcc_lo, v34, s6
	v_add_co_ci_u32_e64 v27, null, s7, v35, vcc_lo
	v_mul_f16_sdwa v28, s0, v9 dst_sel:DWORD dst_unused:UNUSED_PAD src0_sel:DWORD src1_sel:WORD_1
	v_add_co_u32 v22, vcc_lo, v26, v0
	v_add_co_ci_u32_e64 v23, null, v27, v1, vcc_lo
	v_mul_f16_e32 v29, s0, v9
	v_mul_f16_sdwa v30, s0, v8 dst_sel:DWORD dst_unused:UNUSED_PAD src0_sel:DWORD src1_sel:WORD_1
	flat_store_short v[24:25], v32 offset:64
	flat_store_short v[24:25], v33 offset:96
	flat_store_short v[22:23], v28
	flat_store_short v[22:23], v29 offset:32
	flat_store_short v[22:23], v30 offset:64
	v_add_co_u32 v24, vcc_lo, v26, s6
	v_add_co_ci_u32_e64 v25, null, s7, v27, vcc_lo
	v_mul_f16_e32 v28, s0, v8
	v_add_co_u32 v24, vcc_lo, v24, v0
	v_mul_f16_sdwa v26, s0, v7 dst_sel:DWORD dst_unused:UNUSED_PAD src0_sel:DWORD src1_sel:WORD_1
	v_add_co_ci_u32_e64 v25, null, v25, v1, vcc_lo
	v_mul_f16_e32 v27, s0, v7
	v_mul_f16_sdwa v29, s0, v6 dst_sel:DWORD dst_unused:UNUSED_PAD src0_sel:DWORD src1_sel:WORD_1
	v_mul_f16_e32 v30, s0, v6
	flat_store_short v[22:23], v28 offset:96
	flat_store_short v[24:25], v26
	flat_store_short v[24:25], v27 offset:32
	flat_store_short v[24:25], v29 offset:64
	;; [unrolled: 1-line block ×3, first 2 shown]
	s_andn2_b32 vcc_lo, exec_lo, s4
	s_cbranch_vccnz .LBB152_7
.LBB152_6:
	v_mul_lo_u32 v23, v21, s14
	v_mul_lo_u32 v24, v17, s15
	v_mad_u64_u32 v[21:22], null, v17, s14, 0
	s_lshl_b64 s[4:5], s[16:17], 1
	s_add_u32 s4, s12, s4
	s_addc_u32 s5, s13, s5
	v_add3_u32 v22, v22, v24, v23
	v_mad_u64_u32 v[23:24], null, v17, s8, 0
	v_lshlrev_b64 v[21:22], 1, v[21:22]
	v_add3_u32 v24, v24, v20, v19
	v_add_co_u32 v25, vcc_lo, s4, v21
	v_add_co_ci_u32_e64 v26, null, s5, v22, vcc_lo
	v_lshlrev_b64 v[19:20], 1, v[23:24]
	v_add_co_u32 v21, vcc_lo, v25, v0
	v_add_co_ci_u32_e64 v22, null, v26, v1, vcc_lo
	s_lshl_b64 s[4:5], s[8:9], 5
	v_add_co_u32 v17, vcc_lo, s2, v19
	flat_load_ushort v27, v[21:22]
	v_add_co_ci_u32_e64 v23, null, s3, v20, vcc_lo
	v_add_co_u32 v19, vcc_lo, v17, v0
	s_lshl_b64 s[2:3], s[14:15], 5
	v_add_co_ci_u32_e64 v20, null, v23, v1, vcc_lo
	s_waitcnt vmcnt(0) lgkmcnt(0)
	v_mul_f16_e32 v24, s1, v27
	v_fmac_f16_e32 v24, s0, v18
	flat_store_short v[19:20], v24
	flat_load_ushort v18, v[21:22] offset:32
	s_waitcnt vmcnt(0) lgkmcnt(0)
	v_mul_f16_e32 v18, s1, v18
	v_fmac_f16_e32 v18, s0, v13
	flat_store_short v[19:20], v18 offset:32
	flat_load_ushort v13, v[21:22] offset:64
	v_add_co_u32 v18, vcc_lo, v25, s2
	s_waitcnt vmcnt(0) lgkmcnt(0)
	v_mul_f16_e32 v13, s1, v13
	v_fmac_f16_e32 v13, s0, v16
	flat_store_short v[19:20], v13 offset:64
	flat_load_ushort v13, v[21:22] offset:96
	v_add_co_ci_u32_e64 v21, null, s3, v26, vcc_lo
	s_waitcnt vmcnt(0) lgkmcnt(0)
	v_mul_f16_e32 v16, s1, v13
	v_fmac_f16_e32 v16, s0, v12
	v_add_co_u32 v12, vcc_lo, v18, v0
	v_add_co_ci_u32_e64 v13, null, v21, v1, vcc_lo
	flat_store_short v[19:20], v16 offset:96
	v_add_co_u32 v19, vcc_lo, v17, s4
	flat_load_ushort v16, v[12:13]
	v_add_co_ci_u32_e64 v20, null, s5, v23, vcc_lo
	s_waitcnt vmcnt(0) lgkmcnt(0)
	v_mul_f16_e32 v22, s1, v16
	v_add_co_u32 v16, vcc_lo, v19, v0
	v_add_co_ci_u32_e64 v17, null, v20, v1, vcc_lo
	v_fmac_f16_e32 v22, s0, v15
	flat_store_short v[16:17], v22
	flat_load_ushort v15, v[12:13] offset:32
	s_waitcnt vmcnt(0) lgkmcnt(0)
	v_mul_f16_e32 v15, s1, v15
	v_fmac_f16_e32 v15, s0, v11
	flat_store_short v[16:17], v15 offset:32
	flat_load_ushort v11, v[12:13] offset:64
	s_waitcnt vmcnt(0) lgkmcnt(0)
	v_mul_f16_e32 v11, s1, v11
	v_fmac_f16_e32 v11, s0, v14
	v_add_co_u32 v14, vcc_lo, v18, s2
	v_add_co_ci_u32_e64 v15, null, s3, v21, vcc_lo
	flat_store_short v[16:17], v11 offset:64
	flat_load_ushort v11, v[12:13] offset:96
	s_waitcnt vmcnt(0) lgkmcnt(0)
	v_mul_f16_e32 v12, s1, v11
	v_fmac_f16_e32 v12, s0, v10
	v_add_co_u32 v10, vcc_lo, v14, v0
	v_add_co_ci_u32_e64 v11, null, v15, v1, vcc_lo
	flat_store_short v[16:17], v12 offset:96
	v_add_co_u32 v16, vcc_lo, v19, s4
	flat_load_ushort v12, v[10:11]
	v_add_co_ci_u32_e64 v17, null, s5, v20, vcc_lo
	s_waitcnt vmcnt(0) lgkmcnt(0)
	v_mul_f16_e32 v18, s1, v12
	v_add_co_u32 v12, vcc_lo, v16, v0
	v_add_co_ci_u32_e64 v13, null, v17, v1, vcc_lo
	v_fmac_f16_e32 v18, s0, v5
	flat_store_short v[12:13], v18
	flat_load_ushort v5, v[10:11] offset:32
	s_waitcnt vmcnt(0) lgkmcnt(0)
	v_mul_f16_e32 v5, s1, v5
	v_fmac_f16_e32 v5, s0, v9
	flat_store_short v[12:13], v5 offset:32
	flat_load_ushort v5, v[10:11] offset:64
	s_waitcnt vmcnt(0) lgkmcnt(0)
	v_mul_f16_e32 v5, s1, v5
	v_fmac_f16_e32 v5, s0, v4
	flat_store_short v[12:13], v5 offset:64
	flat_load_ushort v4, v[10:11] offset:96
	s_waitcnt vmcnt(0) lgkmcnt(0)
	v_mul_f16_e32 v9, s1, v4
	v_add_co_u32 v4, vcc_lo, v14, s2
	v_add_co_ci_u32_e64 v5, null, s3, v15, vcc_lo
	v_fmac_f16_e32 v9, s0, v8
	v_add_co_u32 v4, vcc_lo, v4, v0
	v_add_co_ci_u32_e64 v5, null, v5, v1, vcc_lo
	flat_store_short v[12:13], v9 offset:96
	v_add_co_u32 v9, vcc_lo, v16, s4
	flat_load_ushort v8, v[4:5]
	v_add_co_ci_u32_e64 v10, null, s5, v17, vcc_lo
	v_add_co_u32 v0, vcc_lo, v9, v0
	v_add_co_ci_u32_e64 v1, null, v10, v1, vcc_lo
	s_waitcnt vmcnt(0) lgkmcnt(0)
	v_mul_f16_e32 v8, s1, v8
	v_fmac_f16_e32 v8, s0, v3
	flat_store_short v[0:1], v8
	flat_load_ushort v3, v[4:5] offset:32
	s_waitcnt vmcnt(0) lgkmcnt(0)
	v_mul_f16_e32 v3, s1, v3
	v_fmac_f16_e32 v3, s0, v7
	flat_store_short v[0:1], v3 offset:32
	flat_load_ushort v3, v[4:5] offset:64
	s_waitcnt vmcnt(0) lgkmcnt(0)
	v_mul_f16_e32 v3, s1, v3
	v_fmac_f16_e32 v3, s0, v2
	flat_store_short v[0:1], v3 offset:64
	;; [unrolled: 5-line block ×3, first 2 shown]
.LBB152_7:
	s_endpgm
.LBB152_8:
	s_branch .LBB152_6
	.section	.rodata,"a",@progbits
	.p2align	6, 0x0
	.amdhsa_kernel _ZN12_GLOBAL__N_127rocblas_gemm_batched_kernelIDF16_Li16ELi16ELi64ELi64ELi4ELi64ELi4ELi4ELi64ELc67ELc78EKPKDF16_S3_KPDF16_EEvlllT_PT11_llS8_llS6_PT12_llPT13_lli
		.amdhsa_group_segment_fixed_size 1024
		.amdhsa_private_segment_fixed_size 0
		.amdhsa_kernarg_size 140
		.amdhsa_user_sgpr_count 6
		.amdhsa_user_sgpr_private_segment_buffer 1
		.amdhsa_user_sgpr_dispatch_ptr 0
		.amdhsa_user_sgpr_queue_ptr 0
		.amdhsa_user_sgpr_kernarg_segment_ptr 1
		.amdhsa_user_sgpr_dispatch_id 0
		.amdhsa_user_sgpr_flat_scratch_init 0
		.amdhsa_user_sgpr_private_segment_size 0
		.amdhsa_wavefront_size32 1
		.amdhsa_uses_dynamic_stack 0
		.amdhsa_system_sgpr_private_segment_wavefront_offset 0
		.amdhsa_system_sgpr_workgroup_id_x 1
		.amdhsa_system_sgpr_workgroup_id_y 1
		.amdhsa_system_sgpr_workgroup_id_z 1
		.amdhsa_system_sgpr_workgroup_info 0
		.amdhsa_system_vgpr_workitem_id 1
		.amdhsa_next_free_vgpr 36
		.amdhsa_next_free_sgpr 36
		.amdhsa_reserve_vcc 1
		.amdhsa_reserve_flat_scratch 0
		.amdhsa_float_round_mode_32 0
		.amdhsa_float_round_mode_16_64 0
		.amdhsa_float_denorm_mode_32 3
		.amdhsa_float_denorm_mode_16_64 3
		.amdhsa_dx10_clamp 1
		.amdhsa_ieee_mode 1
		.amdhsa_fp16_overflow 0
		.amdhsa_workgroup_processor_mode 1
		.amdhsa_memory_ordered 1
		.amdhsa_forward_progress 1
		.amdhsa_shared_vgpr_count 0
		.amdhsa_exception_fp_ieee_invalid_op 0
		.amdhsa_exception_fp_denorm_src 0
		.amdhsa_exception_fp_ieee_div_zero 0
		.amdhsa_exception_fp_ieee_overflow 0
		.amdhsa_exception_fp_ieee_underflow 0
		.amdhsa_exception_fp_ieee_inexact 0
		.amdhsa_exception_int_div_zero 0
	.end_amdhsa_kernel
	.section	.text._ZN12_GLOBAL__N_127rocblas_gemm_batched_kernelIDF16_Li16ELi16ELi64ELi64ELi4ELi64ELi4ELi4ELi64ELc67ELc78EKPKDF16_S3_KPDF16_EEvlllT_PT11_llS8_llS6_PT12_llPT13_lli,"axG",@progbits,_ZN12_GLOBAL__N_127rocblas_gemm_batched_kernelIDF16_Li16ELi16ELi64ELi64ELi4ELi64ELi4ELi4ELi64ELc67ELc78EKPKDF16_S3_KPDF16_EEvlllT_PT11_llS8_llS6_PT12_llPT13_lli,comdat
.Lfunc_end152:
	.size	_ZN12_GLOBAL__N_127rocblas_gemm_batched_kernelIDF16_Li16ELi16ELi64ELi64ELi4ELi64ELi4ELi4ELi64ELc67ELc78EKPKDF16_S3_KPDF16_EEvlllT_PT11_llS8_llS6_PT12_llPT13_lli, .Lfunc_end152-_ZN12_GLOBAL__N_127rocblas_gemm_batched_kernelIDF16_Li16ELi16ELi64ELi64ELi4ELi64ELi4ELi4ELi64ELc67ELc78EKPKDF16_S3_KPDF16_EEvlllT_PT11_llS8_llS6_PT12_llPT13_lli
                                        ; -- End function
	.set _ZN12_GLOBAL__N_127rocblas_gemm_batched_kernelIDF16_Li16ELi16ELi64ELi64ELi4ELi64ELi4ELi4ELi64ELc67ELc78EKPKDF16_S3_KPDF16_EEvlllT_PT11_llS8_llS6_PT12_llPT13_lli.num_vgpr, 36
	.set _ZN12_GLOBAL__N_127rocblas_gemm_batched_kernelIDF16_Li16ELi16ELi64ELi64ELi4ELi64ELi4ELi4ELi64ELc67ELc78EKPKDF16_S3_KPDF16_EEvlllT_PT11_llS8_llS6_PT12_llPT13_lli.num_agpr, 0
	.set _ZN12_GLOBAL__N_127rocblas_gemm_batched_kernelIDF16_Li16ELi16ELi64ELi64ELi4ELi64ELi4ELi4ELi64ELc67ELc78EKPKDF16_S3_KPDF16_EEvlllT_PT11_llS8_llS6_PT12_llPT13_lli.numbered_sgpr, 36
	.set _ZN12_GLOBAL__N_127rocblas_gemm_batched_kernelIDF16_Li16ELi16ELi64ELi64ELi4ELi64ELi4ELi4ELi64ELc67ELc78EKPKDF16_S3_KPDF16_EEvlllT_PT11_llS8_llS6_PT12_llPT13_lli.num_named_barrier, 0
	.set _ZN12_GLOBAL__N_127rocblas_gemm_batched_kernelIDF16_Li16ELi16ELi64ELi64ELi4ELi64ELi4ELi4ELi64ELc67ELc78EKPKDF16_S3_KPDF16_EEvlllT_PT11_llS8_llS6_PT12_llPT13_lli.private_seg_size, 0
	.set _ZN12_GLOBAL__N_127rocblas_gemm_batched_kernelIDF16_Li16ELi16ELi64ELi64ELi4ELi64ELi4ELi4ELi64ELc67ELc78EKPKDF16_S3_KPDF16_EEvlllT_PT11_llS8_llS6_PT12_llPT13_lli.uses_vcc, 1
	.set _ZN12_GLOBAL__N_127rocblas_gemm_batched_kernelIDF16_Li16ELi16ELi64ELi64ELi4ELi64ELi4ELi4ELi64ELc67ELc78EKPKDF16_S3_KPDF16_EEvlllT_PT11_llS8_llS6_PT12_llPT13_lli.uses_flat_scratch, 0
	.set _ZN12_GLOBAL__N_127rocblas_gemm_batched_kernelIDF16_Li16ELi16ELi64ELi64ELi4ELi64ELi4ELi4ELi64ELc67ELc78EKPKDF16_S3_KPDF16_EEvlllT_PT11_llS8_llS6_PT12_llPT13_lli.has_dyn_sized_stack, 0
	.set _ZN12_GLOBAL__N_127rocblas_gemm_batched_kernelIDF16_Li16ELi16ELi64ELi64ELi4ELi64ELi4ELi4ELi64ELc67ELc78EKPKDF16_S3_KPDF16_EEvlllT_PT11_llS8_llS6_PT12_llPT13_lli.has_recursion, 0
	.set _ZN12_GLOBAL__N_127rocblas_gemm_batched_kernelIDF16_Li16ELi16ELi64ELi64ELi4ELi64ELi4ELi4ELi64ELc67ELc78EKPKDF16_S3_KPDF16_EEvlllT_PT11_llS8_llS6_PT12_llPT13_lli.has_indirect_call, 0
	.section	.AMDGPU.csdata,"",@progbits
; Kernel info:
; codeLenInByte = 2420
; TotalNumSgprs: 38
; NumVgprs: 36
; ScratchSize: 0
; MemoryBound: 0
; FloatMode: 240
; IeeeMode: 1
; LDSByteSize: 1024 bytes/workgroup (compile time only)
; SGPRBlocks: 0
; VGPRBlocks: 4
; NumSGPRsForWavesPerEU: 38
; NumVGPRsForWavesPerEU: 36
; Occupancy: 16
; WaveLimiterHint : 1
; COMPUTE_PGM_RSRC2:SCRATCH_EN: 0
; COMPUTE_PGM_RSRC2:USER_SGPR: 6
; COMPUTE_PGM_RSRC2:TRAP_HANDLER: 0
; COMPUTE_PGM_RSRC2:TGID_X_EN: 1
; COMPUTE_PGM_RSRC2:TGID_Y_EN: 1
; COMPUTE_PGM_RSRC2:TGID_Z_EN: 1
; COMPUTE_PGM_RSRC2:TIDIG_COMP_CNT: 1
	.section	.text._ZN12_GLOBAL__N_127rocblas_gemm_batched_kernelIDF16_Li16ELi16ELi64ELi64ELi4ELi64ELi4ELi4ELi64ELc67ELc84EKPKDF16_S3_KPDF16_EEvlllT_PT11_llS8_llS6_PT12_llPT13_lli,"axG",@progbits,_ZN12_GLOBAL__N_127rocblas_gemm_batched_kernelIDF16_Li16ELi16ELi64ELi64ELi4ELi64ELi4ELi4ELi64ELc67ELc84EKPKDF16_S3_KPDF16_EEvlllT_PT11_llS8_llS6_PT12_llPT13_lli,comdat
	.globl	_ZN12_GLOBAL__N_127rocblas_gemm_batched_kernelIDF16_Li16ELi16ELi64ELi64ELi4ELi64ELi4ELi4ELi64ELc67ELc84EKPKDF16_S3_KPDF16_EEvlllT_PT11_llS8_llS6_PT12_llPT13_lli ; -- Begin function _ZN12_GLOBAL__N_127rocblas_gemm_batched_kernelIDF16_Li16ELi16ELi64ELi64ELi4ELi64ELi4ELi4ELi64ELc67ELc84EKPKDF16_S3_KPDF16_EEvlllT_PT11_llS8_llS6_PT12_llPT13_lli
	.p2align	8
	.type	_ZN12_GLOBAL__N_127rocblas_gemm_batched_kernelIDF16_Li16ELi16ELi64ELi64ELi4ELi64ELi4ELi4ELi64ELc67ELc84EKPKDF16_S3_KPDF16_EEvlllT_PT11_llS8_llS6_PT12_llPT13_lli,@function
_ZN12_GLOBAL__N_127rocblas_gemm_batched_kernelIDF16_Li16ELi16ELi64ELi64ELi4ELi64ELi4ELi4ELi64ELc67ELc84EKPKDF16_S3_KPDF16_EEvlllT_PT11_llS8_llS6_PT12_llPT13_lli: ; @_ZN12_GLOBAL__N_127rocblas_gemm_batched_kernelIDF16_Li16ELi16ELi64ELi64ELi4ELi64ELi4ELi4ELi64ELc67ELc84EKPKDF16_S3_KPDF16_EEvlllT_PT11_llS8_llS6_PT12_llPT13_lli
; %bb.0:
	s_clause 0x1
	s_load_dwordx8 s[12:19], s[4:5], 0x58
	s_load_dwordx2 s[30:31], s[4:5], 0x10
	s_mov_b32 s9, 0
	s_mov_b32 s0, s7
	s_lshl_b64 s[34:35], s[8:9], 3
	s_load_dwordx4 s[8:11], s[4:5], 0x78
	v_mov_b32_e32 v3, 0
	s_waitcnt lgkmcnt(0)
	s_add_u32 s2, s12, s34
	s_addc_u32 s3, s13, s35
	s_add_u32 s18, s18, s34
	s_addc_u32 s19, s19, s35
	s_load_dwordx2 s[12:13], s[2:3], 0x0
	s_load_dwordx2 s[18:19], s[18:19], 0x0
	v_cmp_lt_i64_e64 s2, s[30:31], 1
	s_ashr_i32 s7, s6, 31
	s_ashr_i32 s1, s0, 31
	s_lshl_b64 s[6:7], s[6:7], 6
	s_lshl_b64 s[28:29], s[0:1], 6
	s_and_b32 vcc_lo, exec_lo, s2
	s_cbranch_vccnz .LBB153_3
; %bb.1:
	s_clause 0x1
	s_load_dwordx8 s[20:27], s[4:5], 0x20
	s_load_dwordx4 s[0:3], s[4:5], 0x40
	v_lshl_add_u32 v8, v1, 4, v0
	v_and_b32_e32 v9, 3, v0
	v_lshlrev_b32_e32 v14, 1, v0
	v_lshl_add_u32 v15, v1, 3, 0x200
	v_and_b32_e32 v10, 63, v8
	v_lshrrev_b32_e32 v2, 2, v8
	v_lshlrev_b32_e32 v11, 1, v9
	v_lshrrev_b32_e32 v8, 6, v8
	v_add_co_u32 v6, s33, s6, v10
	v_add_co_ci_u32_e64 v7, null, s7, 0, s33
	v_lshlrev_b32_e32 v10, 1, v10
	v_lshl_or_b32 v11, v2, 3, v11
	v_lshlrev_b32_e32 v18, 1, v8
	s_waitcnt lgkmcnt(0)
	s_add_u32 s20, s20, s34
	s_addc_u32 s21, s21, s35
	s_add_u32 s26, s26, s34
	s_addc_u32 s27, s27, s35
	v_mad_u64_u32 v[4:5], null, s0, v9, v[2:3]
	s_load_dwordx2 s[26:27], s[26:27], 0x0
	v_mul_lo_u32 v12, s23, v6
	v_mul_lo_u32 v13, s22, v7
	v_mad_u64_u32 v[6:7], null, s22, v6, 0
	v_lshl_or_b32 v16, v8, 7, v10
	v_mov_b32_e32 v2, v5
	s_load_dwordx2 s[20:21], s[20:21], 0x0
	s_lshl_b64 s[2:3], s[2:3], 1
	v_add_nc_u32_e32 v17, 0x200, v11
	v_mov_b32_e32 v10, 0
	v_add3_u32 v7, v7, v13, v12
	v_mad_u64_u32 v[8:9], null, s1, v9, v[2:3]
	v_mov_b32_e32 v9, 0
	v_mov_b32_e32 v11, 0
	v_lshlrev_b64 v[5:6], 1, v[6:7]
	v_add_co_u32 v7, vcc_lo, v4, s28
	v_mov_b32_e32 v12, 0
	v_add_co_ci_u32_e64 v8, null, s29, v8, vcc_lo
	s_waitcnt lgkmcnt(0)
	s_add_u32 s22, s26, s2
	s_addc_u32 s23, s27, s3
	s_lshl_b64 s[2:3], s[24:25], 1
	v_mov_b32_e32 v13, 0
	v_add_co_u32 v2, vcc_lo, v5, s2
	v_add_co_ci_u32_e64 v6, null, s3, v6, vcc_lo
	v_lshlrev_b64 v[4:5], 1, v[7:8]
	v_add_co_u32 v2, vcc_lo, v2, v18
	v_add_co_ci_u32_e64 v7, null, 0, v6, vcc_lo
	v_mov_b32_e32 v8, 0
	v_add_co_u32 v4, vcc_lo, s22, v4
	v_add_co_ci_u32_e64 v5, null, s23, v5, vcc_lo
	v_add_co_u32 v6, vcc_lo, s20, v2
	v_add_co_ci_u32_e64 v7, null, s21, v7, vcc_lo
	v_mov_b32_e32 v2, 0
	s_lshl_b64 s[2:3], s[0:1], 3
	s_mov_b64 s[20:21], 0
.LBB153_2:                              ; =>This Inner Loop Header: Depth=1
	flat_load_ushort v18, v[6:7]
	s_add_u32 s20, s20, 4
	s_addc_u32 s21, s21, 0
	v_add_co_u32 v6, vcc_lo, v6, 8
	v_cmp_lt_i64_e64 s0, s[20:21], s[30:31]
	v_add_co_ci_u32_e64 v7, null, 0, v7, vcc_lo
	s_and_b32 vcc_lo, exec_lo, s0
	s_waitcnt vmcnt(0) lgkmcnt(0)
	ds_write_b16 v16, v18
	flat_load_ushort v18, v[4:5]
	v_add_co_u32 v4, s0, v4, s2
	v_add_co_ci_u32_e64 v5, null, s3, v5, s0
	s_waitcnt vmcnt(0) lgkmcnt(0)
	ds_write_b16 v17, v18
	s_waitcnt lgkmcnt(0)
	s_barrier
	buffer_gl0_inv
	ds_read_u16 v26, v14 offset:32
	ds_read_u16 v27, v14 offset:96
	;; [unrolled: 1-line block ×8, first 2 shown]
	ds_read2_b64 v[18:21], v15 offset1:16
	ds_read2_b64 v[22:25], v15 offset0:32 offset1:48
	s_waitcnt lgkmcnt(9)
	ds_read_u16_d16_hi v26, v14
	s_waitcnt lgkmcnt(9)
	ds_read_u16_d16_hi v27, v14 offset:64
	s_waitcnt lgkmcnt(9)
	ds_read_u16_d16_hi v28, v14 offset:128
	;; [unrolled: 2-line block ×7, first 2 shown]
	s_waitcnt lgkmcnt(0)
	s_barrier
	buffer_gl0_inv
	v_pk_fma_f16 v3, v26, v18, v3 op_sel_hi:[1,0,1]
	v_pk_fma_f16 v13, v27, v18, v13 op_sel_hi:[1,0,1]
	;; [unrolled: 1-line block ×8, first 2 shown]
	v_pk_fma_f16 v3, v28, v18, v3 op_sel:[0,1,0]
	v_pk_fma_f16 v13, v29, v18, v13 op_sel:[0,1,0]
	v_pk_fma_f16 v12, v28, v20, v12 op_sel:[0,1,0]
	v_pk_fma_f16 v11, v29, v20, v11 op_sel:[0,1,0]
	v_pk_fma_f16 v10, v28, v22, v10 op_sel:[0,1,0]
	v_pk_fma_f16 v9, v29, v22, v9 op_sel:[0,1,0]
	v_pk_fma_f16 v8, v28, v24, v8 op_sel:[0,1,0]
	v_pk_fma_f16 v2, v29, v24, v2 op_sel:[0,1,0]
	v_pk_fma_f16 v3, v30, v19, v3 op_sel_hi:[1,0,1]
	v_pk_fma_f16 v13, v31, v19, v13 op_sel_hi:[1,0,1]
	;; [unrolled: 1-line block ×8, first 2 shown]
	v_pk_fma_f16 v3, v32, v19, v3 op_sel:[0,1,0]
	v_pk_fma_f16 v13, v33, v19, v13 op_sel:[0,1,0]
	;; [unrolled: 1-line block ×8, first 2 shown]
	s_cbranch_vccnz .LBB153_2
	s_branch .LBB153_4
.LBB153_3:
	v_mov_b32_e32 v13, 0
	v_mov_b32_e32 v12, 0
	;; [unrolled: 1-line block ×7, first 2 shown]
.LBB153_4:
	s_clause 0x1
	s_load_dword s1, s[4:5], 0x50
	s_load_dword s0, s[4:5], 0x18
	v_add_co_u32 v17, s4, s28, v1
	v_add_co_ci_u32_e64 v21, null, s29, 0, s4
	v_add_co_u32 v0, s4, s6, v0
	v_add_co_ci_u32_e64 v1, null, s7, 0, s4
	v_mul_lo_u32 v19, v21, s8
	v_mul_lo_u32 v20, v17, s9
	s_lshl_b64 s[2:3], s[10:11], 1
	v_lshlrev_b64 v[0:1], 1, v[0:1]
	v_lshrrev_b32_e32 v18, 16, v3
	v_lshrrev_b32_e32 v16, 16, v13
	;; [unrolled: 1-line block ×6, first 2 shown]
	s_waitcnt lgkmcnt(0)
	v_cmp_neq_f16_e64 s4, s1, 0
	v_lshrrev_b32_e32 v5, 16, v8
	v_lshrrev_b32_e32 v4, 16, v2
	s_add_u32 s2, s18, s2
	s_addc_u32 s3, s19, s3
	s_and_b32 vcc_lo, exec_lo, s4
	s_mov_b32 s4, 0
	s_cbranch_vccnz .LBB153_8
; %bb.5:
	v_mad_u64_u32 v[22:23], null, v17, s8, 0
	s_lshl_b64 s[6:7], s[8:9], 5
	v_mul_f16_sdwa v26, s0, v3 dst_sel:DWORD dst_unused:UNUSED_PAD src0_sel:DWORD src1_sel:WORD_1
	v_mul_f16_e32 v27, s0, v3
	v_mul_f16_sdwa v28, s0, v13 dst_sel:DWORD dst_unused:UNUSED_PAD src0_sel:DWORD src1_sel:WORD_1
	v_mul_f16_e32 v29, s0, v13
	v_mul_f16_sdwa v30, s0, v12 dst_sel:DWORD dst_unused:UNUSED_PAD src0_sel:DWORD src1_sel:WORD_1
	v_add3_u32 v23, v23, v20, v19
	v_mul_f16_e32 v31, s0, v12
	v_mul_f16_sdwa v32, s0, v11 dst_sel:DWORD dst_unused:UNUSED_PAD src0_sel:DWORD src1_sel:WORD_1
	v_mul_f16_e32 v33, s0, v11
	v_lshlrev_b64 v[22:23], 1, v[22:23]
	v_add_co_u32 v22, vcc_lo, s2, v22
	v_add_co_ci_u32_e64 v23, null, s3, v23, vcc_lo
	v_add_co_u32 v34, vcc_lo, v22, s6
	v_add_co_ci_u32_e64 v35, null, s7, v23, vcc_lo
	;; [unrolled: 2-line block ×4, first 2 shown]
	flat_store_short v[22:23], v26
	flat_store_short v[22:23], v27 offset:32
	flat_store_short v[22:23], v28 offset:64
	;; [unrolled: 1-line block ×3, first 2 shown]
	flat_store_short v[24:25], v30
	flat_store_short v[24:25], v31 offset:32
	v_add_co_u32 v26, vcc_lo, v34, s6
	v_add_co_ci_u32_e64 v27, null, s7, v35, vcc_lo
	v_mul_f16_sdwa v28, s0, v10 dst_sel:DWORD dst_unused:UNUSED_PAD src0_sel:DWORD src1_sel:WORD_1
	v_add_co_u32 v22, vcc_lo, v26, v0
	v_add_co_ci_u32_e64 v23, null, v27, v1, vcc_lo
	v_mul_f16_e32 v29, s0, v10
	v_mul_f16_sdwa v30, s0, v9 dst_sel:DWORD dst_unused:UNUSED_PAD src0_sel:DWORD src1_sel:WORD_1
	flat_store_short v[24:25], v32 offset:64
	flat_store_short v[24:25], v33 offset:96
	flat_store_short v[22:23], v28
	flat_store_short v[22:23], v29 offset:32
	flat_store_short v[22:23], v30 offset:64
	v_add_co_u32 v24, vcc_lo, v26, s6
	v_add_co_ci_u32_e64 v25, null, s7, v27, vcc_lo
	v_mul_f16_e32 v28, s0, v9
	v_add_co_u32 v24, vcc_lo, v24, v0
	v_mul_f16_sdwa v26, s0, v8 dst_sel:DWORD dst_unused:UNUSED_PAD src0_sel:DWORD src1_sel:WORD_1
	v_add_co_ci_u32_e64 v25, null, v25, v1, vcc_lo
	v_mul_f16_e32 v27, s0, v8
	v_mul_f16_sdwa v29, s0, v2 dst_sel:DWORD dst_unused:UNUSED_PAD src0_sel:DWORD src1_sel:WORD_1
	v_mul_f16_e32 v30, s0, v2
	flat_store_short v[22:23], v28 offset:96
	flat_store_short v[24:25], v26
	flat_store_short v[24:25], v27 offset:32
	flat_store_short v[24:25], v29 offset:64
	;; [unrolled: 1-line block ×3, first 2 shown]
	s_andn2_b32 vcc_lo, exec_lo, s4
	s_cbranch_vccnz .LBB153_7
.LBB153_6:
	v_mul_lo_u32 v23, v21, s14
	v_mul_lo_u32 v24, v17, s15
	v_mad_u64_u32 v[21:22], null, v17, s14, 0
	s_lshl_b64 s[4:5], s[16:17], 1
	s_add_u32 s4, s12, s4
	s_addc_u32 s5, s13, s5
	v_add3_u32 v22, v22, v24, v23
	v_mad_u64_u32 v[23:24], null, v17, s8, 0
	v_lshlrev_b64 v[21:22], 1, v[21:22]
	v_add3_u32 v24, v24, v20, v19
	v_add_co_u32 v25, vcc_lo, s4, v21
	v_add_co_ci_u32_e64 v26, null, s5, v22, vcc_lo
	v_lshlrev_b64 v[19:20], 1, v[23:24]
	v_add_co_u32 v21, vcc_lo, v25, v0
	v_add_co_ci_u32_e64 v22, null, v26, v1, vcc_lo
	s_lshl_b64 s[4:5], s[8:9], 5
	v_add_co_u32 v23, vcc_lo, s2, v19
	flat_load_ushort v27, v[21:22]
	v_add_co_ci_u32_e64 v24, null, s3, v20, vcc_lo
	v_add_co_u32 v19, vcc_lo, v23, v0
	s_lshl_b64 s[2:3], s[14:15], 5
	v_add_co_ci_u32_e64 v20, null, v24, v1, vcc_lo
	s_waitcnt vmcnt(0) lgkmcnt(0)
	v_mul_f16_e32 v17, s1, v27
	v_fmac_f16_e32 v17, s0, v18
	flat_store_short v[19:20], v17
	flat_load_ushort v17, v[21:22] offset:32
	s_waitcnt vmcnt(0) lgkmcnt(0)
	v_mul_f16_e32 v17, s1, v17
	v_fmac_f16_e32 v17, s0, v3
	flat_store_short v[19:20], v17 offset:32
	flat_load_ushort v3, v[21:22] offset:64
	s_waitcnt vmcnt(0) lgkmcnt(0)
	v_mul_f16_e32 v3, s1, v3
	v_fmac_f16_e32 v3, s0, v16
	flat_store_short v[19:20], v3 offset:64
	flat_load_ushort v3, v[21:22] offset:96
	v_add_co_u32 v21, vcc_lo, v25, s2
	v_add_co_ci_u32_e64 v22, null, s3, v26, vcc_lo
	v_add_co_u32 v16, vcc_lo, v21, v0
	v_add_co_ci_u32_e64 v17, null, v22, v1, vcc_lo
	s_waitcnt vmcnt(0) lgkmcnt(0)
	v_mul_f16_e32 v3, s1, v3
	v_fmac_f16_e32 v3, s0, v13
	v_add_co_u32 v13, vcc_lo, v23, s4
	flat_store_short v[19:20], v3 offset:96
	flat_load_ushort v3, v[16:17]
	v_add_co_ci_u32_e64 v20, null, s5, v24, vcc_lo
	v_add_co_u32 v18, vcc_lo, v13, v0
	v_add_co_ci_u32_e64 v19, null, v20, v1, vcc_lo
	s_waitcnt vmcnt(0) lgkmcnt(0)
	v_mul_f16_e32 v3, s1, v3
	v_fmac_f16_e32 v3, s0, v15
	v_add_co_u32 v15, vcc_lo, v21, s2
	flat_store_short v[18:19], v3
	flat_load_ushort v3, v[16:17] offset:32
	s_waitcnt vmcnt(0) lgkmcnt(0)
	v_mul_f16_e32 v3, s1, v3
	v_fmac_f16_e32 v3, s0, v12
	flat_store_short v[18:19], v3 offset:32
	flat_load_ushort v3, v[16:17] offset:64
	s_waitcnt vmcnt(0) lgkmcnt(0)
	v_mul_f16_e32 v3, s1, v3
	v_fmac_f16_e32 v3, s0, v14
	flat_store_short v[18:19], v3 offset:64
	flat_load_ushort v3, v[16:17] offset:96
	v_add_co_ci_u32_e64 v16, null, s3, v22, vcc_lo
	s_waitcnt vmcnt(0) lgkmcnt(0)
	v_mul_f16_e32 v3, s1, v3
	v_fmac_f16_e32 v3, s0, v11
	v_add_co_u32 v11, vcc_lo, v15, v0
	v_add_co_ci_u32_e64 v12, null, v16, v1, vcc_lo
	flat_store_short v[18:19], v3 offset:96
	v_add_co_u32 v17, vcc_lo, v13, s4
	flat_load_ushort v3, v[11:12]
	v_add_co_ci_u32_e64 v18, null, s5, v20, vcc_lo
	v_add_co_u32 v13, vcc_lo, v17, v0
	v_add_co_ci_u32_e64 v14, null, v18, v1, vcc_lo
	s_waitcnt vmcnt(0) lgkmcnt(0)
	v_mul_f16_e32 v3, s1, v3
	v_fmac_f16_e32 v3, s0, v7
	flat_store_short v[13:14], v3
	flat_load_ushort v3, v[11:12] offset:32
	s_waitcnt vmcnt(0) lgkmcnt(0)
	v_mul_f16_e32 v3, s1, v3
	v_fmac_f16_e32 v3, s0, v10
	flat_store_short v[13:14], v3 offset:32
	flat_load_ushort v3, v[11:12] offset:64
	s_waitcnt vmcnt(0) lgkmcnt(0)
	v_mul_f16_e32 v3, s1, v3
	v_fmac_f16_e32 v3, s0, v6
	v_add_co_u32 v6, vcc_lo, v15, s2
	v_add_co_ci_u32_e64 v7, null, s3, v16, vcc_lo
	flat_store_short v[13:14], v3 offset:64
	flat_load_ushort v3, v[11:12] offset:96
	v_add_co_u32 v6, vcc_lo, v6, v0
	v_add_co_ci_u32_e64 v7, null, v7, v1, vcc_lo
	s_waitcnt vmcnt(0) lgkmcnt(0)
	v_mul_f16_e32 v3, s1, v3
	v_fmac_f16_e32 v3, s0, v9
	v_add_co_u32 v9, vcc_lo, v17, s4
	v_add_co_ci_u32_e64 v10, null, s5, v18, vcc_lo
	flat_store_short v[13:14], v3 offset:96
	flat_load_ushort v3, v[6:7]
	v_add_co_u32 v0, vcc_lo, v9, v0
	v_add_co_ci_u32_e64 v1, null, v10, v1, vcc_lo
	s_waitcnt vmcnt(0) lgkmcnt(0)
	v_mul_f16_e32 v3, s1, v3
	v_fmac_f16_e32 v3, s0, v5
	flat_store_short v[0:1], v3
	flat_load_ushort v3, v[6:7] offset:32
	s_waitcnt vmcnt(0) lgkmcnt(0)
	v_mul_f16_e32 v3, s1, v3
	v_fmac_f16_e32 v3, s0, v8
	flat_store_short v[0:1], v3 offset:32
	flat_load_ushort v3, v[6:7] offset:64
	s_waitcnt vmcnt(0) lgkmcnt(0)
	v_mul_f16_e32 v3, s1, v3
	v_fmac_f16_e32 v3, s0, v4
	flat_store_short v[0:1], v3 offset:64
	flat_load_ushort v3, v[6:7] offset:96
	s_waitcnt vmcnt(0) lgkmcnt(0)
	v_mul_f16_e32 v3, s1, v3
	v_fmac_f16_e32 v3, s0, v2
	flat_store_short v[0:1], v3 offset:96
.LBB153_7:
	s_endpgm
.LBB153_8:
	s_branch .LBB153_6
	.section	.rodata,"a",@progbits
	.p2align	6, 0x0
	.amdhsa_kernel _ZN12_GLOBAL__N_127rocblas_gemm_batched_kernelIDF16_Li16ELi16ELi64ELi64ELi4ELi64ELi4ELi4ELi64ELc67ELc84EKPKDF16_S3_KPDF16_EEvlllT_PT11_llS8_llS6_PT12_llPT13_lli
		.amdhsa_group_segment_fixed_size 1024
		.amdhsa_private_segment_fixed_size 0
		.amdhsa_kernarg_size 140
		.amdhsa_user_sgpr_count 6
		.amdhsa_user_sgpr_private_segment_buffer 1
		.amdhsa_user_sgpr_dispatch_ptr 0
		.amdhsa_user_sgpr_queue_ptr 0
		.amdhsa_user_sgpr_kernarg_segment_ptr 1
		.amdhsa_user_sgpr_dispatch_id 0
		.amdhsa_user_sgpr_flat_scratch_init 0
		.amdhsa_user_sgpr_private_segment_size 0
		.amdhsa_wavefront_size32 1
		.amdhsa_uses_dynamic_stack 0
		.amdhsa_system_sgpr_private_segment_wavefront_offset 0
		.amdhsa_system_sgpr_workgroup_id_x 1
		.amdhsa_system_sgpr_workgroup_id_y 1
		.amdhsa_system_sgpr_workgroup_id_z 1
		.amdhsa_system_sgpr_workgroup_info 0
		.amdhsa_system_vgpr_workitem_id 1
		.amdhsa_next_free_vgpr 36
		.amdhsa_next_free_sgpr 36
		.amdhsa_reserve_vcc 1
		.amdhsa_reserve_flat_scratch 0
		.amdhsa_float_round_mode_32 0
		.amdhsa_float_round_mode_16_64 0
		.amdhsa_float_denorm_mode_32 3
		.amdhsa_float_denorm_mode_16_64 3
		.amdhsa_dx10_clamp 1
		.amdhsa_ieee_mode 1
		.amdhsa_fp16_overflow 0
		.amdhsa_workgroup_processor_mode 1
		.amdhsa_memory_ordered 1
		.amdhsa_forward_progress 1
		.amdhsa_shared_vgpr_count 0
		.amdhsa_exception_fp_ieee_invalid_op 0
		.amdhsa_exception_fp_denorm_src 0
		.amdhsa_exception_fp_ieee_div_zero 0
		.amdhsa_exception_fp_ieee_overflow 0
		.amdhsa_exception_fp_ieee_underflow 0
		.amdhsa_exception_fp_ieee_inexact 0
		.amdhsa_exception_int_div_zero 0
	.end_amdhsa_kernel
	.section	.text._ZN12_GLOBAL__N_127rocblas_gemm_batched_kernelIDF16_Li16ELi16ELi64ELi64ELi4ELi64ELi4ELi4ELi64ELc67ELc84EKPKDF16_S3_KPDF16_EEvlllT_PT11_llS8_llS6_PT12_llPT13_lli,"axG",@progbits,_ZN12_GLOBAL__N_127rocblas_gemm_batched_kernelIDF16_Li16ELi16ELi64ELi64ELi4ELi64ELi4ELi4ELi64ELc67ELc84EKPKDF16_S3_KPDF16_EEvlllT_PT11_llS8_llS6_PT12_llPT13_lli,comdat
.Lfunc_end153:
	.size	_ZN12_GLOBAL__N_127rocblas_gemm_batched_kernelIDF16_Li16ELi16ELi64ELi64ELi4ELi64ELi4ELi4ELi64ELc67ELc84EKPKDF16_S3_KPDF16_EEvlllT_PT11_llS8_llS6_PT12_llPT13_lli, .Lfunc_end153-_ZN12_GLOBAL__N_127rocblas_gemm_batched_kernelIDF16_Li16ELi16ELi64ELi64ELi4ELi64ELi4ELi4ELi64ELc67ELc84EKPKDF16_S3_KPDF16_EEvlllT_PT11_llS8_llS6_PT12_llPT13_lli
                                        ; -- End function
	.set _ZN12_GLOBAL__N_127rocblas_gemm_batched_kernelIDF16_Li16ELi16ELi64ELi64ELi4ELi64ELi4ELi4ELi64ELc67ELc84EKPKDF16_S3_KPDF16_EEvlllT_PT11_llS8_llS6_PT12_llPT13_lli.num_vgpr, 36
	.set _ZN12_GLOBAL__N_127rocblas_gemm_batched_kernelIDF16_Li16ELi16ELi64ELi64ELi4ELi64ELi4ELi4ELi64ELc67ELc84EKPKDF16_S3_KPDF16_EEvlllT_PT11_llS8_llS6_PT12_llPT13_lli.num_agpr, 0
	.set _ZN12_GLOBAL__N_127rocblas_gemm_batched_kernelIDF16_Li16ELi16ELi64ELi64ELi4ELi64ELi4ELi4ELi64ELc67ELc84EKPKDF16_S3_KPDF16_EEvlllT_PT11_llS8_llS6_PT12_llPT13_lli.numbered_sgpr, 36
	.set _ZN12_GLOBAL__N_127rocblas_gemm_batched_kernelIDF16_Li16ELi16ELi64ELi64ELi4ELi64ELi4ELi4ELi64ELc67ELc84EKPKDF16_S3_KPDF16_EEvlllT_PT11_llS8_llS6_PT12_llPT13_lli.num_named_barrier, 0
	.set _ZN12_GLOBAL__N_127rocblas_gemm_batched_kernelIDF16_Li16ELi16ELi64ELi64ELi4ELi64ELi4ELi4ELi64ELc67ELc84EKPKDF16_S3_KPDF16_EEvlllT_PT11_llS8_llS6_PT12_llPT13_lli.private_seg_size, 0
	.set _ZN12_GLOBAL__N_127rocblas_gemm_batched_kernelIDF16_Li16ELi16ELi64ELi64ELi4ELi64ELi4ELi4ELi64ELc67ELc84EKPKDF16_S3_KPDF16_EEvlllT_PT11_llS8_llS6_PT12_llPT13_lli.uses_vcc, 1
	.set _ZN12_GLOBAL__N_127rocblas_gemm_batched_kernelIDF16_Li16ELi16ELi64ELi64ELi4ELi64ELi4ELi4ELi64ELc67ELc84EKPKDF16_S3_KPDF16_EEvlllT_PT11_llS8_llS6_PT12_llPT13_lli.uses_flat_scratch, 0
	.set _ZN12_GLOBAL__N_127rocblas_gemm_batched_kernelIDF16_Li16ELi16ELi64ELi64ELi4ELi64ELi4ELi4ELi64ELc67ELc84EKPKDF16_S3_KPDF16_EEvlllT_PT11_llS8_llS6_PT12_llPT13_lli.has_dyn_sized_stack, 0
	.set _ZN12_GLOBAL__N_127rocblas_gemm_batched_kernelIDF16_Li16ELi16ELi64ELi64ELi4ELi64ELi4ELi4ELi64ELc67ELc84EKPKDF16_S3_KPDF16_EEvlllT_PT11_llS8_llS6_PT12_llPT13_lli.has_recursion, 0
	.set _ZN12_GLOBAL__N_127rocblas_gemm_batched_kernelIDF16_Li16ELi16ELi64ELi64ELi4ELi64ELi4ELi4ELi64ELc67ELc84EKPKDF16_S3_KPDF16_EEvlllT_PT11_llS8_llS6_PT12_llPT13_lli.has_indirect_call, 0
	.section	.AMDGPU.csdata,"",@progbits
; Kernel info:
; codeLenInByte = 2384
; TotalNumSgprs: 38
; NumVgprs: 36
; ScratchSize: 0
; MemoryBound: 0
; FloatMode: 240
; IeeeMode: 1
; LDSByteSize: 1024 bytes/workgroup (compile time only)
; SGPRBlocks: 0
; VGPRBlocks: 4
; NumSGPRsForWavesPerEU: 38
; NumVGPRsForWavesPerEU: 36
; Occupancy: 16
; WaveLimiterHint : 1
; COMPUTE_PGM_RSRC2:SCRATCH_EN: 0
; COMPUTE_PGM_RSRC2:USER_SGPR: 6
; COMPUTE_PGM_RSRC2:TRAP_HANDLER: 0
; COMPUTE_PGM_RSRC2:TGID_X_EN: 1
; COMPUTE_PGM_RSRC2:TGID_Y_EN: 1
; COMPUTE_PGM_RSRC2:TGID_Z_EN: 1
; COMPUTE_PGM_RSRC2:TIDIG_COMP_CNT: 1
	.section	.text._ZN12_GLOBAL__N_127rocblas_gemm_batched_kernelIDF16_Li16ELi16ELi64ELi64ELi4ELi64ELi4ELi4ELi64ELc78ELc67EKPKDF16_S3_KPDF16_EEvlllT_PT11_llS8_llS6_PT12_llPT13_lli,"axG",@progbits,_ZN12_GLOBAL__N_127rocblas_gemm_batched_kernelIDF16_Li16ELi16ELi64ELi64ELi4ELi64ELi4ELi4ELi64ELc78ELc67EKPKDF16_S3_KPDF16_EEvlllT_PT11_llS8_llS6_PT12_llPT13_lli,comdat
	.globl	_ZN12_GLOBAL__N_127rocblas_gemm_batched_kernelIDF16_Li16ELi16ELi64ELi64ELi4ELi64ELi4ELi4ELi64ELc78ELc67EKPKDF16_S3_KPDF16_EEvlllT_PT11_llS8_llS6_PT12_llPT13_lli ; -- Begin function _ZN12_GLOBAL__N_127rocblas_gemm_batched_kernelIDF16_Li16ELi16ELi64ELi64ELi4ELi64ELi4ELi4ELi64ELc78ELc67EKPKDF16_S3_KPDF16_EEvlllT_PT11_llS8_llS6_PT12_llPT13_lli
	.p2align	8
	.type	_ZN12_GLOBAL__N_127rocblas_gemm_batched_kernelIDF16_Li16ELi16ELi64ELi64ELi4ELi64ELi4ELi4ELi64ELc78ELc67EKPKDF16_S3_KPDF16_EEvlllT_PT11_llS8_llS6_PT12_llPT13_lli,@function
_ZN12_GLOBAL__N_127rocblas_gemm_batched_kernelIDF16_Li16ELi16ELi64ELi64ELi4ELi64ELi4ELi4ELi64ELc78ELc67EKPKDF16_S3_KPDF16_EEvlllT_PT11_llS8_llS6_PT12_llPT13_lli: ; @_ZN12_GLOBAL__N_127rocblas_gemm_batched_kernelIDF16_Li16ELi16ELi64ELi64ELi4ELi64ELi4ELi4ELi64ELc78ELc67EKPKDF16_S3_KPDF16_EEvlllT_PT11_llS8_llS6_PT12_llPT13_lli
; %bb.0:
	s_clause 0x1
	s_load_dwordx8 s[12:19], s[4:5], 0x58
	s_load_dwordx2 s[30:31], s[4:5], 0x10
	s_mov_b32 s9, 0
	s_mov_b32 s0, s7
	s_lshl_b64 s[34:35], s[8:9], 3
	s_load_dwordx4 s[8:11], s[4:5], 0x78
	v_mov_b32_e32 v3, 0
	s_waitcnt lgkmcnt(0)
	s_add_u32 s2, s12, s34
	s_addc_u32 s3, s13, s35
	s_add_u32 s18, s18, s34
	s_addc_u32 s19, s19, s35
	s_load_dwordx2 s[12:13], s[2:3], 0x0
	s_load_dwordx2 s[18:19], s[18:19], 0x0
	v_cmp_lt_i64_e64 s2, s[30:31], 1
	s_ashr_i32 s7, s6, 31
	s_ashr_i32 s1, s0, 31
	s_lshl_b64 s[6:7], s[6:7], 6
	s_lshl_b64 s[28:29], s[0:1], 6
	s_and_b32 vcc_lo, exec_lo, s2
	s_cbranch_vccnz .LBB154_3
; %bb.1:
	s_clause 0x1
	s_load_dwordx8 s[20:27], s[4:5], 0x20
	s_load_dwordx4 s[0:3], s[4:5], 0x40
	v_lshl_add_u32 v4, v1, 4, v0
	v_and_b32_e32 v8, 3, v0
	v_lshlrev_b32_e32 v14, 1, v0
	v_lshl_add_u32 v15, v1, 3, 0x200
	v_mov_b32_e32 v13, 0
	v_lshrrev_b32_e32 v2, 2, v4
	v_lshrrev_b32_e32 v9, 6, v4
	v_and_b32_e32 v10, 63, v4
	v_lshlrev_b32_e32 v11, 1, v8
	v_lshlrev_b32_e32 v12, 1, v10
	v_lshl_or_b32 v11, v2, 3, v11
	v_lshl_or_b32 v16, v9, 7, v12
	s_waitcnt lgkmcnt(0)
	v_mad_u64_u32 v[6:7], null, s22, v9, s[6:7]
	v_mad_u64_u32 v[4:5], null, s0, v8, v[2:3]
	s_add_u32 s20, s20, s34
	s_addc_u32 s21, s21, s35
	s_add_u32 s26, s26, s34
	s_addc_u32 s27, s27, s35
	s_load_dwordx2 s[20:21], s[20:21], 0x0
	s_load_dwordx2 s[26:27], s[26:27], 0x0
	v_mov_b32_e32 v2, v5
	v_mov_b32_e32 v5, v7
	v_add_co_u32 v4, vcc_lo, v4, s28
	s_lshl_b64 s[2:3], s[2:3], 1
	v_mad_u64_u32 v[7:8], null, s1, v8, v[2:3]
	v_mad_u64_u32 v[8:9], null, s23, v9, v[5:6]
	v_add_nc_u32_e32 v17, 0x200, v11
	v_mov_b32_e32 v2, 0
	v_mov_b32_e32 v9, 0
	;; [unrolled: 1-line block ×3, first 2 shown]
	v_add_co_ci_u32_e64 v5, null, s29, v7, vcc_lo
	v_add_co_u32 v6, vcc_lo, v6, v10
	v_add_co_ci_u32_e64 v7, null, 0, v8, vcc_lo
	v_lshlrev_b64 v[4:5], 1, v[4:5]
	s_waitcnt lgkmcnt(0)
	s_add_u32 s26, s26, s2
	s_addc_u32 s27, s27, s3
	v_lshlrev_b64 v[6:7], 1, v[6:7]
	s_lshl_b64 s[2:3], s[0:1], 3
	s_lshl_b64 s[0:1], s[24:25], 1
	v_add_co_u32 v4, vcc_lo, s26, v4
	s_add_u32 s0, s20, s0
	s_addc_u32 s1, s21, s1
	v_add_co_ci_u32_e64 v5, null, s27, v5, vcc_lo
	v_add_co_u32 v6, vcc_lo, s0, v6
	v_add_co_ci_u32_e64 v7, null, s1, v7, vcc_lo
	v_mov_b32_e32 v8, 0
	v_mov_b32_e32 v10, 0
	;; [unrolled: 1-line block ×3, first 2 shown]
	s_lshl_b64 s[20:21], s[22:23], 3
	s_mov_b64 s[22:23], 0
.LBB154_2:                              ; =>This Inner Loop Header: Depth=1
	flat_load_ushort v18, v[6:7]
	s_add_u32 s22, s22, 4
	s_addc_u32 s23, s23, 0
	v_add_co_u32 v6, vcc_lo, v6, s20
	v_cmp_lt_i64_e64 s0, s[22:23], s[30:31]
	v_add_co_ci_u32_e64 v7, null, s21, v7, vcc_lo
	s_and_b32 vcc_lo, exec_lo, s0
	s_waitcnt vmcnt(0) lgkmcnt(0)
	ds_write_b16 v16, v18
	flat_load_ushort v18, v[4:5]
	v_add_co_u32 v4, s0, v4, s2
	v_add_co_ci_u32_e64 v5, null, s3, v5, s0
	s_waitcnt vmcnt(0) lgkmcnt(0)
	ds_write_b16 v17, v18
	s_waitcnt lgkmcnt(0)
	s_barrier
	buffer_gl0_inv
	ds_read_u16 v26, v14 offset:32
	ds_read_u16 v27, v14 offset:96
	;; [unrolled: 1-line block ×8, first 2 shown]
	ds_read2_b64 v[18:21], v15 offset1:16
	ds_read2_b64 v[22:25], v15 offset0:32 offset1:48
	s_waitcnt lgkmcnt(9)
	ds_read_u16_d16_hi v26, v14
	s_waitcnt lgkmcnt(9)
	ds_read_u16_d16_hi v27, v14 offset:64
	s_waitcnt lgkmcnt(9)
	ds_read_u16_d16_hi v28, v14 offset:128
	;; [unrolled: 2-line block ×7, first 2 shown]
	s_waitcnt lgkmcnt(0)
	s_barrier
	buffer_gl0_inv
	v_pk_fma_f16 v3, v26, v18, v3 op_sel_hi:[1,0,1]
	v_pk_fma_f16 v13, v27, v18, v13 op_sel_hi:[1,0,1]
	;; [unrolled: 1-line block ×8, first 2 shown]
	v_pk_fma_f16 v3, v28, v18, v3 op_sel:[0,1,0]
	v_pk_fma_f16 v13, v29, v18, v13 op_sel:[0,1,0]
	v_pk_fma_f16 v12, v28, v20, v12 op_sel:[0,1,0]
	v_pk_fma_f16 v11, v29, v20, v11 op_sel:[0,1,0]
	v_pk_fma_f16 v10, v28, v22, v10 op_sel:[0,1,0]
	v_pk_fma_f16 v9, v29, v22, v9 op_sel:[0,1,0]
	v_pk_fma_f16 v8, v28, v24, v8 op_sel:[0,1,0]
	v_pk_fma_f16 v2, v29, v24, v2 op_sel:[0,1,0]
	v_pk_fma_f16 v3, v30, v19, v3 op_sel_hi:[1,0,1]
	v_pk_fma_f16 v13, v31, v19, v13 op_sel_hi:[1,0,1]
	v_pk_fma_f16 v12, v30, v21, v12 op_sel_hi:[1,0,1]
	v_pk_fma_f16 v11, v31, v21, v11 op_sel_hi:[1,0,1]
	v_pk_fma_f16 v10, v30, v23, v10 op_sel_hi:[1,0,1]
	v_pk_fma_f16 v9, v31, v23, v9 op_sel_hi:[1,0,1]
	v_pk_fma_f16 v8, v30, v25, v8 op_sel_hi:[1,0,1]
	v_pk_fma_f16 v2, v31, v25, v2 op_sel_hi:[1,0,1]
	v_pk_fma_f16 v3, v32, v19, v3 op_sel:[0,1,0]
	v_pk_fma_f16 v13, v33, v19, v13 op_sel:[0,1,0]
	;; [unrolled: 1-line block ×8, first 2 shown]
	s_cbranch_vccnz .LBB154_2
	s_branch .LBB154_4
.LBB154_3:
	v_mov_b32_e32 v13, 0
	v_mov_b32_e32 v12, 0
	;; [unrolled: 1-line block ×7, first 2 shown]
.LBB154_4:
	s_clause 0x1
	s_load_dword s1, s[4:5], 0x50
	s_load_dword s0, s[4:5], 0x18
	v_add_co_u32 v17, s4, s28, v1
	v_add_co_ci_u32_e64 v21, null, s29, 0, s4
	v_add_co_u32 v0, s4, s6, v0
	v_add_co_ci_u32_e64 v1, null, s7, 0, s4
	v_mul_lo_u32 v19, v21, s8
	v_mul_lo_u32 v20, v17, s9
	s_lshl_b64 s[2:3], s[10:11], 1
	v_lshlrev_b64 v[0:1], 1, v[0:1]
	v_lshrrev_b32_e32 v18, 16, v3
	v_lshrrev_b32_e32 v16, 16, v13
	;; [unrolled: 1-line block ×6, first 2 shown]
	s_waitcnt lgkmcnt(0)
	v_cmp_neq_f16_e64 s4, s1, 0
	v_lshrrev_b32_e32 v5, 16, v8
	v_lshrrev_b32_e32 v4, 16, v2
	s_add_u32 s2, s18, s2
	s_addc_u32 s3, s19, s3
	s_and_b32 vcc_lo, exec_lo, s4
	s_mov_b32 s4, 0
	s_cbranch_vccnz .LBB154_8
; %bb.5:
	v_mad_u64_u32 v[22:23], null, v17, s8, 0
	s_lshl_b64 s[6:7], s[8:9], 5
	v_mul_f16_sdwa v26, s0, v3 dst_sel:DWORD dst_unused:UNUSED_PAD src0_sel:DWORD src1_sel:WORD_1
	v_mul_f16_e32 v27, s0, v3
	v_mul_f16_sdwa v28, s0, v13 dst_sel:DWORD dst_unused:UNUSED_PAD src0_sel:DWORD src1_sel:WORD_1
	v_mul_f16_e32 v29, s0, v13
	v_mul_f16_sdwa v30, s0, v12 dst_sel:DWORD dst_unused:UNUSED_PAD src0_sel:DWORD src1_sel:WORD_1
	v_add3_u32 v23, v23, v20, v19
	v_mul_f16_e32 v31, s0, v12
	v_mul_f16_sdwa v32, s0, v11 dst_sel:DWORD dst_unused:UNUSED_PAD src0_sel:DWORD src1_sel:WORD_1
	v_mul_f16_e32 v33, s0, v11
	v_lshlrev_b64 v[22:23], 1, v[22:23]
	v_add_co_u32 v22, vcc_lo, s2, v22
	v_add_co_ci_u32_e64 v23, null, s3, v23, vcc_lo
	v_add_co_u32 v34, vcc_lo, v22, s6
	v_add_co_ci_u32_e64 v35, null, s7, v23, vcc_lo
	;; [unrolled: 2-line block ×4, first 2 shown]
	flat_store_short v[22:23], v26
	flat_store_short v[22:23], v27 offset:32
	flat_store_short v[22:23], v28 offset:64
	;; [unrolled: 1-line block ×3, first 2 shown]
	flat_store_short v[24:25], v30
	flat_store_short v[24:25], v31 offset:32
	v_add_co_u32 v26, vcc_lo, v34, s6
	v_add_co_ci_u32_e64 v27, null, s7, v35, vcc_lo
	v_mul_f16_sdwa v28, s0, v10 dst_sel:DWORD dst_unused:UNUSED_PAD src0_sel:DWORD src1_sel:WORD_1
	v_add_co_u32 v22, vcc_lo, v26, v0
	v_add_co_ci_u32_e64 v23, null, v27, v1, vcc_lo
	v_mul_f16_e32 v29, s0, v10
	v_mul_f16_sdwa v30, s0, v9 dst_sel:DWORD dst_unused:UNUSED_PAD src0_sel:DWORD src1_sel:WORD_1
	flat_store_short v[24:25], v32 offset:64
	flat_store_short v[24:25], v33 offset:96
	flat_store_short v[22:23], v28
	flat_store_short v[22:23], v29 offset:32
	flat_store_short v[22:23], v30 offset:64
	v_add_co_u32 v24, vcc_lo, v26, s6
	v_add_co_ci_u32_e64 v25, null, s7, v27, vcc_lo
	v_mul_f16_e32 v28, s0, v9
	v_add_co_u32 v24, vcc_lo, v24, v0
	v_mul_f16_sdwa v26, s0, v8 dst_sel:DWORD dst_unused:UNUSED_PAD src0_sel:DWORD src1_sel:WORD_1
	v_add_co_ci_u32_e64 v25, null, v25, v1, vcc_lo
	v_mul_f16_e32 v27, s0, v8
	v_mul_f16_sdwa v29, s0, v2 dst_sel:DWORD dst_unused:UNUSED_PAD src0_sel:DWORD src1_sel:WORD_1
	v_mul_f16_e32 v30, s0, v2
	flat_store_short v[22:23], v28 offset:96
	flat_store_short v[24:25], v26
	flat_store_short v[24:25], v27 offset:32
	flat_store_short v[24:25], v29 offset:64
	;; [unrolled: 1-line block ×3, first 2 shown]
	s_andn2_b32 vcc_lo, exec_lo, s4
	s_cbranch_vccnz .LBB154_7
.LBB154_6:
	v_mul_lo_u32 v23, v21, s14
	v_mul_lo_u32 v24, v17, s15
	v_mad_u64_u32 v[21:22], null, v17, s14, 0
	s_lshl_b64 s[4:5], s[16:17], 1
	s_add_u32 s4, s12, s4
	s_addc_u32 s5, s13, s5
	v_add3_u32 v22, v22, v24, v23
	v_mad_u64_u32 v[23:24], null, v17, s8, 0
	v_lshlrev_b64 v[21:22], 1, v[21:22]
	v_add3_u32 v24, v24, v20, v19
	v_add_co_u32 v25, vcc_lo, s4, v21
	v_add_co_ci_u32_e64 v26, null, s5, v22, vcc_lo
	v_lshlrev_b64 v[19:20], 1, v[23:24]
	v_add_co_u32 v21, vcc_lo, v25, v0
	v_add_co_ci_u32_e64 v22, null, v26, v1, vcc_lo
	s_lshl_b64 s[4:5], s[8:9], 5
	v_add_co_u32 v23, vcc_lo, s2, v19
	flat_load_ushort v27, v[21:22]
	v_add_co_ci_u32_e64 v24, null, s3, v20, vcc_lo
	v_add_co_u32 v19, vcc_lo, v23, v0
	s_lshl_b64 s[2:3], s[14:15], 5
	v_add_co_ci_u32_e64 v20, null, v24, v1, vcc_lo
	s_waitcnt vmcnt(0) lgkmcnt(0)
	v_mul_f16_e32 v17, s1, v27
	v_fmac_f16_e32 v17, s0, v18
	flat_store_short v[19:20], v17
	flat_load_ushort v17, v[21:22] offset:32
	s_waitcnt vmcnt(0) lgkmcnt(0)
	v_mul_f16_e32 v17, s1, v17
	v_fmac_f16_e32 v17, s0, v3
	flat_store_short v[19:20], v17 offset:32
	flat_load_ushort v3, v[21:22] offset:64
	s_waitcnt vmcnt(0) lgkmcnt(0)
	v_mul_f16_e32 v3, s1, v3
	v_fmac_f16_e32 v3, s0, v16
	flat_store_short v[19:20], v3 offset:64
	flat_load_ushort v3, v[21:22] offset:96
	v_add_co_u32 v21, vcc_lo, v25, s2
	v_add_co_ci_u32_e64 v22, null, s3, v26, vcc_lo
	v_add_co_u32 v16, vcc_lo, v21, v0
	v_add_co_ci_u32_e64 v17, null, v22, v1, vcc_lo
	s_waitcnt vmcnt(0) lgkmcnt(0)
	v_mul_f16_e32 v3, s1, v3
	v_fmac_f16_e32 v3, s0, v13
	v_add_co_u32 v13, vcc_lo, v23, s4
	flat_store_short v[19:20], v3 offset:96
	flat_load_ushort v3, v[16:17]
	v_add_co_ci_u32_e64 v20, null, s5, v24, vcc_lo
	v_add_co_u32 v18, vcc_lo, v13, v0
	v_add_co_ci_u32_e64 v19, null, v20, v1, vcc_lo
	s_waitcnt vmcnt(0) lgkmcnt(0)
	v_mul_f16_e32 v3, s1, v3
	v_fmac_f16_e32 v3, s0, v15
	v_add_co_u32 v15, vcc_lo, v21, s2
	flat_store_short v[18:19], v3
	flat_load_ushort v3, v[16:17] offset:32
	s_waitcnt vmcnt(0) lgkmcnt(0)
	v_mul_f16_e32 v3, s1, v3
	v_fmac_f16_e32 v3, s0, v12
	flat_store_short v[18:19], v3 offset:32
	flat_load_ushort v3, v[16:17] offset:64
	s_waitcnt vmcnt(0) lgkmcnt(0)
	v_mul_f16_e32 v3, s1, v3
	v_fmac_f16_e32 v3, s0, v14
	flat_store_short v[18:19], v3 offset:64
	flat_load_ushort v3, v[16:17] offset:96
	v_add_co_ci_u32_e64 v16, null, s3, v22, vcc_lo
	s_waitcnt vmcnt(0) lgkmcnt(0)
	v_mul_f16_e32 v3, s1, v3
	v_fmac_f16_e32 v3, s0, v11
	v_add_co_u32 v11, vcc_lo, v15, v0
	v_add_co_ci_u32_e64 v12, null, v16, v1, vcc_lo
	flat_store_short v[18:19], v3 offset:96
	v_add_co_u32 v17, vcc_lo, v13, s4
	flat_load_ushort v3, v[11:12]
	v_add_co_ci_u32_e64 v18, null, s5, v20, vcc_lo
	v_add_co_u32 v13, vcc_lo, v17, v0
	v_add_co_ci_u32_e64 v14, null, v18, v1, vcc_lo
	s_waitcnt vmcnt(0) lgkmcnt(0)
	v_mul_f16_e32 v3, s1, v3
	v_fmac_f16_e32 v3, s0, v7
	flat_store_short v[13:14], v3
	flat_load_ushort v3, v[11:12] offset:32
	s_waitcnt vmcnt(0) lgkmcnt(0)
	v_mul_f16_e32 v3, s1, v3
	v_fmac_f16_e32 v3, s0, v10
	flat_store_short v[13:14], v3 offset:32
	flat_load_ushort v3, v[11:12] offset:64
	s_waitcnt vmcnt(0) lgkmcnt(0)
	v_mul_f16_e32 v3, s1, v3
	v_fmac_f16_e32 v3, s0, v6
	v_add_co_u32 v6, vcc_lo, v15, s2
	v_add_co_ci_u32_e64 v7, null, s3, v16, vcc_lo
	flat_store_short v[13:14], v3 offset:64
	flat_load_ushort v3, v[11:12] offset:96
	v_add_co_u32 v6, vcc_lo, v6, v0
	v_add_co_ci_u32_e64 v7, null, v7, v1, vcc_lo
	s_waitcnt vmcnt(0) lgkmcnt(0)
	v_mul_f16_e32 v3, s1, v3
	v_fmac_f16_e32 v3, s0, v9
	v_add_co_u32 v9, vcc_lo, v17, s4
	v_add_co_ci_u32_e64 v10, null, s5, v18, vcc_lo
	flat_store_short v[13:14], v3 offset:96
	flat_load_ushort v3, v[6:7]
	v_add_co_u32 v0, vcc_lo, v9, v0
	v_add_co_ci_u32_e64 v1, null, v10, v1, vcc_lo
	s_waitcnt vmcnt(0) lgkmcnt(0)
	v_mul_f16_e32 v3, s1, v3
	v_fmac_f16_e32 v3, s0, v5
	flat_store_short v[0:1], v3
	flat_load_ushort v3, v[6:7] offset:32
	s_waitcnt vmcnt(0) lgkmcnt(0)
	v_mul_f16_e32 v3, s1, v3
	v_fmac_f16_e32 v3, s0, v8
	flat_store_short v[0:1], v3 offset:32
	flat_load_ushort v3, v[6:7] offset:64
	s_waitcnt vmcnt(0) lgkmcnt(0)
	v_mul_f16_e32 v3, s1, v3
	v_fmac_f16_e32 v3, s0, v4
	flat_store_short v[0:1], v3 offset:64
	;; [unrolled: 5-line block ×3, first 2 shown]
.LBB154_7:
	s_endpgm
.LBB154_8:
	s_branch .LBB154_6
	.section	.rodata,"a",@progbits
	.p2align	6, 0x0
	.amdhsa_kernel _ZN12_GLOBAL__N_127rocblas_gemm_batched_kernelIDF16_Li16ELi16ELi64ELi64ELi4ELi64ELi4ELi4ELi64ELc78ELc67EKPKDF16_S3_KPDF16_EEvlllT_PT11_llS8_llS6_PT12_llPT13_lli
		.amdhsa_group_segment_fixed_size 1024
		.amdhsa_private_segment_fixed_size 0
		.amdhsa_kernarg_size 140
		.amdhsa_user_sgpr_count 6
		.amdhsa_user_sgpr_private_segment_buffer 1
		.amdhsa_user_sgpr_dispatch_ptr 0
		.amdhsa_user_sgpr_queue_ptr 0
		.amdhsa_user_sgpr_kernarg_segment_ptr 1
		.amdhsa_user_sgpr_dispatch_id 0
		.amdhsa_user_sgpr_flat_scratch_init 0
		.amdhsa_user_sgpr_private_segment_size 0
		.amdhsa_wavefront_size32 1
		.amdhsa_uses_dynamic_stack 0
		.amdhsa_system_sgpr_private_segment_wavefront_offset 0
		.amdhsa_system_sgpr_workgroup_id_x 1
		.amdhsa_system_sgpr_workgroup_id_y 1
		.amdhsa_system_sgpr_workgroup_id_z 1
		.amdhsa_system_sgpr_workgroup_info 0
		.amdhsa_system_vgpr_workitem_id 1
		.amdhsa_next_free_vgpr 36
		.amdhsa_next_free_sgpr 36
		.amdhsa_reserve_vcc 1
		.amdhsa_reserve_flat_scratch 0
		.amdhsa_float_round_mode_32 0
		.amdhsa_float_round_mode_16_64 0
		.amdhsa_float_denorm_mode_32 3
		.amdhsa_float_denorm_mode_16_64 3
		.amdhsa_dx10_clamp 1
		.amdhsa_ieee_mode 1
		.amdhsa_fp16_overflow 0
		.amdhsa_workgroup_processor_mode 1
		.amdhsa_memory_ordered 1
		.amdhsa_forward_progress 1
		.amdhsa_shared_vgpr_count 0
		.amdhsa_exception_fp_ieee_invalid_op 0
		.amdhsa_exception_fp_denorm_src 0
		.amdhsa_exception_fp_ieee_div_zero 0
		.amdhsa_exception_fp_ieee_overflow 0
		.amdhsa_exception_fp_ieee_underflow 0
		.amdhsa_exception_fp_ieee_inexact 0
		.amdhsa_exception_int_div_zero 0
	.end_amdhsa_kernel
	.section	.text._ZN12_GLOBAL__N_127rocblas_gemm_batched_kernelIDF16_Li16ELi16ELi64ELi64ELi4ELi64ELi4ELi4ELi64ELc78ELc67EKPKDF16_S3_KPDF16_EEvlllT_PT11_llS8_llS6_PT12_llPT13_lli,"axG",@progbits,_ZN12_GLOBAL__N_127rocblas_gemm_batched_kernelIDF16_Li16ELi16ELi64ELi64ELi4ELi64ELi4ELi4ELi64ELc78ELc67EKPKDF16_S3_KPDF16_EEvlllT_PT11_llS8_llS6_PT12_llPT13_lli,comdat
.Lfunc_end154:
	.size	_ZN12_GLOBAL__N_127rocblas_gemm_batched_kernelIDF16_Li16ELi16ELi64ELi64ELi4ELi64ELi4ELi4ELi64ELc78ELc67EKPKDF16_S3_KPDF16_EEvlllT_PT11_llS8_llS6_PT12_llPT13_lli, .Lfunc_end154-_ZN12_GLOBAL__N_127rocblas_gemm_batched_kernelIDF16_Li16ELi16ELi64ELi64ELi4ELi64ELi4ELi4ELi64ELc78ELc67EKPKDF16_S3_KPDF16_EEvlllT_PT11_llS8_llS6_PT12_llPT13_lli
                                        ; -- End function
	.set _ZN12_GLOBAL__N_127rocblas_gemm_batched_kernelIDF16_Li16ELi16ELi64ELi64ELi4ELi64ELi4ELi4ELi64ELc78ELc67EKPKDF16_S3_KPDF16_EEvlllT_PT11_llS8_llS6_PT12_llPT13_lli.num_vgpr, 36
	.set _ZN12_GLOBAL__N_127rocblas_gemm_batched_kernelIDF16_Li16ELi16ELi64ELi64ELi4ELi64ELi4ELi4ELi64ELc78ELc67EKPKDF16_S3_KPDF16_EEvlllT_PT11_llS8_llS6_PT12_llPT13_lli.num_agpr, 0
	.set _ZN12_GLOBAL__N_127rocblas_gemm_batched_kernelIDF16_Li16ELi16ELi64ELi64ELi4ELi64ELi4ELi4ELi64ELc78ELc67EKPKDF16_S3_KPDF16_EEvlllT_PT11_llS8_llS6_PT12_llPT13_lli.numbered_sgpr, 36
	.set _ZN12_GLOBAL__N_127rocblas_gemm_batched_kernelIDF16_Li16ELi16ELi64ELi64ELi4ELi64ELi4ELi4ELi64ELc78ELc67EKPKDF16_S3_KPDF16_EEvlllT_PT11_llS8_llS6_PT12_llPT13_lli.num_named_barrier, 0
	.set _ZN12_GLOBAL__N_127rocblas_gemm_batched_kernelIDF16_Li16ELi16ELi64ELi64ELi4ELi64ELi4ELi4ELi64ELc78ELc67EKPKDF16_S3_KPDF16_EEvlllT_PT11_llS8_llS6_PT12_llPT13_lli.private_seg_size, 0
	.set _ZN12_GLOBAL__N_127rocblas_gemm_batched_kernelIDF16_Li16ELi16ELi64ELi64ELi4ELi64ELi4ELi4ELi64ELc78ELc67EKPKDF16_S3_KPDF16_EEvlllT_PT11_llS8_llS6_PT12_llPT13_lli.uses_vcc, 1
	.set _ZN12_GLOBAL__N_127rocblas_gemm_batched_kernelIDF16_Li16ELi16ELi64ELi64ELi4ELi64ELi4ELi4ELi64ELc78ELc67EKPKDF16_S3_KPDF16_EEvlllT_PT11_llS8_llS6_PT12_llPT13_lli.uses_flat_scratch, 0
	.set _ZN12_GLOBAL__N_127rocblas_gemm_batched_kernelIDF16_Li16ELi16ELi64ELi64ELi4ELi64ELi4ELi4ELi64ELc78ELc67EKPKDF16_S3_KPDF16_EEvlllT_PT11_llS8_llS6_PT12_llPT13_lli.has_dyn_sized_stack, 0
	.set _ZN12_GLOBAL__N_127rocblas_gemm_batched_kernelIDF16_Li16ELi16ELi64ELi64ELi4ELi64ELi4ELi4ELi64ELc78ELc67EKPKDF16_S3_KPDF16_EEvlllT_PT11_llS8_llS6_PT12_llPT13_lli.has_recursion, 0
	.set _ZN12_GLOBAL__N_127rocblas_gemm_batched_kernelIDF16_Li16ELi16ELi64ELi64ELi4ELi64ELi4ELi4ELi64ELc78ELc67EKPKDF16_S3_KPDF16_EEvlllT_PT11_llS8_llS6_PT12_llPT13_lli.has_indirect_call, 0
	.section	.AMDGPU.csdata,"",@progbits
; Kernel info:
; codeLenInByte = 2348
; TotalNumSgprs: 38
; NumVgprs: 36
; ScratchSize: 0
; MemoryBound: 0
; FloatMode: 240
; IeeeMode: 1
; LDSByteSize: 1024 bytes/workgroup (compile time only)
; SGPRBlocks: 0
; VGPRBlocks: 4
; NumSGPRsForWavesPerEU: 38
; NumVGPRsForWavesPerEU: 36
; Occupancy: 16
; WaveLimiterHint : 1
; COMPUTE_PGM_RSRC2:SCRATCH_EN: 0
; COMPUTE_PGM_RSRC2:USER_SGPR: 6
; COMPUTE_PGM_RSRC2:TRAP_HANDLER: 0
; COMPUTE_PGM_RSRC2:TGID_X_EN: 1
; COMPUTE_PGM_RSRC2:TGID_Y_EN: 1
; COMPUTE_PGM_RSRC2:TGID_Z_EN: 1
; COMPUTE_PGM_RSRC2:TIDIG_COMP_CNT: 1
	.section	.text._ZN12_GLOBAL__N_127rocblas_gemm_batched_kernelIDF16_Li16ELi16ELi64ELi64ELi4ELi64ELi4ELi4ELi64ELc84ELc67EKPKDF16_S3_KPDF16_EEvlllT_PT11_llS8_llS6_PT12_llPT13_lli,"axG",@progbits,_ZN12_GLOBAL__N_127rocblas_gemm_batched_kernelIDF16_Li16ELi16ELi64ELi64ELi4ELi64ELi4ELi4ELi64ELc84ELc67EKPKDF16_S3_KPDF16_EEvlllT_PT11_llS8_llS6_PT12_llPT13_lli,comdat
	.globl	_ZN12_GLOBAL__N_127rocblas_gemm_batched_kernelIDF16_Li16ELi16ELi64ELi64ELi4ELi64ELi4ELi4ELi64ELc84ELc67EKPKDF16_S3_KPDF16_EEvlllT_PT11_llS8_llS6_PT12_llPT13_lli ; -- Begin function _ZN12_GLOBAL__N_127rocblas_gemm_batched_kernelIDF16_Li16ELi16ELi64ELi64ELi4ELi64ELi4ELi4ELi64ELc84ELc67EKPKDF16_S3_KPDF16_EEvlllT_PT11_llS8_llS6_PT12_llPT13_lli
	.p2align	8
	.type	_ZN12_GLOBAL__N_127rocblas_gemm_batched_kernelIDF16_Li16ELi16ELi64ELi64ELi4ELi64ELi4ELi4ELi64ELc84ELc67EKPKDF16_S3_KPDF16_EEvlllT_PT11_llS8_llS6_PT12_llPT13_lli,@function
_ZN12_GLOBAL__N_127rocblas_gemm_batched_kernelIDF16_Li16ELi16ELi64ELi64ELi4ELi64ELi4ELi4ELi64ELc84ELc67EKPKDF16_S3_KPDF16_EEvlllT_PT11_llS8_llS6_PT12_llPT13_lli: ; @_ZN12_GLOBAL__N_127rocblas_gemm_batched_kernelIDF16_Li16ELi16ELi64ELi64ELi4ELi64ELi4ELi4ELi64ELc84ELc67EKPKDF16_S3_KPDF16_EEvlllT_PT11_llS8_llS6_PT12_llPT13_lli
; %bb.0:
	s_clause 0x1
	s_load_dwordx8 s[12:19], s[4:5], 0x58
	s_load_dwordx2 s[30:31], s[4:5], 0x10
	s_mov_b32 s9, 0
	s_mov_b32 s0, s7
	s_lshl_b64 s[34:35], s[8:9], 3
	s_load_dwordx4 s[8:11], s[4:5], 0x78
	v_mov_b32_e32 v3, 0
	s_waitcnt lgkmcnt(0)
	s_add_u32 s2, s12, s34
	s_addc_u32 s3, s13, s35
	s_add_u32 s18, s18, s34
	s_addc_u32 s19, s19, s35
	s_load_dwordx2 s[12:13], s[2:3], 0x0
	s_load_dwordx2 s[18:19], s[18:19], 0x0
	v_cmp_lt_i64_e64 s2, s[30:31], 1
	s_ashr_i32 s7, s6, 31
	s_ashr_i32 s1, s0, 31
	s_lshl_b64 s[6:7], s[6:7], 6
	s_lshl_b64 s[28:29], s[0:1], 6
	s_and_b32 vcc_lo, exec_lo, s2
	s_cbranch_vccnz .LBB155_3
; %bb.1:
	s_clause 0x1
	s_load_dwordx8 s[20:27], s[4:5], 0x20
	s_load_dwordx4 s[0:3], s[4:5], 0x40
	v_lshl_add_u32 v8, v1, 4, v0
	v_and_b32_e32 v9, 3, v0
	v_lshlrev_b32_e32 v14, 1, v0
	v_lshl_add_u32 v15, v1, 3, 0x200
	v_and_b32_e32 v10, 63, v8
	v_lshrrev_b32_e32 v2, 2, v8
	v_lshlrev_b32_e32 v11, 1, v9
	v_lshrrev_b32_e32 v8, 6, v8
	v_add_co_u32 v6, s33, s6, v10
	v_add_co_ci_u32_e64 v7, null, s7, 0, s33
	v_lshlrev_b32_e32 v10, 1, v10
	v_lshl_or_b32 v11, v2, 3, v11
	v_lshlrev_b32_e32 v18, 1, v8
	s_waitcnt lgkmcnt(0)
	s_add_u32 s20, s20, s34
	s_addc_u32 s21, s21, s35
	s_add_u32 s26, s26, s34
	s_addc_u32 s27, s27, s35
	v_mad_u64_u32 v[4:5], null, s0, v9, v[2:3]
	s_load_dwordx2 s[26:27], s[26:27], 0x0
	v_mul_lo_u32 v12, s23, v6
	v_mul_lo_u32 v13, s22, v7
	v_mad_u64_u32 v[6:7], null, s22, v6, 0
	v_lshl_or_b32 v16, v8, 7, v10
	v_mov_b32_e32 v2, v5
	s_load_dwordx2 s[20:21], s[20:21], 0x0
	s_lshl_b64 s[2:3], s[2:3], 1
	v_add_nc_u32_e32 v17, 0x200, v11
	v_mov_b32_e32 v10, 0
	v_add3_u32 v7, v7, v13, v12
	v_mad_u64_u32 v[8:9], null, s1, v9, v[2:3]
	v_mov_b32_e32 v9, 0
	v_mov_b32_e32 v11, 0
	v_lshlrev_b64 v[5:6], 1, v[6:7]
	v_add_co_u32 v7, vcc_lo, v4, s28
	v_mov_b32_e32 v12, 0
	v_add_co_ci_u32_e64 v8, null, s29, v8, vcc_lo
	s_waitcnt lgkmcnt(0)
	s_add_u32 s22, s26, s2
	s_addc_u32 s23, s27, s3
	s_lshl_b64 s[2:3], s[24:25], 1
	v_mov_b32_e32 v13, 0
	v_add_co_u32 v2, vcc_lo, v5, s2
	v_add_co_ci_u32_e64 v6, null, s3, v6, vcc_lo
	v_lshlrev_b64 v[4:5], 1, v[7:8]
	v_add_co_u32 v2, vcc_lo, v2, v18
	v_add_co_ci_u32_e64 v7, null, 0, v6, vcc_lo
	v_mov_b32_e32 v8, 0
	v_add_co_u32 v4, vcc_lo, s22, v4
	v_add_co_ci_u32_e64 v5, null, s23, v5, vcc_lo
	v_add_co_u32 v6, vcc_lo, s20, v2
	v_add_co_ci_u32_e64 v7, null, s21, v7, vcc_lo
	v_mov_b32_e32 v2, 0
	s_lshl_b64 s[2:3], s[0:1], 3
	s_mov_b64 s[20:21], 0
.LBB155_2:                              ; =>This Inner Loop Header: Depth=1
	flat_load_ushort v18, v[6:7]
	s_add_u32 s20, s20, 4
	s_addc_u32 s21, s21, 0
	v_add_co_u32 v6, vcc_lo, v6, 8
	v_cmp_lt_i64_e64 s0, s[20:21], s[30:31]
	v_add_co_ci_u32_e64 v7, null, 0, v7, vcc_lo
	s_and_b32 vcc_lo, exec_lo, s0
	s_waitcnt vmcnt(0) lgkmcnt(0)
	ds_write_b16 v16, v18
	flat_load_ushort v18, v[4:5]
	v_add_co_u32 v4, s0, v4, s2
	v_add_co_ci_u32_e64 v5, null, s3, v5, s0
	s_waitcnt vmcnt(0) lgkmcnt(0)
	ds_write_b16 v17, v18
	s_waitcnt lgkmcnt(0)
	s_barrier
	buffer_gl0_inv
	ds_read_u16 v26, v14 offset:32
	ds_read_u16 v27, v14 offset:96
	;; [unrolled: 1-line block ×8, first 2 shown]
	ds_read2_b64 v[18:21], v15 offset1:16
	ds_read2_b64 v[22:25], v15 offset0:32 offset1:48
	s_waitcnt lgkmcnt(9)
	ds_read_u16_d16_hi v26, v14
	s_waitcnt lgkmcnt(9)
	ds_read_u16_d16_hi v27, v14 offset:64
	s_waitcnt lgkmcnt(9)
	ds_read_u16_d16_hi v28, v14 offset:128
	;; [unrolled: 2-line block ×7, first 2 shown]
	s_waitcnt lgkmcnt(0)
	s_barrier
	buffer_gl0_inv
	v_pk_fma_f16 v3, v26, v18, v3 op_sel_hi:[1,0,1]
	v_pk_fma_f16 v13, v27, v18, v13 op_sel_hi:[1,0,1]
	;; [unrolled: 1-line block ×8, first 2 shown]
	v_pk_fma_f16 v3, v28, v18, v3 op_sel:[0,1,0]
	v_pk_fma_f16 v13, v29, v18, v13 op_sel:[0,1,0]
	;; [unrolled: 1-line block ×8, first 2 shown]
	v_pk_fma_f16 v3, v30, v19, v3 op_sel_hi:[1,0,1]
	v_pk_fma_f16 v13, v31, v19, v13 op_sel_hi:[1,0,1]
	;; [unrolled: 1-line block ×8, first 2 shown]
	v_pk_fma_f16 v3, v32, v19, v3 op_sel:[0,1,0]
	v_pk_fma_f16 v13, v33, v19, v13 op_sel:[0,1,0]
	;; [unrolled: 1-line block ×8, first 2 shown]
	s_cbranch_vccnz .LBB155_2
	s_branch .LBB155_4
.LBB155_3:
	v_mov_b32_e32 v13, 0
	v_mov_b32_e32 v12, 0
	;; [unrolled: 1-line block ×7, first 2 shown]
.LBB155_4:
	s_clause 0x1
	s_load_dword s1, s[4:5], 0x50
	s_load_dword s0, s[4:5], 0x18
	v_add_co_u32 v17, s4, s28, v1
	v_add_co_ci_u32_e64 v21, null, s29, 0, s4
	v_add_co_u32 v0, s4, s6, v0
	v_add_co_ci_u32_e64 v1, null, s7, 0, s4
	v_mul_lo_u32 v19, v21, s8
	v_mul_lo_u32 v20, v17, s9
	s_lshl_b64 s[2:3], s[10:11], 1
	v_lshlrev_b64 v[0:1], 1, v[0:1]
	v_lshrrev_b32_e32 v18, 16, v3
	v_lshrrev_b32_e32 v16, 16, v13
	;; [unrolled: 1-line block ×6, first 2 shown]
	s_waitcnt lgkmcnt(0)
	v_cmp_neq_f16_e64 s4, s1, 0
	v_lshrrev_b32_e32 v5, 16, v8
	v_lshrrev_b32_e32 v4, 16, v2
	s_add_u32 s2, s18, s2
	s_addc_u32 s3, s19, s3
	s_and_b32 vcc_lo, exec_lo, s4
	s_mov_b32 s4, 0
	s_cbranch_vccnz .LBB155_8
; %bb.5:
	v_mad_u64_u32 v[22:23], null, v17, s8, 0
	s_lshl_b64 s[6:7], s[8:9], 5
	v_mul_f16_sdwa v26, s0, v3 dst_sel:DWORD dst_unused:UNUSED_PAD src0_sel:DWORD src1_sel:WORD_1
	v_mul_f16_e32 v27, s0, v3
	v_mul_f16_sdwa v28, s0, v13 dst_sel:DWORD dst_unused:UNUSED_PAD src0_sel:DWORD src1_sel:WORD_1
	v_mul_f16_e32 v29, s0, v13
	v_mul_f16_sdwa v30, s0, v12 dst_sel:DWORD dst_unused:UNUSED_PAD src0_sel:DWORD src1_sel:WORD_1
	v_add3_u32 v23, v23, v20, v19
	v_mul_f16_e32 v31, s0, v12
	v_mul_f16_sdwa v32, s0, v11 dst_sel:DWORD dst_unused:UNUSED_PAD src0_sel:DWORD src1_sel:WORD_1
	v_mul_f16_e32 v33, s0, v11
	v_lshlrev_b64 v[22:23], 1, v[22:23]
	v_add_co_u32 v22, vcc_lo, s2, v22
	v_add_co_ci_u32_e64 v23, null, s3, v23, vcc_lo
	v_add_co_u32 v34, vcc_lo, v22, s6
	v_add_co_ci_u32_e64 v35, null, s7, v23, vcc_lo
	;; [unrolled: 2-line block ×4, first 2 shown]
	flat_store_short v[22:23], v26
	flat_store_short v[22:23], v27 offset:32
	flat_store_short v[22:23], v28 offset:64
	flat_store_short v[22:23], v29 offset:96
	flat_store_short v[24:25], v30
	flat_store_short v[24:25], v31 offset:32
	v_add_co_u32 v26, vcc_lo, v34, s6
	v_add_co_ci_u32_e64 v27, null, s7, v35, vcc_lo
	v_mul_f16_sdwa v28, s0, v10 dst_sel:DWORD dst_unused:UNUSED_PAD src0_sel:DWORD src1_sel:WORD_1
	v_add_co_u32 v22, vcc_lo, v26, v0
	v_add_co_ci_u32_e64 v23, null, v27, v1, vcc_lo
	v_mul_f16_e32 v29, s0, v10
	v_mul_f16_sdwa v30, s0, v9 dst_sel:DWORD dst_unused:UNUSED_PAD src0_sel:DWORD src1_sel:WORD_1
	flat_store_short v[24:25], v32 offset:64
	flat_store_short v[24:25], v33 offset:96
	flat_store_short v[22:23], v28
	flat_store_short v[22:23], v29 offset:32
	flat_store_short v[22:23], v30 offset:64
	v_add_co_u32 v24, vcc_lo, v26, s6
	v_add_co_ci_u32_e64 v25, null, s7, v27, vcc_lo
	v_mul_f16_e32 v28, s0, v9
	v_add_co_u32 v24, vcc_lo, v24, v0
	v_mul_f16_sdwa v26, s0, v8 dst_sel:DWORD dst_unused:UNUSED_PAD src0_sel:DWORD src1_sel:WORD_1
	v_add_co_ci_u32_e64 v25, null, v25, v1, vcc_lo
	v_mul_f16_e32 v27, s0, v8
	v_mul_f16_sdwa v29, s0, v2 dst_sel:DWORD dst_unused:UNUSED_PAD src0_sel:DWORD src1_sel:WORD_1
	v_mul_f16_e32 v30, s0, v2
	flat_store_short v[22:23], v28 offset:96
	flat_store_short v[24:25], v26
	flat_store_short v[24:25], v27 offset:32
	flat_store_short v[24:25], v29 offset:64
	;; [unrolled: 1-line block ×3, first 2 shown]
	s_andn2_b32 vcc_lo, exec_lo, s4
	s_cbranch_vccnz .LBB155_7
.LBB155_6:
	v_mul_lo_u32 v23, v21, s14
	v_mul_lo_u32 v24, v17, s15
	v_mad_u64_u32 v[21:22], null, v17, s14, 0
	s_lshl_b64 s[4:5], s[16:17], 1
	s_add_u32 s4, s12, s4
	s_addc_u32 s5, s13, s5
	v_add3_u32 v22, v22, v24, v23
	v_mad_u64_u32 v[23:24], null, v17, s8, 0
	v_lshlrev_b64 v[21:22], 1, v[21:22]
	v_add3_u32 v24, v24, v20, v19
	v_add_co_u32 v25, vcc_lo, s4, v21
	v_add_co_ci_u32_e64 v26, null, s5, v22, vcc_lo
	v_lshlrev_b64 v[19:20], 1, v[23:24]
	v_add_co_u32 v21, vcc_lo, v25, v0
	v_add_co_ci_u32_e64 v22, null, v26, v1, vcc_lo
	s_lshl_b64 s[4:5], s[8:9], 5
	v_add_co_u32 v23, vcc_lo, s2, v19
	flat_load_ushort v27, v[21:22]
	v_add_co_ci_u32_e64 v24, null, s3, v20, vcc_lo
	v_add_co_u32 v19, vcc_lo, v23, v0
	s_lshl_b64 s[2:3], s[14:15], 5
	v_add_co_ci_u32_e64 v20, null, v24, v1, vcc_lo
	s_waitcnt vmcnt(0) lgkmcnt(0)
	v_mul_f16_e32 v17, s1, v27
	v_fmac_f16_e32 v17, s0, v18
	flat_store_short v[19:20], v17
	flat_load_ushort v17, v[21:22] offset:32
	s_waitcnt vmcnt(0) lgkmcnt(0)
	v_mul_f16_e32 v17, s1, v17
	v_fmac_f16_e32 v17, s0, v3
	flat_store_short v[19:20], v17 offset:32
	flat_load_ushort v3, v[21:22] offset:64
	s_waitcnt vmcnt(0) lgkmcnt(0)
	v_mul_f16_e32 v3, s1, v3
	v_fmac_f16_e32 v3, s0, v16
	flat_store_short v[19:20], v3 offset:64
	flat_load_ushort v3, v[21:22] offset:96
	v_add_co_u32 v21, vcc_lo, v25, s2
	v_add_co_ci_u32_e64 v22, null, s3, v26, vcc_lo
	v_add_co_u32 v16, vcc_lo, v21, v0
	v_add_co_ci_u32_e64 v17, null, v22, v1, vcc_lo
	s_waitcnt vmcnt(0) lgkmcnt(0)
	v_mul_f16_e32 v3, s1, v3
	v_fmac_f16_e32 v3, s0, v13
	v_add_co_u32 v13, vcc_lo, v23, s4
	flat_store_short v[19:20], v3 offset:96
	flat_load_ushort v3, v[16:17]
	v_add_co_ci_u32_e64 v20, null, s5, v24, vcc_lo
	v_add_co_u32 v18, vcc_lo, v13, v0
	v_add_co_ci_u32_e64 v19, null, v20, v1, vcc_lo
	s_waitcnt vmcnt(0) lgkmcnt(0)
	v_mul_f16_e32 v3, s1, v3
	v_fmac_f16_e32 v3, s0, v15
	v_add_co_u32 v15, vcc_lo, v21, s2
	flat_store_short v[18:19], v3
	flat_load_ushort v3, v[16:17] offset:32
	s_waitcnt vmcnt(0) lgkmcnt(0)
	v_mul_f16_e32 v3, s1, v3
	v_fmac_f16_e32 v3, s0, v12
	flat_store_short v[18:19], v3 offset:32
	flat_load_ushort v3, v[16:17] offset:64
	s_waitcnt vmcnt(0) lgkmcnt(0)
	v_mul_f16_e32 v3, s1, v3
	v_fmac_f16_e32 v3, s0, v14
	flat_store_short v[18:19], v3 offset:64
	flat_load_ushort v3, v[16:17] offset:96
	v_add_co_ci_u32_e64 v16, null, s3, v22, vcc_lo
	s_waitcnt vmcnt(0) lgkmcnt(0)
	v_mul_f16_e32 v3, s1, v3
	v_fmac_f16_e32 v3, s0, v11
	v_add_co_u32 v11, vcc_lo, v15, v0
	v_add_co_ci_u32_e64 v12, null, v16, v1, vcc_lo
	flat_store_short v[18:19], v3 offset:96
	v_add_co_u32 v17, vcc_lo, v13, s4
	flat_load_ushort v3, v[11:12]
	v_add_co_ci_u32_e64 v18, null, s5, v20, vcc_lo
	v_add_co_u32 v13, vcc_lo, v17, v0
	v_add_co_ci_u32_e64 v14, null, v18, v1, vcc_lo
	s_waitcnt vmcnt(0) lgkmcnt(0)
	v_mul_f16_e32 v3, s1, v3
	v_fmac_f16_e32 v3, s0, v7
	flat_store_short v[13:14], v3
	flat_load_ushort v3, v[11:12] offset:32
	s_waitcnt vmcnt(0) lgkmcnt(0)
	v_mul_f16_e32 v3, s1, v3
	v_fmac_f16_e32 v3, s0, v10
	flat_store_short v[13:14], v3 offset:32
	flat_load_ushort v3, v[11:12] offset:64
	s_waitcnt vmcnt(0) lgkmcnt(0)
	v_mul_f16_e32 v3, s1, v3
	v_fmac_f16_e32 v3, s0, v6
	v_add_co_u32 v6, vcc_lo, v15, s2
	v_add_co_ci_u32_e64 v7, null, s3, v16, vcc_lo
	flat_store_short v[13:14], v3 offset:64
	flat_load_ushort v3, v[11:12] offset:96
	v_add_co_u32 v6, vcc_lo, v6, v0
	v_add_co_ci_u32_e64 v7, null, v7, v1, vcc_lo
	s_waitcnt vmcnt(0) lgkmcnt(0)
	v_mul_f16_e32 v3, s1, v3
	v_fmac_f16_e32 v3, s0, v9
	v_add_co_u32 v9, vcc_lo, v17, s4
	v_add_co_ci_u32_e64 v10, null, s5, v18, vcc_lo
	flat_store_short v[13:14], v3 offset:96
	flat_load_ushort v3, v[6:7]
	v_add_co_u32 v0, vcc_lo, v9, v0
	v_add_co_ci_u32_e64 v1, null, v10, v1, vcc_lo
	s_waitcnt vmcnt(0) lgkmcnt(0)
	v_mul_f16_e32 v3, s1, v3
	v_fmac_f16_e32 v3, s0, v5
	flat_store_short v[0:1], v3
	flat_load_ushort v3, v[6:7] offset:32
	s_waitcnt vmcnt(0) lgkmcnt(0)
	v_mul_f16_e32 v3, s1, v3
	v_fmac_f16_e32 v3, s0, v8
	flat_store_short v[0:1], v3 offset:32
	flat_load_ushort v3, v[6:7] offset:64
	s_waitcnt vmcnt(0) lgkmcnt(0)
	v_mul_f16_e32 v3, s1, v3
	v_fmac_f16_e32 v3, s0, v4
	flat_store_short v[0:1], v3 offset:64
	;; [unrolled: 5-line block ×3, first 2 shown]
.LBB155_7:
	s_endpgm
.LBB155_8:
	s_branch .LBB155_6
	.section	.rodata,"a",@progbits
	.p2align	6, 0x0
	.amdhsa_kernel _ZN12_GLOBAL__N_127rocblas_gemm_batched_kernelIDF16_Li16ELi16ELi64ELi64ELi4ELi64ELi4ELi4ELi64ELc84ELc67EKPKDF16_S3_KPDF16_EEvlllT_PT11_llS8_llS6_PT12_llPT13_lli
		.amdhsa_group_segment_fixed_size 1024
		.amdhsa_private_segment_fixed_size 0
		.amdhsa_kernarg_size 140
		.amdhsa_user_sgpr_count 6
		.amdhsa_user_sgpr_private_segment_buffer 1
		.amdhsa_user_sgpr_dispatch_ptr 0
		.amdhsa_user_sgpr_queue_ptr 0
		.amdhsa_user_sgpr_kernarg_segment_ptr 1
		.amdhsa_user_sgpr_dispatch_id 0
		.amdhsa_user_sgpr_flat_scratch_init 0
		.amdhsa_user_sgpr_private_segment_size 0
		.amdhsa_wavefront_size32 1
		.amdhsa_uses_dynamic_stack 0
		.amdhsa_system_sgpr_private_segment_wavefront_offset 0
		.amdhsa_system_sgpr_workgroup_id_x 1
		.amdhsa_system_sgpr_workgroup_id_y 1
		.amdhsa_system_sgpr_workgroup_id_z 1
		.amdhsa_system_sgpr_workgroup_info 0
		.amdhsa_system_vgpr_workitem_id 1
		.amdhsa_next_free_vgpr 36
		.amdhsa_next_free_sgpr 36
		.amdhsa_reserve_vcc 1
		.amdhsa_reserve_flat_scratch 0
		.amdhsa_float_round_mode_32 0
		.amdhsa_float_round_mode_16_64 0
		.amdhsa_float_denorm_mode_32 3
		.amdhsa_float_denorm_mode_16_64 3
		.amdhsa_dx10_clamp 1
		.amdhsa_ieee_mode 1
		.amdhsa_fp16_overflow 0
		.amdhsa_workgroup_processor_mode 1
		.amdhsa_memory_ordered 1
		.amdhsa_forward_progress 1
		.amdhsa_shared_vgpr_count 0
		.amdhsa_exception_fp_ieee_invalid_op 0
		.amdhsa_exception_fp_denorm_src 0
		.amdhsa_exception_fp_ieee_div_zero 0
		.amdhsa_exception_fp_ieee_overflow 0
		.amdhsa_exception_fp_ieee_underflow 0
		.amdhsa_exception_fp_ieee_inexact 0
		.amdhsa_exception_int_div_zero 0
	.end_amdhsa_kernel
	.section	.text._ZN12_GLOBAL__N_127rocblas_gemm_batched_kernelIDF16_Li16ELi16ELi64ELi64ELi4ELi64ELi4ELi4ELi64ELc84ELc67EKPKDF16_S3_KPDF16_EEvlllT_PT11_llS8_llS6_PT12_llPT13_lli,"axG",@progbits,_ZN12_GLOBAL__N_127rocblas_gemm_batched_kernelIDF16_Li16ELi16ELi64ELi64ELi4ELi64ELi4ELi4ELi64ELc84ELc67EKPKDF16_S3_KPDF16_EEvlllT_PT11_llS8_llS6_PT12_llPT13_lli,comdat
.Lfunc_end155:
	.size	_ZN12_GLOBAL__N_127rocblas_gemm_batched_kernelIDF16_Li16ELi16ELi64ELi64ELi4ELi64ELi4ELi4ELi64ELc84ELc67EKPKDF16_S3_KPDF16_EEvlllT_PT11_llS8_llS6_PT12_llPT13_lli, .Lfunc_end155-_ZN12_GLOBAL__N_127rocblas_gemm_batched_kernelIDF16_Li16ELi16ELi64ELi64ELi4ELi64ELi4ELi4ELi64ELc84ELc67EKPKDF16_S3_KPDF16_EEvlllT_PT11_llS8_llS6_PT12_llPT13_lli
                                        ; -- End function
	.set _ZN12_GLOBAL__N_127rocblas_gemm_batched_kernelIDF16_Li16ELi16ELi64ELi64ELi4ELi64ELi4ELi4ELi64ELc84ELc67EKPKDF16_S3_KPDF16_EEvlllT_PT11_llS8_llS6_PT12_llPT13_lli.num_vgpr, 36
	.set _ZN12_GLOBAL__N_127rocblas_gemm_batched_kernelIDF16_Li16ELi16ELi64ELi64ELi4ELi64ELi4ELi4ELi64ELc84ELc67EKPKDF16_S3_KPDF16_EEvlllT_PT11_llS8_llS6_PT12_llPT13_lli.num_agpr, 0
	.set _ZN12_GLOBAL__N_127rocblas_gemm_batched_kernelIDF16_Li16ELi16ELi64ELi64ELi4ELi64ELi4ELi4ELi64ELc84ELc67EKPKDF16_S3_KPDF16_EEvlllT_PT11_llS8_llS6_PT12_llPT13_lli.numbered_sgpr, 36
	.set _ZN12_GLOBAL__N_127rocblas_gemm_batched_kernelIDF16_Li16ELi16ELi64ELi64ELi4ELi64ELi4ELi4ELi64ELc84ELc67EKPKDF16_S3_KPDF16_EEvlllT_PT11_llS8_llS6_PT12_llPT13_lli.num_named_barrier, 0
	.set _ZN12_GLOBAL__N_127rocblas_gemm_batched_kernelIDF16_Li16ELi16ELi64ELi64ELi4ELi64ELi4ELi4ELi64ELc84ELc67EKPKDF16_S3_KPDF16_EEvlllT_PT11_llS8_llS6_PT12_llPT13_lli.private_seg_size, 0
	.set _ZN12_GLOBAL__N_127rocblas_gemm_batched_kernelIDF16_Li16ELi16ELi64ELi64ELi4ELi64ELi4ELi4ELi64ELc84ELc67EKPKDF16_S3_KPDF16_EEvlllT_PT11_llS8_llS6_PT12_llPT13_lli.uses_vcc, 1
	.set _ZN12_GLOBAL__N_127rocblas_gemm_batched_kernelIDF16_Li16ELi16ELi64ELi64ELi4ELi64ELi4ELi4ELi64ELc84ELc67EKPKDF16_S3_KPDF16_EEvlllT_PT11_llS8_llS6_PT12_llPT13_lli.uses_flat_scratch, 0
	.set _ZN12_GLOBAL__N_127rocblas_gemm_batched_kernelIDF16_Li16ELi16ELi64ELi64ELi4ELi64ELi4ELi4ELi64ELc84ELc67EKPKDF16_S3_KPDF16_EEvlllT_PT11_llS8_llS6_PT12_llPT13_lli.has_dyn_sized_stack, 0
	.set _ZN12_GLOBAL__N_127rocblas_gemm_batched_kernelIDF16_Li16ELi16ELi64ELi64ELi4ELi64ELi4ELi4ELi64ELc84ELc67EKPKDF16_S3_KPDF16_EEvlllT_PT11_llS8_llS6_PT12_llPT13_lli.has_recursion, 0
	.set _ZN12_GLOBAL__N_127rocblas_gemm_batched_kernelIDF16_Li16ELi16ELi64ELi64ELi4ELi64ELi4ELi4ELi64ELc84ELc67EKPKDF16_S3_KPDF16_EEvlllT_PT11_llS8_llS6_PT12_llPT13_lli.has_indirect_call, 0
	.section	.AMDGPU.csdata,"",@progbits
; Kernel info:
; codeLenInByte = 2384
; TotalNumSgprs: 38
; NumVgprs: 36
; ScratchSize: 0
; MemoryBound: 0
; FloatMode: 240
; IeeeMode: 1
; LDSByteSize: 1024 bytes/workgroup (compile time only)
; SGPRBlocks: 0
; VGPRBlocks: 4
; NumSGPRsForWavesPerEU: 38
; NumVGPRsForWavesPerEU: 36
; Occupancy: 16
; WaveLimiterHint : 1
; COMPUTE_PGM_RSRC2:SCRATCH_EN: 0
; COMPUTE_PGM_RSRC2:USER_SGPR: 6
; COMPUTE_PGM_RSRC2:TRAP_HANDLER: 0
; COMPUTE_PGM_RSRC2:TGID_X_EN: 1
; COMPUTE_PGM_RSRC2:TGID_Y_EN: 1
; COMPUTE_PGM_RSRC2:TGID_Z_EN: 1
; COMPUTE_PGM_RSRC2:TIDIG_COMP_CNT: 1
	.section	.text._ZN12_GLOBAL__N_127rocblas_gemm_batched_kernelIDF16_Li16ELi16ELi32ELi32ELi8ELi32ELi8ELi8ELi32ELc78ELc78EKPKDF16_S3_KPDF16_EEvlllT_PT11_llS8_llS6_PT12_llPT13_lli,"axG",@progbits,_ZN12_GLOBAL__N_127rocblas_gemm_batched_kernelIDF16_Li16ELi16ELi32ELi32ELi8ELi32ELi8ELi8ELi32ELc78ELc78EKPKDF16_S3_KPDF16_EEvlllT_PT11_llS8_llS6_PT12_llPT13_lli,comdat
	.globl	_ZN12_GLOBAL__N_127rocblas_gemm_batched_kernelIDF16_Li16ELi16ELi32ELi32ELi8ELi32ELi8ELi8ELi32ELc78ELc78EKPKDF16_S3_KPDF16_EEvlllT_PT11_llS8_llS6_PT12_llPT13_lli ; -- Begin function _ZN12_GLOBAL__N_127rocblas_gemm_batched_kernelIDF16_Li16ELi16ELi32ELi32ELi8ELi32ELi8ELi8ELi32ELc78ELc78EKPKDF16_S3_KPDF16_EEvlllT_PT11_llS8_llS6_PT12_llPT13_lli
	.p2align	8
	.type	_ZN12_GLOBAL__N_127rocblas_gemm_batched_kernelIDF16_Li16ELi16ELi32ELi32ELi8ELi32ELi8ELi8ELi32ELc78ELc78EKPKDF16_S3_KPDF16_EEvlllT_PT11_llS8_llS6_PT12_llPT13_lli,@function
_ZN12_GLOBAL__N_127rocblas_gemm_batched_kernelIDF16_Li16ELi16ELi32ELi32ELi8ELi32ELi8ELi8ELi32ELc78ELc78EKPKDF16_S3_KPDF16_EEvlllT_PT11_llS8_llS6_PT12_llPT13_lli: ; @_ZN12_GLOBAL__N_127rocblas_gemm_batched_kernelIDF16_Li16ELi16ELi32ELi32ELi8ELi32ELi8ELi8ELi32ELc78ELc78EKPKDF16_S3_KPDF16_EEvlllT_PT11_llS8_llS6_PT12_llPT13_lli
; %bb.0:
	s_clause 0x1
	s_load_dwordx8 s[12:19], s[4:5], 0x58
	s_load_dwordx2 s[28:29], s[4:5], 0x10
	s_mov_b32 s9, 0
	s_mov_b32 s0, s7
	s_lshl_b64 s[34:35], s[8:9], 3
	s_load_dwordx4 s[8:11], s[4:5], 0x78
	s_waitcnt lgkmcnt(0)
	s_add_u32 s2, s12, s34
	s_addc_u32 s3, s13, s35
	s_add_u32 s18, s18, s34
	s_addc_u32 s19, s19, s35
	s_load_dwordx2 s[12:13], s[2:3], 0x0
	s_load_dwordx2 s[18:19], s[18:19], 0x0
	v_cmp_lt_i64_e64 s2, s[28:29], 1
	s_ashr_i32 s7, s6, 31
	s_ashr_i32 s1, s0, 31
	s_lshl_b64 s[6:7], s[6:7], 5
	s_lshl_b64 s[30:31], s[0:1], 5
	s_and_b32 vcc_lo, exec_lo, s2
	s_cbranch_vccnz .LBB156_3
; %bb.1:
	v_lshlrev_b32_e32 v2, 4, v1
	s_clause 0x1
	s_load_dwordx4 s[0:3], s[4:5], 0x40
	s_load_dwordx8 s[20:27], s[4:5], 0x20
	v_and_b32_e32 v4, 7, v0
	v_lshlrev_b32_e32 v8, 1, v0
	v_add_nc_u32_e32 v3, v2, v0
	v_add_nc_u32_e32 v9, 0x200, v2
	v_lshlrev_b32_e32 v7, 1, v4
	v_lshrrev_b32_e32 v5, 3, v3
	v_and_b32_e32 v12, 31, v3
	v_lshrrev_b32_e32 v13, 5, v3
	v_add_co_u32 v4, s33, v5, s30
	v_add_co_ci_u32_e64 v6, null, 0, s31, s33
	v_lshl_or_b32 v14, v5, 4, v7
	v_lshlrev_b32_e32 v10, 1, v12
	s_waitcnt lgkmcnt(0)
	v_mul_lo_u32 v11, s1, v4
	v_mul_lo_u32 v6, s0, v6
	v_mad_u64_u32 v[2:3], null, s0, v4, 0
	s_add_u32 s0, s20, s34
	v_mad_u64_u32 v[4:5], null, s22, v13, s[6:7]
	s_addc_u32 s1, s21, s35
	s_add_u32 s20, s26, s34
	s_addc_u32 s21, s27, s35
	v_add3_u32 v3, v3, v6, v11
	s_load_dwordx2 s[20:21], s[20:21], 0x0
	s_load_dwordx2 s[0:1], s[0:1], 0x0
	v_mad_u64_u32 v[5:6], null, s23, v13, v[5:6]
	v_lshlrev_b64 v[2:3], 1, v[2:3]
	s_lshl_b64 s[2:3], s[2:3], 1
	v_lshl_or_b32 v10, v13, 6, v10
	v_add_nc_u32_e32 v11, 0x200, v14
	v_add_co_u32 v6, vcc_lo, v2, s2
	v_add_co_ci_u32_e64 v13, null, s3, v3, vcc_lo
	v_add_co_u32 v2, vcc_lo, v4, v12
	v_add_co_ci_u32_e64 v3, null, 0, v5, vcc_lo
	;; [unrolled: 2-line block ×3, first 2 shown]
	v_lshlrev_b64 v[4:5], 1, v[2:3]
	s_lshl_b64 s[2:3], s[24:25], 1
	s_waitcnt lgkmcnt(0)
	v_add_co_u32 v2, vcc_lo, s20, v6
	s_add_u32 s0, s0, s2
	v_add_co_ci_u32_e64 v3, null, s21, v7, vcc_lo
	s_addc_u32 s1, s1, s3
	v_add_co_u32 v4, vcc_lo, s0, v4
	v_add_co_ci_u32_e64 v5, null, s1, v5, vcc_lo
	v_mov_b32_e32 v6, 0
	v_mov_b32_e32 v7, 0
	s_lshl_b64 s[2:3], s[22:23], 4
	s_mov_b64 s[20:21], 0
.LBB156_2:                              ; =>This Inner Loop Header: Depth=1
	flat_load_ushort v12, v[4:5]
	s_add_u32 s20, s20, 8
	s_addc_u32 s21, s21, 0
	v_add_co_u32 v4, vcc_lo, v4, s2
	v_cmp_lt_i64_e64 s0, s[20:21], s[28:29]
	v_add_co_ci_u32_e64 v5, null, s3, v5, vcc_lo
	s_and_b32 vcc_lo, exec_lo, s0
	s_waitcnt vmcnt(0) lgkmcnt(0)
	ds_write_b16 v10, v12
	flat_load_ushort v12, v[2:3]
	v_add_co_u32 v2, s0, v2, 16
	v_add_co_ci_u32_e64 v3, null, 0, v3, s0
	s_waitcnt vmcnt(0) lgkmcnt(0)
	ds_write_b16 v11, v12
	s_waitcnt lgkmcnt(0)
	s_barrier
	buffer_gl0_inv
	ds_read_u16 v20, v8 offset:32
	ds_read_u16 v21, v8 offset:96
	;; [unrolled: 1-line block ×3, first 2 shown]
	ds_read_b128 v[12:15], v9
	ds_read_b128 v[16:19], v9 offset:256
	ds_read_u16 v23, v8 offset:224
	ds_read_u16 v24, v8 offset:288
	;; [unrolled: 1-line block ×5, first 2 shown]
	s_waitcnt lgkmcnt(9)
	ds_read_u16_d16_hi v20, v8
	s_waitcnt lgkmcnt(9)
	ds_read_u16_d16_hi v21, v8 offset:64
	s_waitcnt lgkmcnt(9)
	ds_read_u16_d16_hi v22, v8 offset:128
	;; [unrolled: 2-line block ×7, first 2 shown]
	s_waitcnt lgkmcnt(0)
	s_barrier
	buffer_gl0_inv
	v_pk_fma_f16 v7, v20, v12, v7 op_sel_hi:[1,0,1]
	v_pk_fma_f16 v6, v20, v16, v6 op_sel_hi:[1,0,1]
	v_pk_fma_f16 v7, v21, v12, v7 op_sel:[0,1,0]
	v_pk_fma_f16 v6, v21, v16, v6 op_sel:[0,1,0]
	v_pk_fma_f16 v7, v22, v13, v7 op_sel_hi:[1,0,1]
	v_pk_fma_f16 v6, v22, v17, v6 op_sel_hi:[1,0,1]
	v_pk_fma_f16 v7, v23, v13, v7 op_sel:[0,1,0]
	v_pk_fma_f16 v6, v23, v17, v6 op_sel:[0,1,0]
	v_pk_fma_f16 v7, v24, v14, v7 op_sel_hi:[1,0,1]
	v_pk_fma_f16 v6, v24, v18, v6 op_sel_hi:[1,0,1]
	v_pk_fma_f16 v7, v25, v14, v7 op_sel:[0,1,0]
	v_pk_fma_f16 v6, v25, v18, v6 op_sel:[0,1,0]
	v_pk_fma_f16 v7, v26, v15, v7 op_sel_hi:[1,0,1]
	v_pk_fma_f16 v6, v26, v19, v6 op_sel_hi:[1,0,1]
	v_pk_fma_f16 v7, v27, v15, v7 op_sel:[0,1,0]
	v_pk_fma_f16 v6, v27, v19, v6 op_sel:[0,1,0]
	s_cbranch_vccnz .LBB156_2
	s_branch .LBB156_4
.LBB156_3:
	v_mov_b32_e32 v7, 0
	v_mov_b32_e32 v6, 0
.LBB156_4:
	s_clause 0x1
	s_load_dword s1, s[4:5], 0x50
	s_load_dword s0, s[4:5], 0x18
	v_add_co_u32 v3, s4, s30, v1
	v_add_co_ci_u32_e64 v9, null, s31, 0, s4
	v_add_co_u32 v0, s4, s6, v0
	v_add_co_ci_u32_e64 v1, null, s7, 0, s4
	v_mul_lo_u32 v5, v9, s8
	v_mul_lo_u32 v8, v3, s9
	s_lshl_b64 s[2:3], s[10:11], 1
	v_lshlrev_b64 v[0:1], 1, v[0:1]
	v_lshrrev_b32_e32 v4, 16, v7
	v_lshrrev_b32_e32 v2, 16, v6
	s_waitcnt lgkmcnt(0)
	s_add_u32 s2, s18, s2
	s_addc_u32 s3, s19, s3
	v_cmp_neq_f16_e64 s4, s1, 0
	s_and_b32 vcc_lo, exec_lo, s4
	s_mov_b32 s4, 0
	s_cbranch_vccnz .LBB156_8
; %bb.5:
	v_mad_u64_u32 v[10:11], null, v3, s8, 0
	s_lshl_b64 s[6:7], s[8:9], 5
	v_mul_f16_sdwa v14, s0, v7 dst_sel:DWORD dst_unused:UNUSED_PAD src0_sel:DWORD src1_sel:WORD_1
	v_mul_f16_e32 v15, s0, v7
	v_mul_f16_sdwa v16, s0, v6 dst_sel:DWORD dst_unused:UNUSED_PAD src0_sel:DWORD src1_sel:WORD_1
	v_mul_f16_e32 v17, s0, v6
	v_add3_u32 v11, v11, v8, v5
	v_lshlrev_b64 v[10:11], 1, v[10:11]
	v_add_co_u32 v10, vcc_lo, s2, v10
	v_add_co_ci_u32_e64 v11, null, s3, v11, vcc_lo
	v_add_co_u32 v12, vcc_lo, v10, s6
	v_add_co_ci_u32_e64 v13, null, s7, v11, vcc_lo
	;; [unrolled: 2-line block ×4, first 2 shown]
	flat_store_short v[10:11], v14
	flat_store_short v[10:11], v15 offset:32
	flat_store_short v[12:13], v16
	flat_store_short v[12:13], v17 offset:32
	s_andn2_b32 vcc_lo, exec_lo, s4
	s_cbranch_vccnz .LBB156_7
.LBB156_6:
	v_mul_lo_u32 v11, v9, s14
	v_mul_lo_u32 v12, v3, s15
	v_mad_u64_u32 v[9:10], null, v3, s14, 0
	s_lshl_b64 s[4:5], s[16:17], 1
	s_add_u32 s4, s12, s4
	s_addc_u32 s5, s13, s5
	v_add3_u32 v10, v10, v12, v11
	v_mad_u64_u32 v[11:12], null, v3, s8, 0
	v_lshlrev_b64 v[9:10], 1, v[9:10]
	v_add3_u32 v12, v12, v8, v5
	v_add_co_u32 v13, vcc_lo, s4, v9
	v_add_co_ci_u32_e64 v14, null, s5, v10, vcc_lo
	v_lshlrev_b64 v[11:12], 1, v[11:12]
	v_add_co_u32 v9, vcc_lo, v13, v0
	v_add_co_ci_u32_e64 v10, null, v14, v1, vcc_lo
	v_add_co_u32 v5, vcc_lo, s2, v11
	flat_load_ushort v15, v[9:10]
	v_add_co_ci_u32_e64 v8, null, s3, v12, vcc_lo
	v_add_co_u32 v11, vcc_lo, v5, v0
	s_lshl_b64 s[2:3], s[14:15], 5
	v_add_co_ci_u32_e64 v12, null, v8, v1, vcc_lo
	s_waitcnt vmcnt(0) lgkmcnt(0)
	v_mul_f16_e32 v3, s1, v15
	v_fmac_f16_e32 v3, s0, v4
	flat_store_short v[11:12], v3
	flat_load_ushort v3, v[9:10] offset:32
	s_waitcnt vmcnt(0) lgkmcnt(0)
	v_mul_f16_e32 v9, s1, v3
	v_add_co_u32 v3, vcc_lo, v13, s2
	v_add_co_ci_u32_e64 v4, null, s3, v14, vcc_lo
	v_fmac_f16_e32 v9, s0, v7
	v_add_co_u32 v3, vcc_lo, v3, v0
	v_add_co_ci_u32_e64 v4, null, v4, v1, vcc_lo
	flat_store_short v[11:12], v9 offset:32
	s_lshl_b64 s[2:3], s[8:9], 5
	flat_load_ushort v7, v[3:4]
	v_add_co_u32 v5, vcc_lo, v5, s2
	v_add_co_ci_u32_e64 v8, null, s3, v8, vcc_lo
	v_add_co_u32 v0, vcc_lo, v5, v0
	v_add_co_ci_u32_e64 v1, null, v8, v1, vcc_lo
	s_waitcnt vmcnt(0) lgkmcnt(0)
	v_mul_f16_e32 v7, s1, v7
	v_fmac_f16_e32 v7, s0, v2
	flat_store_short v[0:1], v7
	flat_load_ushort v2, v[3:4] offset:32
	s_waitcnt vmcnt(0) lgkmcnt(0)
	v_mul_f16_e32 v2, s1, v2
	v_fmac_f16_e32 v2, s0, v6
	flat_store_short v[0:1], v2 offset:32
.LBB156_7:
	s_endpgm
.LBB156_8:
	s_branch .LBB156_6
	.section	.rodata,"a",@progbits
	.p2align	6, 0x0
	.amdhsa_kernel _ZN12_GLOBAL__N_127rocblas_gemm_batched_kernelIDF16_Li16ELi16ELi32ELi32ELi8ELi32ELi8ELi8ELi32ELc78ELc78EKPKDF16_S3_KPDF16_EEvlllT_PT11_llS8_llS6_PT12_llPT13_lli
		.amdhsa_group_segment_fixed_size 1024
		.amdhsa_private_segment_fixed_size 0
		.amdhsa_kernarg_size 140
		.amdhsa_user_sgpr_count 6
		.amdhsa_user_sgpr_private_segment_buffer 1
		.amdhsa_user_sgpr_dispatch_ptr 0
		.amdhsa_user_sgpr_queue_ptr 0
		.amdhsa_user_sgpr_kernarg_segment_ptr 1
		.amdhsa_user_sgpr_dispatch_id 0
		.amdhsa_user_sgpr_flat_scratch_init 0
		.amdhsa_user_sgpr_private_segment_size 0
		.amdhsa_wavefront_size32 1
		.amdhsa_uses_dynamic_stack 0
		.amdhsa_system_sgpr_private_segment_wavefront_offset 0
		.amdhsa_system_sgpr_workgroup_id_x 1
		.amdhsa_system_sgpr_workgroup_id_y 1
		.amdhsa_system_sgpr_workgroup_id_z 1
		.amdhsa_system_sgpr_workgroup_info 0
		.amdhsa_system_vgpr_workitem_id 1
		.amdhsa_next_free_vgpr 28
		.amdhsa_next_free_sgpr 36
		.amdhsa_reserve_vcc 1
		.amdhsa_reserve_flat_scratch 0
		.amdhsa_float_round_mode_32 0
		.amdhsa_float_round_mode_16_64 0
		.amdhsa_float_denorm_mode_32 3
		.amdhsa_float_denorm_mode_16_64 3
		.amdhsa_dx10_clamp 1
		.amdhsa_ieee_mode 1
		.amdhsa_fp16_overflow 0
		.amdhsa_workgroup_processor_mode 1
		.amdhsa_memory_ordered 1
		.amdhsa_forward_progress 1
		.amdhsa_shared_vgpr_count 0
		.amdhsa_exception_fp_ieee_invalid_op 0
		.amdhsa_exception_fp_denorm_src 0
		.amdhsa_exception_fp_ieee_div_zero 0
		.amdhsa_exception_fp_ieee_overflow 0
		.amdhsa_exception_fp_ieee_underflow 0
		.amdhsa_exception_fp_ieee_inexact 0
		.amdhsa_exception_int_div_zero 0
	.end_amdhsa_kernel
	.section	.text._ZN12_GLOBAL__N_127rocblas_gemm_batched_kernelIDF16_Li16ELi16ELi32ELi32ELi8ELi32ELi8ELi8ELi32ELc78ELc78EKPKDF16_S3_KPDF16_EEvlllT_PT11_llS8_llS6_PT12_llPT13_lli,"axG",@progbits,_ZN12_GLOBAL__N_127rocblas_gemm_batched_kernelIDF16_Li16ELi16ELi32ELi32ELi8ELi32ELi8ELi8ELi32ELc78ELc78EKPKDF16_S3_KPDF16_EEvlllT_PT11_llS8_llS6_PT12_llPT13_lli,comdat
.Lfunc_end156:
	.size	_ZN12_GLOBAL__N_127rocblas_gemm_batched_kernelIDF16_Li16ELi16ELi32ELi32ELi8ELi32ELi8ELi8ELi32ELc78ELc78EKPKDF16_S3_KPDF16_EEvlllT_PT11_llS8_llS6_PT12_llPT13_lli, .Lfunc_end156-_ZN12_GLOBAL__N_127rocblas_gemm_batched_kernelIDF16_Li16ELi16ELi32ELi32ELi8ELi32ELi8ELi8ELi32ELc78ELc78EKPKDF16_S3_KPDF16_EEvlllT_PT11_llS8_llS6_PT12_llPT13_lli
                                        ; -- End function
	.set _ZN12_GLOBAL__N_127rocblas_gemm_batched_kernelIDF16_Li16ELi16ELi32ELi32ELi8ELi32ELi8ELi8ELi32ELc78ELc78EKPKDF16_S3_KPDF16_EEvlllT_PT11_llS8_llS6_PT12_llPT13_lli.num_vgpr, 28
	.set _ZN12_GLOBAL__N_127rocblas_gemm_batched_kernelIDF16_Li16ELi16ELi32ELi32ELi8ELi32ELi8ELi8ELi32ELc78ELc78EKPKDF16_S3_KPDF16_EEvlllT_PT11_llS8_llS6_PT12_llPT13_lli.num_agpr, 0
	.set _ZN12_GLOBAL__N_127rocblas_gemm_batched_kernelIDF16_Li16ELi16ELi32ELi32ELi8ELi32ELi8ELi8ELi32ELc78ELc78EKPKDF16_S3_KPDF16_EEvlllT_PT11_llS8_llS6_PT12_llPT13_lli.numbered_sgpr, 36
	.set _ZN12_GLOBAL__N_127rocblas_gemm_batched_kernelIDF16_Li16ELi16ELi32ELi32ELi8ELi32ELi8ELi8ELi32ELc78ELc78EKPKDF16_S3_KPDF16_EEvlllT_PT11_llS8_llS6_PT12_llPT13_lli.num_named_barrier, 0
	.set _ZN12_GLOBAL__N_127rocblas_gemm_batched_kernelIDF16_Li16ELi16ELi32ELi32ELi8ELi32ELi8ELi8ELi32ELc78ELc78EKPKDF16_S3_KPDF16_EEvlllT_PT11_llS8_llS6_PT12_llPT13_lli.private_seg_size, 0
	.set _ZN12_GLOBAL__N_127rocblas_gemm_batched_kernelIDF16_Li16ELi16ELi32ELi32ELi8ELi32ELi8ELi8ELi32ELc78ELc78EKPKDF16_S3_KPDF16_EEvlllT_PT11_llS8_llS6_PT12_llPT13_lli.uses_vcc, 1
	.set _ZN12_GLOBAL__N_127rocblas_gemm_batched_kernelIDF16_Li16ELi16ELi32ELi32ELi8ELi32ELi8ELi8ELi32ELc78ELc78EKPKDF16_S3_KPDF16_EEvlllT_PT11_llS8_llS6_PT12_llPT13_lli.uses_flat_scratch, 0
	.set _ZN12_GLOBAL__N_127rocblas_gemm_batched_kernelIDF16_Li16ELi16ELi32ELi32ELi8ELi32ELi8ELi8ELi32ELc78ELc78EKPKDF16_S3_KPDF16_EEvlllT_PT11_llS8_llS6_PT12_llPT13_lli.has_dyn_sized_stack, 0
	.set _ZN12_GLOBAL__N_127rocblas_gemm_batched_kernelIDF16_Li16ELi16ELi32ELi32ELi8ELi32ELi8ELi8ELi32ELc78ELc78EKPKDF16_S3_KPDF16_EEvlllT_PT11_llS8_llS6_PT12_llPT13_lli.has_recursion, 0
	.set _ZN12_GLOBAL__N_127rocblas_gemm_batched_kernelIDF16_Li16ELi16ELi32ELi32ELi8ELi32ELi8ELi8ELi32ELc78ELc78EKPKDF16_S3_KPDF16_EEvlllT_PT11_llS8_llS6_PT12_llPT13_lli.has_indirect_call, 0
	.section	.AMDGPU.csdata,"",@progbits
; Kernel info:
; codeLenInByte = 1480
; TotalNumSgprs: 38
; NumVgprs: 28
; ScratchSize: 0
; MemoryBound: 0
; FloatMode: 240
; IeeeMode: 1
; LDSByteSize: 1024 bytes/workgroup (compile time only)
; SGPRBlocks: 0
; VGPRBlocks: 3
; NumSGPRsForWavesPerEU: 38
; NumVGPRsForWavesPerEU: 28
; Occupancy: 16
; WaveLimiterHint : 1
; COMPUTE_PGM_RSRC2:SCRATCH_EN: 0
; COMPUTE_PGM_RSRC2:USER_SGPR: 6
; COMPUTE_PGM_RSRC2:TRAP_HANDLER: 0
; COMPUTE_PGM_RSRC2:TGID_X_EN: 1
; COMPUTE_PGM_RSRC2:TGID_Y_EN: 1
; COMPUTE_PGM_RSRC2:TGID_Z_EN: 1
; COMPUTE_PGM_RSRC2:TIDIG_COMP_CNT: 1
	.section	.text._ZN12_GLOBAL__N_127rocblas_gemm_batched_kernelIDF16_Li16ELi16ELi32ELi32ELi8ELi32ELi8ELi8ELi32ELc84ELc78EKPKDF16_S3_KPDF16_EEvlllT_PT11_llS8_llS6_PT12_llPT13_lli,"axG",@progbits,_ZN12_GLOBAL__N_127rocblas_gemm_batched_kernelIDF16_Li16ELi16ELi32ELi32ELi8ELi32ELi8ELi8ELi32ELc84ELc78EKPKDF16_S3_KPDF16_EEvlllT_PT11_llS8_llS6_PT12_llPT13_lli,comdat
	.globl	_ZN12_GLOBAL__N_127rocblas_gemm_batched_kernelIDF16_Li16ELi16ELi32ELi32ELi8ELi32ELi8ELi8ELi32ELc84ELc78EKPKDF16_S3_KPDF16_EEvlllT_PT11_llS8_llS6_PT12_llPT13_lli ; -- Begin function _ZN12_GLOBAL__N_127rocblas_gemm_batched_kernelIDF16_Li16ELi16ELi32ELi32ELi8ELi32ELi8ELi8ELi32ELc84ELc78EKPKDF16_S3_KPDF16_EEvlllT_PT11_llS8_llS6_PT12_llPT13_lli
	.p2align	8
	.type	_ZN12_GLOBAL__N_127rocblas_gemm_batched_kernelIDF16_Li16ELi16ELi32ELi32ELi8ELi32ELi8ELi8ELi32ELc84ELc78EKPKDF16_S3_KPDF16_EEvlllT_PT11_llS8_llS6_PT12_llPT13_lli,@function
_ZN12_GLOBAL__N_127rocblas_gemm_batched_kernelIDF16_Li16ELi16ELi32ELi32ELi8ELi32ELi8ELi8ELi32ELc84ELc78EKPKDF16_S3_KPDF16_EEvlllT_PT11_llS8_llS6_PT12_llPT13_lli: ; @_ZN12_GLOBAL__N_127rocblas_gemm_batched_kernelIDF16_Li16ELi16ELi32ELi32ELi8ELi32ELi8ELi8ELi32ELc84ELc78EKPKDF16_S3_KPDF16_EEvlllT_PT11_llS8_llS6_PT12_llPT13_lli
; %bb.0:
	s_clause 0x1
	s_load_dwordx8 s[12:19], s[4:5], 0x58
	s_load_dwordx2 s[28:29], s[4:5], 0x10
	s_mov_b32 s9, 0
	s_mov_b32 s0, s7
	s_lshl_b64 s[34:35], s[8:9], 3
	s_load_dwordx4 s[8:11], s[4:5], 0x78
	s_waitcnt lgkmcnt(0)
	s_add_u32 s2, s12, s34
	s_addc_u32 s3, s13, s35
	s_add_u32 s18, s18, s34
	s_addc_u32 s19, s19, s35
	s_load_dwordx2 s[12:13], s[2:3], 0x0
	s_load_dwordx2 s[18:19], s[18:19], 0x0
	v_cmp_lt_i64_e64 s2, s[28:29], 1
	s_ashr_i32 s7, s6, 31
	s_ashr_i32 s1, s0, 31
	s_lshl_b64 s[6:7], s[6:7], 5
	s_lshl_b64 s[30:31], s[0:1], 5
	s_and_b32 vcc_lo, exec_lo, s2
	s_cbranch_vccnz .LBB157_3
; %bb.1:
	v_lshlrev_b32_e32 v6, 4, v1
	s_clause 0x1
	s_load_dwordx8 s[20:27], s[4:5], 0x20
	s_load_dwordx4 s[0:3], s[4:5], 0x40
	v_and_b32_e32 v3, 7, v0
	v_add_nc_u32_e32 v2, v6, v0
	v_lshlrev_b32_e32 v12, 1, v3
	v_lshrrev_b32_e32 v7, 3, v2
	v_and_b32_e32 v8, 31, v2
	v_lshrrev_b32_e32 v13, 5, v2
	v_add_co_u32 v2, s33, v7, s30
	v_add_co_ci_u32_e64 v3, null, 0, s31, s33
	v_add_co_u32 v4, s33, s6, v8
	v_add_co_ci_u32_e64 v5, null, s7, 0, s33
	s_waitcnt lgkmcnt(0)
	v_mul_lo_u32 v9, s1, v2
	v_mul_lo_u32 v10, s0, v3
	v_mad_u64_u32 v[2:3], null, s0, v2, 0
	v_mul_lo_u32 v11, s23, v4
	v_mul_lo_u32 v14, s22, v5
	v_mad_u64_u32 v[4:5], null, s22, v4, 0
	s_add_u32 s20, s20, s34
	s_addc_u32 s21, s21, s35
	s_add_u32 s26, s26, s34
	v_add3_u32 v3, v3, v10, v9
	s_addc_u32 s27, s27, s35
	s_load_dwordx2 s[20:21], s[20:21], 0x0
	s_load_dwordx2 s[0:1], s[26:27], 0x0
	v_add3_u32 v5, v5, v14, v11
	v_lshlrev_b64 v[2:3], 1, v[2:3]
	s_lshl_b64 s[2:3], s[2:3], 1
	v_add_nc_u32_e32 v11, 0x200, v6
	v_lshlrev_b32_e32 v6, 1, v13
	v_lshlrev_b64 v[4:5], 1, v[4:5]
	v_lshlrev_b32_e32 v8, 1, v8
	v_add_co_u32 v2, vcc_lo, v2, s2
	v_add_co_ci_u32_e64 v3, null, s3, v3, vcc_lo
	s_lshl_b64 s[2:3], s[24:25], 1
	v_lshl_or_b32 v7, v7, 4, v12
	v_add_co_u32 v4, vcc_lo, v4, s2
	v_add_co_ci_u32_e64 v5, null, s3, v5, vcc_lo
	v_add_co_u32 v2, vcc_lo, v2, v12
	v_add_co_ci_u32_e64 v3, null, 0, v3, vcc_lo
	v_add_co_u32 v4, vcc_lo, v4, v6
	v_add_co_ci_u32_e64 v5, null, 0, v5, vcc_lo
	s_waitcnt lgkmcnt(0)
	v_add_co_u32 v2, vcc_lo, s0, v2
	v_add_co_ci_u32_e64 v3, null, s1, v3, vcc_lo
	v_add_co_u32 v4, vcc_lo, s20, v4
	v_lshl_or_b32 v8, v13, 6, v8
	v_add_nc_u32_e32 v9, 0x200, v7
	v_lshlrev_b32_e32 v10, 1, v0
	v_add_co_ci_u32_e64 v5, null, s21, v5, vcc_lo
	v_mov_b32_e32 v6, 0
	v_mov_b32_e32 v7, 0
	s_mov_b64 s[2:3], 0
.LBB157_2:                              ; =>This Inner Loop Header: Depth=1
	flat_load_ushort v12, v[4:5]
	s_add_u32 s2, s2, 8
	s_addc_u32 s3, s3, 0
	v_add_co_u32 v4, vcc_lo, v4, 16
	v_cmp_lt_i64_e64 s0, s[2:3], s[28:29]
	v_add_co_ci_u32_e64 v5, null, 0, v5, vcc_lo
	s_and_b32 vcc_lo, exec_lo, s0
	s_waitcnt vmcnt(0) lgkmcnt(0)
	ds_write_b16 v8, v12
	flat_load_ushort v12, v[2:3]
	v_add_co_u32 v2, s0, v2, 16
	v_add_co_ci_u32_e64 v3, null, 0, v3, s0
	s_waitcnt vmcnt(0) lgkmcnt(0)
	ds_write_b16 v9, v12
	s_waitcnt lgkmcnt(0)
	s_barrier
	buffer_gl0_inv
	ds_read_u16 v20, v10 offset:32
	ds_read_u16 v21, v10 offset:96
	;; [unrolled: 1-line block ×3, first 2 shown]
	ds_read_b128 v[12:15], v11
	ds_read_b128 v[16:19], v11 offset:256
	ds_read_u16 v23, v10 offset:224
	ds_read_u16 v24, v10 offset:288
	;; [unrolled: 1-line block ×5, first 2 shown]
	s_waitcnt lgkmcnt(9)
	ds_read_u16_d16_hi v20, v10
	s_waitcnt lgkmcnt(9)
	ds_read_u16_d16_hi v21, v10 offset:64
	s_waitcnt lgkmcnt(9)
	ds_read_u16_d16_hi v22, v10 offset:128
	;; [unrolled: 2-line block ×7, first 2 shown]
	s_waitcnt lgkmcnt(0)
	s_barrier
	buffer_gl0_inv
	v_pk_fma_f16 v7, v20, v12, v7 op_sel_hi:[1,0,1]
	v_pk_fma_f16 v6, v20, v16, v6 op_sel_hi:[1,0,1]
	v_pk_fma_f16 v7, v21, v12, v7 op_sel:[0,1,0]
	v_pk_fma_f16 v6, v21, v16, v6 op_sel:[0,1,0]
	v_pk_fma_f16 v7, v22, v13, v7 op_sel_hi:[1,0,1]
	v_pk_fma_f16 v6, v22, v17, v6 op_sel_hi:[1,0,1]
	v_pk_fma_f16 v7, v23, v13, v7 op_sel:[0,1,0]
	v_pk_fma_f16 v6, v23, v17, v6 op_sel:[0,1,0]
	v_pk_fma_f16 v7, v24, v14, v7 op_sel_hi:[1,0,1]
	v_pk_fma_f16 v6, v24, v18, v6 op_sel_hi:[1,0,1]
	v_pk_fma_f16 v7, v25, v14, v7 op_sel:[0,1,0]
	v_pk_fma_f16 v6, v25, v18, v6 op_sel:[0,1,0]
	v_pk_fma_f16 v7, v26, v15, v7 op_sel_hi:[1,0,1]
	v_pk_fma_f16 v6, v26, v19, v6 op_sel_hi:[1,0,1]
	v_pk_fma_f16 v7, v27, v15, v7 op_sel:[0,1,0]
	v_pk_fma_f16 v6, v27, v19, v6 op_sel:[0,1,0]
	s_cbranch_vccnz .LBB157_2
	s_branch .LBB157_4
.LBB157_3:
	v_mov_b32_e32 v7, 0
	v_mov_b32_e32 v6, 0
.LBB157_4:
	s_clause 0x1
	s_load_dword s1, s[4:5], 0x50
	s_load_dword s0, s[4:5], 0x18
	v_add_co_u32 v3, s4, s30, v1
	v_add_co_ci_u32_e64 v9, null, s31, 0, s4
	v_add_co_u32 v0, s4, s6, v0
	v_add_co_ci_u32_e64 v1, null, s7, 0, s4
	v_mul_lo_u32 v5, v9, s8
	v_mul_lo_u32 v8, v3, s9
	s_lshl_b64 s[2:3], s[10:11], 1
	v_lshlrev_b64 v[0:1], 1, v[0:1]
	v_lshrrev_b32_e32 v4, 16, v7
	v_lshrrev_b32_e32 v2, 16, v6
	s_waitcnt lgkmcnt(0)
	s_add_u32 s2, s18, s2
	s_addc_u32 s3, s19, s3
	v_cmp_neq_f16_e64 s4, s1, 0
	s_and_b32 vcc_lo, exec_lo, s4
	s_mov_b32 s4, 0
	s_cbranch_vccnz .LBB157_8
; %bb.5:
	v_mad_u64_u32 v[10:11], null, v3, s8, 0
	s_lshl_b64 s[6:7], s[8:9], 5
	v_mul_f16_sdwa v14, s0, v7 dst_sel:DWORD dst_unused:UNUSED_PAD src0_sel:DWORD src1_sel:WORD_1
	v_mul_f16_e32 v15, s0, v7
	v_mul_f16_sdwa v16, s0, v6 dst_sel:DWORD dst_unused:UNUSED_PAD src0_sel:DWORD src1_sel:WORD_1
	v_mul_f16_e32 v17, s0, v6
	v_add3_u32 v11, v11, v8, v5
	v_lshlrev_b64 v[10:11], 1, v[10:11]
	v_add_co_u32 v10, vcc_lo, s2, v10
	v_add_co_ci_u32_e64 v11, null, s3, v11, vcc_lo
	v_add_co_u32 v12, vcc_lo, v10, s6
	v_add_co_ci_u32_e64 v13, null, s7, v11, vcc_lo
	;; [unrolled: 2-line block ×4, first 2 shown]
	flat_store_short v[10:11], v14
	flat_store_short v[10:11], v15 offset:32
	flat_store_short v[12:13], v16
	flat_store_short v[12:13], v17 offset:32
	s_andn2_b32 vcc_lo, exec_lo, s4
	s_cbranch_vccnz .LBB157_7
.LBB157_6:
	v_mul_lo_u32 v11, v9, s14
	v_mul_lo_u32 v12, v3, s15
	v_mad_u64_u32 v[9:10], null, v3, s14, 0
	s_lshl_b64 s[4:5], s[16:17], 1
	s_add_u32 s4, s12, s4
	s_addc_u32 s5, s13, s5
	v_add3_u32 v10, v10, v12, v11
	v_mad_u64_u32 v[11:12], null, v3, s8, 0
	v_lshlrev_b64 v[9:10], 1, v[9:10]
	v_add3_u32 v12, v12, v8, v5
	v_add_co_u32 v13, vcc_lo, s4, v9
	v_add_co_ci_u32_e64 v14, null, s5, v10, vcc_lo
	v_lshlrev_b64 v[11:12], 1, v[11:12]
	v_add_co_u32 v9, vcc_lo, v13, v0
	v_add_co_ci_u32_e64 v10, null, v14, v1, vcc_lo
	v_add_co_u32 v5, vcc_lo, s2, v11
	flat_load_ushort v15, v[9:10]
	v_add_co_ci_u32_e64 v8, null, s3, v12, vcc_lo
	v_add_co_u32 v11, vcc_lo, v5, v0
	s_lshl_b64 s[2:3], s[14:15], 5
	v_add_co_ci_u32_e64 v12, null, v8, v1, vcc_lo
	s_waitcnt vmcnt(0) lgkmcnt(0)
	v_mul_f16_e32 v3, s1, v15
	v_fmac_f16_e32 v3, s0, v4
	flat_store_short v[11:12], v3
	flat_load_ushort v3, v[9:10] offset:32
	s_waitcnt vmcnt(0) lgkmcnt(0)
	v_mul_f16_e32 v9, s1, v3
	v_add_co_u32 v3, vcc_lo, v13, s2
	v_add_co_ci_u32_e64 v4, null, s3, v14, vcc_lo
	v_fmac_f16_e32 v9, s0, v7
	v_add_co_u32 v3, vcc_lo, v3, v0
	v_add_co_ci_u32_e64 v4, null, v4, v1, vcc_lo
	flat_store_short v[11:12], v9 offset:32
	s_lshl_b64 s[2:3], s[8:9], 5
	flat_load_ushort v7, v[3:4]
	v_add_co_u32 v5, vcc_lo, v5, s2
	v_add_co_ci_u32_e64 v8, null, s3, v8, vcc_lo
	v_add_co_u32 v0, vcc_lo, v5, v0
	v_add_co_ci_u32_e64 v1, null, v8, v1, vcc_lo
	s_waitcnt vmcnt(0) lgkmcnt(0)
	v_mul_f16_e32 v7, s1, v7
	v_fmac_f16_e32 v7, s0, v2
	flat_store_short v[0:1], v7
	flat_load_ushort v2, v[3:4] offset:32
	s_waitcnt vmcnt(0) lgkmcnt(0)
	v_mul_f16_e32 v2, s1, v2
	v_fmac_f16_e32 v2, s0, v6
	flat_store_short v[0:1], v2 offset:32
.LBB157_7:
	s_endpgm
.LBB157_8:
	s_branch .LBB157_6
	.section	.rodata,"a",@progbits
	.p2align	6, 0x0
	.amdhsa_kernel _ZN12_GLOBAL__N_127rocblas_gemm_batched_kernelIDF16_Li16ELi16ELi32ELi32ELi8ELi32ELi8ELi8ELi32ELc84ELc78EKPKDF16_S3_KPDF16_EEvlllT_PT11_llS8_llS6_PT12_llPT13_lli
		.amdhsa_group_segment_fixed_size 1024
		.amdhsa_private_segment_fixed_size 0
		.amdhsa_kernarg_size 140
		.amdhsa_user_sgpr_count 6
		.amdhsa_user_sgpr_private_segment_buffer 1
		.amdhsa_user_sgpr_dispatch_ptr 0
		.amdhsa_user_sgpr_queue_ptr 0
		.amdhsa_user_sgpr_kernarg_segment_ptr 1
		.amdhsa_user_sgpr_dispatch_id 0
		.amdhsa_user_sgpr_flat_scratch_init 0
		.amdhsa_user_sgpr_private_segment_size 0
		.amdhsa_wavefront_size32 1
		.amdhsa_uses_dynamic_stack 0
		.amdhsa_system_sgpr_private_segment_wavefront_offset 0
		.amdhsa_system_sgpr_workgroup_id_x 1
		.amdhsa_system_sgpr_workgroup_id_y 1
		.amdhsa_system_sgpr_workgroup_id_z 1
		.amdhsa_system_sgpr_workgroup_info 0
		.amdhsa_system_vgpr_workitem_id 1
		.amdhsa_next_free_vgpr 28
		.amdhsa_next_free_sgpr 36
		.amdhsa_reserve_vcc 1
		.amdhsa_reserve_flat_scratch 0
		.amdhsa_float_round_mode_32 0
		.amdhsa_float_round_mode_16_64 0
		.amdhsa_float_denorm_mode_32 3
		.amdhsa_float_denorm_mode_16_64 3
		.amdhsa_dx10_clamp 1
		.amdhsa_ieee_mode 1
		.amdhsa_fp16_overflow 0
		.amdhsa_workgroup_processor_mode 1
		.amdhsa_memory_ordered 1
		.amdhsa_forward_progress 1
		.amdhsa_shared_vgpr_count 0
		.amdhsa_exception_fp_ieee_invalid_op 0
		.amdhsa_exception_fp_denorm_src 0
		.amdhsa_exception_fp_ieee_div_zero 0
		.amdhsa_exception_fp_ieee_overflow 0
		.amdhsa_exception_fp_ieee_underflow 0
		.amdhsa_exception_fp_ieee_inexact 0
		.amdhsa_exception_int_div_zero 0
	.end_amdhsa_kernel
	.section	.text._ZN12_GLOBAL__N_127rocblas_gemm_batched_kernelIDF16_Li16ELi16ELi32ELi32ELi8ELi32ELi8ELi8ELi32ELc84ELc78EKPKDF16_S3_KPDF16_EEvlllT_PT11_llS8_llS6_PT12_llPT13_lli,"axG",@progbits,_ZN12_GLOBAL__N_127rocblas_gemm_batched_kernelIDF16_Li16ELi16ELi32ELi32ELi8ELi32ELi8ELi8ELi32ELc84ELc78EKPKDF16_S3_KPDF16_EEvlllT_PT11_llS8_llS6_PT12_llPT13_lli,comdat
.Lfunc_end157:
	.size	_ZN12_GLOBAL__N_127rocblas_gemm_batched_kernelIDF16_Li16ELi16ELi32ELi32ELi8ELi32ELi8ELi8ELi32ELc84ELc78EKPKDF16_S3_KPDF16_EEvlllT_PT11_llS8_llS6_PT12_llPT13_lli, .Lfunc_end157-_ZN12_GLOBAL__N_127rocblas_gemm_batched_kernelIDF16_Li16ELi16ELi32ELi32ELi8ELi32ELi8ELi8ELi32ELc84ELc78EKPKDF16_S3_KPDF16_EEvlllT_PT11_llS8_llS6_PT12_llPT13_lli
                                        ; -- End function
	.set _ZN12_GLOBAL__N_127rocblas_gemm_batched_kernelIDF16_Li16ELi16ELi32ELi32ELi8ELi32ELi8ELi8ELi32ELc84ELc78EKPKDF16_S3_KPDF16_EEvlllT_PT11_llS8_llS6_PT12_llPT13_lli.num_vgpr, 28
	.set _ZN12_GLOBAL__N_127rocblas_gemm_batched_kernelIDF16_Li16ELi16ELi32ELi32ELi8ELi32ELi8ELi8ELi32ELc84ELc78EKPKDF16_S3_KPDF16_EEvlllT_PT11_llS8_llS6_PT12_llPT13_lli.num_agpr, 0
	.set _ZN12_GLOBAL__N_127rocblas_gemm_batched_kernelIDF16_Li16ELi16ELi32ELi32ELi8ELi32ELi8ELi8ELi32ELc84ELc78EKPKDF16_S3_KPDF16_EEvlllT_PT11_llS8_llS6_PT12_llPT13_lli.numbered_sgpr, 36
	.set _ZN12_GLOBAL__N_127rocblas_gemm_batched_kernelIDF16_Li16ELi16ELi32ELi32ELi8ELi32ELi8ELi8ELi32ELc84ELc78EKPKDF16_S3_KPDF16_EEvlllT_PT11_llS8_llS6_PT12_llPT13_lli.num_named_barrier, 0
	.set _ZN12_GLOBAL__N_127rocblas_gemm_batched_kernelIDF16_Li16ELi16ELi32ELi32ELi8ELi32ELi8ELi8ELi32ELc84ELc78EKPKDF16_S3_KPDF16_EEvlllT_PT11_llS8_llS6_PT12_llPT13_lli.private_seg_size, 0
	.set _ZN12_GLOBAL__N_127rocblas_gemm_batched_kernelIDF16_Li16ELi16ELi32ELi32ELi8ELi32ELi8ELi8ELi32ELc84ELc78EKPKDF16_S3_KPDF16_EEvlllT_PT11_llS8_llS6_PT12_llPT13_lli.uses_vcc, 1
	.set _ZN12_GLOBAL__N_127rocblas_gemm_batched_kernelIDF16_Li16ELi16ELi32ELi32ELi8ELi32ELi8ELi8ELi32ELc84ELc78EKPKDF16_S3_KPDF16_EEvlllT_PT11_llS8_llS6_PT12_llPT13_lli.uses_flat_scratch, 0
	.set _ZN12_GLOBAL__N_127rocblas_gemm_batched_kernelIDF16_Li16ELi16ELi32ELi32ELi8ELi32ELi8ELi8ELi32ELc84ELc78EKPKDF16_S3_KPDF16_EEvlllT_PT11_llS8_llS6_PT12_llPT13_lli.has_dyn_sized_stack, 0
	.set _ZN12_GLOBAL__N_127rocblas_gemm_batched_kernelIDF16_Li16ELi16ELi32ELi32ELi8ELi32ELi8ELi8ELi32ELc84ELc78EKPKDF16_S3_KPDF16_EEvlllT_PT11_llS8_llS6_PT12_llPT13_lli.has_recursion, 0
	.set _ZN12_GLOBAL__N_127rocblas_gemm_batched_kernelIDF16_Li16ELi16ELi32ELi32ELi8ELi32ELi8ELi8ELi32ELc84ELc78EKPKDF16_S3_KPDF16_EEvlllT_PT11_llS8_llS6_PT12_llPT13_lli.has_indirect_call, 0
	.section	.AMDGPU.csdata,"",@progbits
; Kernel info:
; codeLenInByte = 1520
; TotalNumSgprs: 38
; NumVgprs: 28
; ScratchSize: 0
; MemoryBound: 0
; FloatMode: 240
; IeeeMode: 1
; LDSByteSize: 1024 bytes/workgroup (compile time only)
; SGPRBlocks: 0
; VGPRBlocks: 3
; NumSGPRsForWavesPerEU: 38
; NumVGPRsForWavesPerEU: 28
; Occupancy: 16
; WaveLimiterHint : 1
; COMPUTE_PGM_RSRC2:SCRATCH_EN: 0
; COMPUTE_PGM_RSRC2:USER_SGPR: 6
; COMPUTE_PGM_RSRC2:TRAP_HANDLER: 0
; COMPUTE_PGM_RSRC2:TGID_X_EN: 1
; COMPUTE_PGM_RSRC2:TGID_Y_EN: 1
; COMPUTE_PGM_RSRC2:TGID_Z_EN: 1
; COMPUTE_PGM_RSRC2:TIDIG_COMP_CNT: 1
	.section	.text._ZN12_GLOBAL__N_127rocblas_gemm_batched_kernelIDF16_Li16ELi16ELi32ELi32ELi8ELi32ELi8ELi8ELi32ELc78ELc84EKPKDF16_S3_KPDF16_EEvlllT_PT11_llS8_llS6_PT12_llPT13_lli,"axG",@progbits,_ZN12_GLOBAL__N_127rocblas_gemm_batched_kernelIDF16_Li16ELi16ELi32ELi32ELi8ELi32ELi8ELi8ELi32ELc78ELc84EKPKDF16_S3_KPDF16_EEvlllT_PT11_llS8_llS6_PT12_llPT13_lli,comdat
	.globl	_ZN12_GLOBAL__N_127rocblas_gemm_batched_kernelIDF16_Li16ELi16ELi32ELi32ELi8ELi32ELi8ELi8ELi32ELc78ELc84EKPKDF16_S3_KPDF16_EEvlllT_PT11_llS8_llS6_PT12_llPT13_lli ; -- Begin function _ZN12_GLOBAL__N_127rocblas_gemm_batched_kernelIDF16_Li16ELi16ELi32ELi32ELi8ELi32ELi8ELi8ELi32ELc78ELc84EKPKDF16_S3_KPDF16_EEvlllT_PT11_llS8_llS6_PT12_llPT13_lli
	.p2align	8
	.type	_ZN12_GLOBAL__N_127rocblas_gemm_batched_kernelIDF16_Li16ELi16ELi32ELi32ELi8ELi32ELi8ELi8ELi32ELc78ELc84EKPKDF16_S3_KPDF16_EEvlllT_PT11_llS8_llS6_PT12_llPT13_lli,@function
_ZN12_GLOBAL__N_127rocblas_gemm_batched_kernelIDF16_Li16ELi16ELi32ELi32ELi8ELi32ELi8ELi8ELi32ELc78ELc84EKPKDF16_S3_KPDF16_EEvlllT_PT11_llS8_llS6_PT12_llPT13_lli: ; @_ZN12_GLOBAL__N_127rocblas_gemm_batched_kernelIDF16_Li16ELi16ELi32ELi32ELi8ELi32ELi8ELi8ELi32ELc78ELc84EKPKDF16_S3_KPDF16_EEvlllT_PT11_llS8_llS6_PT12_llPT13_lli
; %bb.0:
	s_clause 0x1
	s_load_dwordx8 s[12:19], s[4:5], 0x58
	s_load_dwordx2 s[28:29], s[4:5], 0x10
	s_mov_b32 s9, 0
	s_mov_b32 s0, s7
	s_lshl_b64 s[34:35], s[8:9], 3
	s_load_dwordx4 s[8:11], s[4:5], 0x78
	v_mov_b32_e32 v3, 0
	s_waitcnt lgkmcnt(0)
	s_add_u32 s2, s12, s34
	s_addc_u32 s3, s13, s35
	s_add_u32 s18, s18, s34
	s_addc_u32 s19, s19, s35
	s_load_dwordx2 s[12:13], s[2:3], 0x0
	s_load_dwordx2 s[18:19], s[18:19], 0x0
	v_cmp_lt_i64_e64 s2, s[28:29], 1
	s_ashr_i32 s7, s6, 31
	s_ashr_i32 s1, s0, 31
	s_lshl_b64 s[6:7], s[6:7], 5
	s_lshl_b64 s[30:31], s[0:1], 5
	s_and_b32 vcc_lo, exec_lo, s2
	s_cbranch_vccnz .LBB158_3
; %bb.1:
	s_clause 0x1
	s_load_dwordx8 s[20:27], s[4:5], 0x20
	s_load_dwordx4 s[0:3], s[4:5], 0x40
	v_lshlrev_b32_e32 v9, 4, v1
	v_and_b32_e32 v11, 7, v0
	v_lshlrev_b32_e32 v8, 1, v0
	v_add_nc_u32_e32 v4, v9, v0
	v_lshlrev_b32_e32 v10, 1, v11
	v_add_nc_u32_e32 v9, 0x200, v9
	v_lshrrev_b32_e32 v2, 3, v4
	v_lshrrev_b32_e32 v14, 5, v4
	v_and_b32_e32 v15, 31, v4
	v_lshl_or_b32 v16, v2, 4, v10
	v_lshlrev_b32_e32 v12, 1, v15
	s_waitcnt lgkmcnt(0)
	v_mad_u64_u32 v[6:7], null, s22, v14, s[6:7]
	v_mad_u64_u32 v[4:5], null, s0, v11, v[2:3]
	s_add_u32 s20, s20, s34
	s_addc_u32 s21, s21, s35
	s_add_u32 s26, s26, s34
	s_addc_u32 s27, s27, s35
	s_load_dwordx2 s[20:21], s[20:21], 0x0
	s_load_dwordx2 s[26:27], s[26:27], 0x0
	v_mov_b32_e32 v2, v5
	v_mov_b32_e32 v5, v7
	v_lshl_or_b32 v10, v14, 6, v12
	v_add_co_u32 v4, vcc_lo, v4, s30
	v_mad_u64_u32 v[12:13], null, s1, v11, v[2:3]
	v_mad_u64_u32 v[13:14], null, s23, v14, v[5:6]
	s_lshl_b64 s[2:3], s[2:3], 1
	v_add_nc_u32_e32 v11, 0x200, v16
	v_mov_b32_e32 v2, 0
	v_add_co_ci_u32_e64 v5, null, s31, v12, vcc_lo
	v_add_co_u32 v6, vcc_lo, v6, v15
	v_add_co_ci_u32_e64 v7, null, 0, v13, vcc_lo
	v_lshlrev_b64 v[4:5], 1, v[4:5]
	s_waitcnt lgkmcnt(0)
	s_add_u32 s26, s26, s2
	s_addc_u32 s27, s27, s3
	v_lshlrev_b64 v[6:7], 1, v[6:7]
	s_lshl_b64 s[2:3], s[0:1], 4
	s_lshl_b64 s[0:1], s[24:25], 1
	v_add_co_u32 v4, vcc_lo, s26, v4
	s_add_u32 s0, s20, s0
	s_addc_u32 s1, s21, s1
	v_add_co_ci_u32_e64 v5, null, s27, v5, vcc_lo
	v_add_co_u32 v6, vcc_lo, s0, v6
	v_add_co_ci_u32_e64 v7, null, s1, v7, vcc_lo
	s_lshl_b64 s[20:21], s[22:23], 4
	s_mov_b64 s[22:23], 0
.LBB158_2:                              ; =>This Inner Loop Header: Depth=1
	flat_load_ushort v12, v[6:7]
	s_add_u32 s22, s22, 8
	s_addc_u32 s23, s23, 0
	v_add_co_u32 v6, vcc_lo, v6, s20
	v_cmp_lt_i64_e64 s0, s[22:23], s[28:29]
	v_add_co_ci_u32_e64 v7, null, s21, v7, vcc_lo
	s_and_b32 vcc_lo, exec_lo, s0
	s_waitcnt vmcnt(0) lgkmcnt(0)
	ds_write_b16 v10, v12
	flat_load_ushort v12, v[4:5]
	v_add_co_u32 v4, s0, v4, s2
	v_add_co_ci_u32_e64 v5, null, s3, v5, s0
	s_waitcnt vmcnt(0) lgkmcnt(0)
	ds_write_b16 v11, v12
	s_waitcnt lgkmcnt(0)
	s_barrier
	buffer_gl0_inv
	ds_read_u16 v20, v8 offset:32
	ds_read_u16 v21, v8 offset:96
	;; [unrolled: 1-line block ×3, first 2 shown]
	ds_read_b128 v[12:15], v9
	ds_read_b128 v[16:19], v9 offset:256
	ds_read_u16 v23, v8 offset:224
	ds_read_u16 v24, v8 offset:288
	;; [unrolled: 1-line block ×5, first 2 shown]
	s_waitcnt lgkmcnt(9)
	ds_read_u16_d16_hi v20, v8
	s_waitcnt lgkmcnt(9)
	ds_read_u16_d16_hi v21, v8 offset:64
	s_waitcnt lgkmcnt(9)
	ds_read_u16_d16_hi v22, v8 offset:128
	;; [unrolled: 2-line block ×7, first 2 shown]
	s_waitcnt lgkmcnt(0)
	s_barrier
	buffer_gl0_inv
	v_pk_fma_f16 v3, v20, v12, v3 op_sel_hi:[1,0,1]
	v_pk_fma_f16 v2, v20, v16, v2 op_sel_hi:[1,0,1]
	v_pk_fma_f16 v3, v21, v12, v3 op_sel:[0,1,0]
	v_pk_fma_f16 v2, v21, v16, v2 op_sel:[0,1,0]
	v_pk_fma_f16 v3, v22, v13, v3 op_sel_hi:[1,0,1]
	v_pk_fma_f16 v2, v22, v17, v2 op_sel_hi:[1,0,1]
	v_pk_fma_f16 v3, v23, v13, v3 op_sel:[0,1,0]
	v_pk_fma_f16 v2, v23, v17, v2 op_sel:[0,1,0]
	;; [unrolled: 4-line block ×4, first 2 shown]
	s_cbranch_vccnz .LBB158_2
	s_branch .LBB158_4
.LBB158_3:
	v_mov_b32_e32 v2, 0
.LBB158_4:
	s_clause 0x1
	s_load_dword s1, s[4:5], 0x50
	s_load_dword s0, s[4:5], 0x18
	v_add_co_u32 v5, s4, s30, v1
	v_add_co_ci_u32_e64 v9, null, s31, 0, s4
	v_add_co_u32 v0, s4, s6, v0
	v_add_co_ci_u32_e64 v1, null, s7, 0, s4
	v_mul_lo_u32 v7, v9, s8
	v_mul_lo_u32 v8, v5, s9
	s_lshl_b64 s[2:3], s[10:11], 1
	v_lshlrev_b64 v[0:1], 1, v[0:1]
	v_lshrrev_b32_e32 v6, 16, v3
	v_lshrrev_b32_e32 v4, 16, v2
	s_waitcnt lgkmcnt(0)
	s_add_u32 s2, s18, s2
	s_addc_u32 s3, s19, s3
	v_cmp_neq_f16_e64 s4, s1, 0
	s_and_b32 vcc_lo, exec_lo, s4
	s_mov_b32 s4, 0
	s_cbranch_vccnz .LBB158_8
; %bb.5:
	v_mad_u64_u32 v[10:11], null, v5, s8, 0
	s_lshl_b64 s[6:7], s[8:9], 5
	v_mul_f16_sdwa v14, s0, v3 dst_sel:DWORD dst_unused:UNUSED_PAD src0_sel:DWORD src1_sel:WORD_1
	v_mul_f16_e32 v15, s0, v3
	v_mul_f16_sdwa v16, s0, v2 dst_sel:DWORD dst_unused:UNUSED_PAD src0_sel:DWORD src1_sel:WORD_1
	v_mul_f16_e32 v17, s0, v2
	v_add3_u32 v11, v11, v8, v7
	v_lshlrev_b64 v[10:11], 1, v[10:11]
	v_add_co_u32 v10, vcc_lo, s2, v10
	v_add_co_ci_u32_e64 v11, null, s3, v11, vcc_lo
	v_add_co_u32 v12, vcc_lo, v10, s6
	v_add_co_ci_u32_e64 v13, null, s7, v11, vcc_lo
	;; [unrolled: 2-line block ×4, first 2 shown]
	flat_store_short v[10:11], v14
	flat_store_short v[10:11], v15 offset:32
	flat_store_short v[12:13], v16
	flat_store_short v[12:13], v17 offset:32
	s_andn2_b32 vcc_lo, exec_lo, s4
	s_cbranch_vccnz .LBB158_7
.LBB158_6:
	v_mul_lo_u32 v11, v9, s14
	v_mul_lo_u32 v12, v5, s15
	v_mad_u64_u32 v[9:10], null, v5, s14, 0
	s_lshl_b64 s[4:5], s[16:17], 1
	s_add_u32 s4, s12, s4
	s_addc_u32 s5, s13, s5
	v_add3_u32 v10, v10, v12, v11
	v_mad_u64_u32 v[11:12], null, v5, s8, 0
	v_lshlrev_b64 v[9:10], 1, v[9:10]
	v_add3_u32 v12, v12, v8, v7
	v_add_co_u32 v13, vcc_lo, s4, v9
	v_add_co_ci_u32_e64 v14, null, s5, v10, vcc_lo
	v_lshlrev_b64 v[7:8], 1, v[11:12]
	v_add_co_u32 v9, vcc_lo, v13, v0
	v_add_co_ci_u32_e64 v10, null, v14, v1, vcc_lo
	v_add_co_u32 v11, vcc_lo, s2, v7
	flat_load_ushort v15, v[9:10]
	v_add_co_ci_u32_e64 v12, null, s3, v8, vcc_lo
	v_add_co_u32 v7, vcc_lo, v11, v0
	s_lshl_b64 s[2:3], s[14:15], 5
	v_add_co_ci_u32_e64 v8, null, v12, v1, vcc_lo
	s_waitcnt vmcnt(0) lgkmcnt(0)
	v_mul_f16_e32 v5, s1, v15
	v_fmac_f16_e32 v5, s0, v6
	flat_store_short v[7:8], v5
	flat_load_ushort v5, v[9:10] offset:32
	s_waitcnt vmcnt(0) lgkmcnt(0)
	v_mul_f16_e32 v9, s1, v5
	v_add_co_u32 v5, vcc_lo, v13, s2
	v_add_co_ci_u32_e64 v6, null, s3, v14, vcc_lo
	v_fmac_f16_e32 v9, s0, v3
	v_add_co_u32 v5, vcc_lo, v5, v0
	v_add_co_ci_u32_e64 v6, null, v6, v1, vcc_lo
	flat_store_short v[7:8], v9 offset:32
	s_lshl_b64 s[2:3], s[8:9], 5
	flat_load_ushort v3, v[5:6]
	v_add_co_u32 v7, vcc_lo, v11, s2
	v_add_co_ci_u32_e64 v8, null, s3, v12, vcc_lo
	v_add_co_u32 v0, vcc_lo, v7, v0
	v_add_co_ci_u32_e64 v1, null, v8, v1, vcc_lo
	s_waitcnt vmcnt(0) lgkmcnt(0)
	v_mul_f16_e32 v3, s1, v3
	v_fmac_f16_e32 v3, s0, v4
	flat_store_short v[0:1], v3
	flat_load_ushort v3, v[5:6] offset:32
	s_waitcnt vmcnt(0) lgkmcnt(0)
	v_mul_f16_e32 v3, s1, v3
	v_fmac_f16_e32 v3, s0, v2
	flat_store_short v[0:1], v3 offset:32
.LBB158_7:
	s_endpgm
.LBB158_8:
	s_branch .LBB158_6
	.section	.rodata,"a",@progbits
	.p2align	6, 0x0
	.amdhsa_kernel _ZN12_GLOBAL__N_127rocblas_gemm_batched_kernelIDF16_Li16ELi16ELi32ELi32ELi8ELi32ELi8ELi8ELi32ELc78ELc84EKPKDF16_S3_KPDF16_EEvlllT_PT11_llS8_llS6_PT12_llPT13_lli
		.amdhsa_group_segment_fixed_size 1024
		.amdhsa_private_segment_fixed_size 0
		.amdhsa_kernarg_size 140
		.amdhsa_user_sgpr_count 6
		.amdhsa_user_sgpr_private_segment_buffer 1
		.amdhsa_user_sgpr_dispatch_ptr 0
		.amdhsa_user_sgpr_queue_ptr 0
		.amdhsa_user_sgpr_kernarg_segment_ptr 1
		.amdhsa_user_sgpr_dispatch_id 0
		.amdhsa_user_sgpr_flat_scratch_init 0
		.amdhsa_user_sgpr_private_segment_size 0
		.amdhsa_wavefront_size32 1
		.amdhsa_uses_dynamic_stack 0
		.amdhsa_system_sgpr_private_segment_wavefront_offset 0
		.amdhsa_system_sgpr_workgroup_id_x 1
		.amdhsa_system_sgpr_workgroup_id_y 1
		.amdhsa_system_sgpr_workgroup_id_z 1
		.amdhsa_system_sgpr_workgroup_info 0
		.amdhsa_system_vgpr_workitem_id 1
		.amdhsa_next_free_vgpr 28
		.amdhsa_next_free_sgpr 36
		.amdhsa_reserve_vcc 1
		.amdhsa_reserve_flat_scratch 0
		.amdhsa_float_round_mode_32 0
		.amdhsa_float_round_mode_16_64 0
		.amdhsa_float_denorm_mode_32 3
		.amdhsa_float_denorm_mode_16_64 3
		.amdhsa_dx10_clamp 1
		.amdhsa_ieee_mode 1
		.amdhsa_fp16_overflow 0
		.amdhsa_workgroup_processor_mode 1
		.amdhsa_memory_ordered 1
		.amdhsa_forward_progress 1
		.amdhsa_shared_vgpr_count 0
		.amdhsa_exception_fp_ieee_invalid_op 0
		.amdhsa_exception_fp_denorm_src 0
		.amdhsa_exception_fp_ieee_div_zero 0
		.amdhsa_exception_fp_ieee_overflow 0
		.amdhsa_exception_fp_ieee_underflow 0
		.amdhsa_exception_fp_ieee_inexact 0
		.amdhsa_exception_int_div_zero 0
	.end_amdhsa_kernel
	.section	.text._ZN12_GLOBAL__N_127rocblas_gemm_batched_kernelIDF16_Li16ELi16ELi32ELi32ELi8ELi32ELi8ELi8ELi32ELc78ELc84EKPKDF16_S3_KPDF16_EEvlllT_PT11_llS8_llS6_PT12_llPT13_lli,"axG",@progbits,_ZN12_GLOBAL__N_127rocblas_gemm_batched_kernelIDF16_Li16ELi16ELi32ELi32ELi8ELi32ELi8ELi8ELi32ELc78ELc84EKPKDF16_S3_KPDF16_EEvlllT_PT11_llS8_llS6_PT12_llPT13_lli,comdat
.Lfunc_end158:
	.size	_ZN12_GLOBAL__N_127rocblas_gemm_batched_kernelIDF16_Li16ELi16ELi32ELi32ELi8ELi32ELi8ELi8ELi32ELc78ELc84EKPKDF16_S3_KPDF16_EEvlllT_PT11_llS8_llS6_PT12_llPT13_lli, .Lfunc_end158-_ZN12_GLOBAL__N_127rocblas_gemm_batched_kernelIDF16_Li16ELi16ELi32ELi32ELi8ELi32ELi8ELi8ELi32ELc78ELc84EKPKDF16_S3_KPDF16_EEvlllT_PT11_llS8_llS6_PT12_llPT13_lli
                                        ; -- End function
	.set _ZN12_GLOBAL__N_127rocblas_gemm_batched_kernelIDF16_Li16ELi16ELi32ELi32ELi8ELi32ELi8ELi8ELi32ELc78ELc84EKPKDF16_S3_KPDF16_EEvlllT_PT11_llS8_llS6_PT12_llPT13_lli.num_vgpr, 28
	.set _ZN12_GLOBAL__N_127rocblas_gemm_batched_kernelIDF16_Li16ELi16ELi32ELi32ELi8ELi32ELi8ELi8ELi32ELc78ELc84EKPKDF16_S3_KPDF16_EEvlllT_PT11_llS8_llS6_PT12_llPT13_lli.num_agpr, 0
	.set _ZN12_GLOBAL__N_127rocblas_gemm_batched_kernelIDF16_Li16ELi16ELi32ELi32ELi8ELi32ELi8ELi8ELi32ELc78ELc84EKPKDF16_S3_KPDF16_EEvlllT_PT11_llS8_llS6_PT12_llPT13_lli.numbered_sgpr, 36
	.set _ZN12_GLOBAL__N_127rocblas_gemm_batched_kernelIDF16_Li16ELi16ELi32ELi32ELi8ELi32ELi8ELi8ELi32ELc78ELc84EKPKDF16_S3_KPDF16_EEvlllT_PT11_llS8_llS6_PT12_llPT13_lli.num_named_barrier, 0
	.set _ZN12_GLOBAL__N_127rocblas_gemm_batched_kernelIDF16_Li16ELi16ELi32ELi32ELi8ELi32ELi8ELi8ELi32ELc78ELc84EKPKDF16_S3_KPDF16_EEvlllT_PT11_llS8_llS6_PT12_llPT13_lli.private_seg_size, 0
	.set _ZN12_GLOBAL__N_127rocblas_gemm_batched_kernelIDF16_Li16ELi16ELi32ELi32ELi8ELi32ELi8ELi8ELi32ELc78ELc84EKPKDF16_S3_KPDF16_EEvlllT_PT11_llS8_llS6_PT12_llPT13_lli.uses_vcc, 1
	.set _ZN12_GLOBAL__N_127rocblas_gemm_batched_kernelIDF16_Li16ELi16ELi32ELi32ELi8ELi32ELi8ELi8ELi32ELc78ELc84EKPKDF16_S3_KPDF16_EEvlllT_PT11_llS8_llS6_PT12_llPT13_lli.uses_flat_scratch, 0
	.set _ZN12_GLOBAL__N_127rocblas_gemm_batched_kernelIDF16_Li16ELi16ELi32ELi32ELi8ELi32ELi8ELi8ELi32ELc78ELc84EKPKDF16_S3_KPDF16_EEvlllT_PT11_llS8_llS6_PT12_llPT13_lli.has_dyn_sized_stack, 0
	.set _ZN12_GLOBAL__N_127rocblas_gemm_batched_kernelIDF16_Li16ELi16ELi32ELi32ELi8ELi32ELi8ELi8ELi32ELc78ELc84EKPKDF16_S3_KPDF16_EEvlllT_PT11_llS8_llS6_PT12_llPT13_lli.has_recursion, 0
	.set _ZN12_GLOBAL__N_127rocblas_gemm_batched_kernelIDF16_Li16ELi16ELi32ELi32ELi8ELi32ELi8ELi8ELi32ELc78ELc84EKPKDF16_S3_KPDF16_EEvlllT_PT11_llS8_llS6_PT12_llPT13_lli.has_indirect_call, 0
	.section	.AMDGPU.csdata,"",@progbits
; Kernel info:
; codeLenInByte = 1448
; TotalNumSgprs: 38
; NumVgprs: 28
; ScratchSize: 0
; MemoryBound: 0
; FloatMode: 240
; IeeeMode: 1
; LDSByteSize: 1024 bytes/workgroup (compile time only)
; SGPRBlocks: 0
; VGPRBlocks: 3
; NumSGPRsForWavesPerEU: 38
; NumVGPRsForWavesPerEU: 28
; Occupancy: 16
; WaveLimiterHint : 1
; COMPUTE_PGM_RSRC2:SCRATCH_EN: 0
; COMPUTE_PGM_RSRC2:USER_SGPR: 6
; COMPUTE_PGM_RSRC2:TRAP_HANDLER: 0
; COMPUTE_PGM_RSRC2:TGID_X_EN: 1
; COMPUTE_PGM_RSRC2:TGID_Y_EN: 1
; COMPUTE_PGM_RSRC2:TGID_Z_EN: 1
; COMPUTE_PGM_RSRC2:TIDIG_COMP_CNT: 1
	.section	.text._ZN12_GLOBAL__N_127rocblas_gemm_batched_kernelIDF16_Li16ELi16ELi32ELi32ELi8ELi32ELi8ELi8ELi32ELc84ELc84EKPKDF16_S3_KPDF16_EEvlllT_PT11_llS8_llS6_PT12_llPT13_lli,"axG",@progbits,_ZN12_GLOBAL__N_127rocblas_gemm_batched_kernelIDF16_Li16ELi16ELi32ELi32ELi8ELi32ELi8ELi8ELi32ELc84ELc84EKPKDF16_S3_KPDF16_EEvlllT_PT11_llS8_llS6_PT12_llPT13_lli,comdat
	.globl	_ZN12_GLOBAL__N_127rocblas_gemm_batched_kernelIDF16_Li16ELi16ELi32ELi32ELi8ELi32ELi8ELi8ELi32ELc84ELc84EKPKDF16_S3_KPDF16_EEvlllT_PT11_llS8_llS6_PT12_llPT13_lli ; -- Begin function _ZN12_GLOBAL__N_127rocblas_gemm_batched_kernelIDF16_Li16ELi16ELi32ELi32ELi8ELi32ELi8ELi8ELi32ELc84ELc84EKPKDF16_S3_KPDF16_EEvlllT_PT11_llS8_llS6_PT12_llPT13_lli
	.p2align	8
	.type	_ZN12_GLOBAL__N_127rocblas_gemm_batched_kernelIDF16_Li16ELi16ELi32ELi32ELi8ELi32ELi8ELi8ELi32ELc84ELc84EKPKDF16_S3_KPDF16_EEvlllT_PT11_llS8_llS6_PT12_llPT13_lli,@function
_ZN12_GLOBAL__N_127rocblas_gemm_batched_kernelIDF16_Li16ELi16ELi32ELi32ELi8ELi32ELi8ELi8ELi32ELc84ELc84EKPKDF16_S3_KPDF16_EEvlllT_PT11_llS8_llS6_PT12_llPT13_lli: ; @_ZN12_GLOBAL__N_127rocblas_gemm_batched_kernelIDF16_Li16ELi16ELi32ELi32ELi8ELi32ELi8ELi8ELi32ELc84ELc84EKPKDF16_S3_KPDF16_EEvlllT_PT11_llS8_llS6_PT12_llPT13_lli
; %bb.0:
	s_clause 0x1
	s_load_dwordx8 s[12:19], s[4:5], 0x58
	s_load_dwordx2 s[28:29], s[4:5], 0x10
	s_mov_b32 s9, 0
	s_mov_b32 s0, s7
	s_lshl_b64 s[34:35], s[8:9], 3
	s_load_dwordx4 s[8:11], s[4:5], 0x78
	v_mov_b32_e32 v3, 0
	s_waitcnt lgkmcnt(0)
	s_add_u32 s2, s12, s34
	s_addc_u32 s3, s13, s35
	s_add_u32 s18, s18, s34
	s_addc_u32 s19, s19, s35
	s_load_dwordx2 s[12:13], s[2:3], 0x0
	s_load_dwordx2 s[18:19], s[18:19], 0x0
	v_cmp_lt_i64_e64 s2, s[28:29], 1
	s_ashr_i32 s7, s6, 31
	s_ashr_i32 s1, s0, 31
	s_lshl_b64 s[6:7], s[6:7], 5
	s_lshl_b64 s[30:31], s[0:1], 5
	s_and_b32 vcc_lo, exec_lo, s2
	s_cbranch_vccnz .LBB159_3
; %bb.1:
	s_clause 0x1
	s_load_dwordx8 s[20:27], s[4:5], 0x20
	s_load_dwordx4 s[0:3], s[4:5], 0x40
	v_lshlrev_b32_e32 v9, 4, v1
	v_and_b32_e32 v11, 7, v0
	v_lshlrev_b32_e32 v8, 1, v0
	v_add_nc_u32_e32 v10, v9, v0
	v_lshlrev_b32_e32 v13, 1, v11
	v_add_nc_u32_e32 v9, 0x200, v9
	v_and_b32_e32 v12, 31, v10
	v_lshrrev_b32_e32 v2, 3, v10
	v_lshrrev_b32_e32 v10, 5, v10
	v_add_co_u32 v6, s33, s6, v12
	v_add_co_ci_u32_e64 v7, null, s7, 0, s33
	s_waitcnt lgkmcnt(0)
	s_add_u32 s20, s20, s34
	s_addc_u32 s21, s21, s35
	s_add_u32 s26, s26, s34
	s_addc_u32 s27, s27, s35
	v_mad_u64_u32 v[4:5], null, s0, v11, v[2:3]
	s_load_dwordx2 s[26:27], s[26:27], 0x0
	v_mul_lo_u32 v14, s23, v6
	v_mul_lo_u32 v15, s22, v7
	v_mad_u64_u32 v[6:7], null, s22, v6, 0
	v_lshlrev_b32_e32 v12, 1, v12
	v_lshl_or_b32 v16, v2, 4, v13
	v_mov_b32_e32 v2, v5
	v_lshlrev_b32_e32 v17, 1, v10
	s_load_dwordx2 s[20:21], s[20:21], 0x0
	v_lshl_or_b32 v10, v10, 6, v12
	v_add3_u32 v7, v7, v15, v14
	v_mad_u64_u32 v[12:13], null, s1, v11, v[2:3]
	s_lshl_b64 s[2:3], s[2:3], 1
	v_add_co_u32 v13, vcc_lo, v4, s30
	v_lshlrev_b64 v[5:6], 1, v[6:7]
	v_add_nc_u32_e32 v11, 0x200, v16
	v_add_co_ci_u32_e64 v14, null, s31, v12, vcc_lo
	s_waitcnt lgkmcnt(0)
	s_add_u32 s22, s26, s2
	s_addc_u32 s23, s27, s3
	s_lshl_b64 s[2:3], s[24:25], 1
	v_add_co_u32 v2, vcc_lo, v5, s2
	v_add_co_ci_u32_e64 v6, null, s3, v6, vcc_lo
	v_lshlrev_b64 v[4:5], 1, v[13:14]
	v_add_co_u32 v2, vcc_lo, v2, v17
	v_add_co_ci_u32_e64 v7, null, 0, v6, vcc_lo
	s_lshl_b64 s[2:3], s[0:1], 4
	v_add_co_u32 v4, vcc_lo, s22, v4
	v_add_co_ci_u32_e64 v5, null, s23, v5, vcc_lo
	v_add_co_u32 v6, vcc_lo, s20, v2
	v_add_co_ci_u32_e64 v7, null, s21, v7, vcc_lo
	v_mov_b32_e32 v2, 0
	s_mov_b64 s[20:21], 0
.LBB159_2:                              ; =>This Inner Loop Header: Depth=1
	flat_load_ushort v12, v[6:7]
	s_add_u32 s20, s20, 8
	s_addc_u32 s21, s21, 0
	v_add_co_u32 v6, vcc_lo, v6, 16
	v_cmp_lt_i64_e64 s0, s[20:21], s[28:29]
	v_add_co_ci_u32_e64 v7, null, 0, v7, vcc_lo
	s_and_b32 vcc_lo, exec_lo, s0
	s_waitcnt vmcnt(0) lgkmcnt(0)
	ds_write_b16 v10, v12
	flat_load_ushort v12, v[4:5]
	v_add_co_u32 v4, s0, v4, s2
	v_add_co_ci_u32_e64 v5, null, s3, v5, s0
	s_waitcnt vmcnt(0) lgkmcnt(0)
	ds_write_b16 v11, v12
	s_waitcnt lgkmcnt(0)
	s_barrier
	buffer_gl0_inv
	ds_read_u16 v20, v8 offset:32
	ds_read_u16 v21, v8 offset:96
	;; [unrolled: 1-line block ×3, first 2 shown]
	ds_read_b128 v[12:15], v9
	ds_read_b128 v[16:19], v9 offset:256
	ds_read_u16 v23, v8 offset:224
	ds_read_u16 v24, v8 offset:288
	;; [unrolled: 1-line block ×5, first 2 shown]
	s_waitcnt lgkmcnt(9)
	ds_read_u16_d16_hi v20, v8
	s_waitcnt lgkmcnt(9)
	ds_read_u16_d16_hi v21, v8 offset:64
	s_waitcnt lgkmcnt(9)
	ds_read_u16_d16_hi v22, v8 offset:128
	;; [unrolled: 2-line block ×7, first 2 shown]
	s_waitcnt lgkmcnt(0)
	s_barrier
	buffer_gl0_inv
	v_pk_fma_f16 v3, v20, v12, v3 op_sel_hi:[1,0,1]
	v_pk_fma_f16 v2, v20, v16, v2 op_sel_hi:[1,0,1]
	v_pk_fma_f16 v3, v21, v12, v3 op_sel:[0,1,0]
	v_pk_fma_f16 v2, v21, v16, v2 op_sel:[0,1,0]
	v_pk_fma_f16 v3, v22, v13, v3 op_sel_hi:[1,0,1]
	v_pk_fma_f16 v2, v22, v17, v2 op_sel_hi:[1,0,1]
	v_pk_fma_f16 v3, v23, v13, v3 op_sel:[0,1,0]
	v_pk_fma_f16 v2, v23, v17, v2 op_sel:[0,1,0]
	;; [unrolled: 4-line block ×4, first 2 shown]
	s_cbranch_vccnz .LBB159_2
	s_branch .LBB159_4
.LBB159_3:
	v_mov_b32_e32 v2, 0
.LBB159_4:
	s_clause 0x1
	s_load_dword s1, s[4:5], 0x50
	s_load_dword s0, s[4:5], 0x18
	v_add_co_u32 v5, s4, s30, v1
	v_add_co_ci_u32_e64 v9, null, s31, 0, s4
	v_add_co_u32 v0, s4, s6, v0
	v_add_co_ci_u32_e64 v1, null, s7, 0, s4
	v_mul_lo_u32 v7, v9, s8
	v_mul_lo_u32 v8, v5, s9
	s_lshl_b64 s[2:3], s[10:11], 1
	v_lshlrev_b64 v[0:1], 1, v[0:1]
	v_lshrrev_b32_e32 v6, 16, v3
	v_lshrrev_b32_e32 v4, 16, v2
	s_waitcnt lgkmcnt(0)
	s_add_u32 s2, s18, s2
	s_addc_u32 s3, s19, s3
	v_cmp_neq_f16_e64 s4, s1, 0
	s_and_b32 vcc_lo, exec_lo, s4
	s_mov_b32 s4, 0
	s_cbranch_vccnz .LBB159_8
; %bb.5:
	v_mad_u64_u32 v[10:11], null, v5, s8, 0
	s_lshl_b64 s[6:7], s[8:9], 5
	v_mul_f16_sdwa v14, s0, v3 dst_sel:DWORD dst_unused:UNUSED_PAD src0_sel:DWORD src1_sel:WORD_1
	v_mul_f16_e32 v15, s0, v3
	v_mul_f16_sdwa v16, s0, v2 dst_sel:DWORD dst_unused:UNUSED_PAD src0_sel:DWORD src1_sel:WORD_1
	v_mul_f16_e32 v17, s0, v2
	v_add3_u32 v11, v11, v8, v7
	v_lshlrev_b64 v[10:11], 1, v[10:11]
	v_add_co_u32 v10, vcc_lo, s2, v10
	v_add_co_ci_u32_e64 v11, null, s3, v11, vcc_lo
	v_add_co_u32 v12, vcc_lo, v10, s6
	v_add_co_ci_u32_e64 v13, null, s7, v11, vcc_lo
	v_add_co_u32 v10, vcc_lo, v10, v0
	v_add_co_ci_u32_e64 v11, null, v11, v1, vcc_lo
	v_add_co_u32 v12, vcc_lo, v12, v0
	v_add_co_ci_u32_e64 v13, null, v13, v1, vcc_lo
	flat_store_short v[10:11], v14
	flat_store_short v[10:11], v15 offset:32
	flat_store_short v[12:13], v16
	flat_store_short v[12:13], v17 offset:32
	s_andn2_b32 vcc_lo, exec_lo, s4
	s_cbranch_vccnz .LBB159_7
.LBB159_6:
	v_mul_lo_u32 v11, v9, s14
	v_mul_lo_u32 v12, v5, s15
	v_mad_u64_u32 v[9:10], null, v5, s14, 0
	s_lshl_b64 s[4:5], s[16:17], 1
	s_add_u32 s4, s12, s4
	s_addc_u32 s5, s13, s5
	v_add3_u32 v10, v10, v12, v11
	v_mad_u64_u32 v[11:12], null, v5, s8, 0
	v_lshlrev_b64 v[9:10], 1, v[9:10]
	v_add3_u32 v12, v12, v8, v7
	v_add_co_u32 v13, vcc_lo, s4, v9
	v_add_co_ci_u32_e64 v14, null, s5, v10, vcc_lo
	v_lshlrev_b64 v[7:8], 1, v[11:12]
	v_add_co_u32 v9, vcc_lo, v13, v0
	v_add_co_ci_u32_e64 v10, null, v14, v1, vcc_lo
	v_add_co_u32 v11, vcc_lo, s2, v7
	flat_load_ushort v15, v[9:10]
	v_add_co_ci_u32_e64 v12, null, s3, v8, vcc_lo
	v_add_co_u32 v7, vcc_lo, v11, v0
	s_lshl_b64 s[2:3], s[14:15], 5
	v_add_co_ci_u32_e64 v8, null, v12, v1, vcc_lo
	s_waitcnt vmcnt(0) lgkmcnt(0)
	v_mul_f16_e32 v5, s1, v15
	v_fmac_f16_e32 v5, s0, v6
	flat_store_short v[7:8], v5
	flat_load_ushort v5, v[9:10] offset:32
	s_waitcnt vmcnt(0) lgkmcnt(0)
	v_mul_f16_e32 v9, s1, v5
	v_add_co_u32 v5, vcc_lo, v13, s2
	v_add_co_ci_u32_e64 v6, null, s3, v14, vcc_lo
	v_fmac_f16_e32 v9, s0, v3
	v_add_co_u32 v5, vcc_lo, v5, v0
	v_add_co_ci_u32_e64 v6, null, v6, v1, vcc_lo
	flat_store_short v[7:8], v9 offset:32
	s_lshl_b64 s[2:3], s[8:9], 5
	flat_load_ushort v3, v[5:6]
	v_add_co_u32 v7, vcc_lo, v11, s2
	v_add_co_ci_u32_e64 v8, null, s3, v12, vcc_lo
	v_add_co_u32 v0, vcc_lo, v7, v0
	v_add_co_ci_u32_e64 v1, null, v8, v1, vcc_lo
	s_waitcnt vmcnt(0) lgkmcnt(0)
	v_mul_f16_e32 v3, s1, v3
	v_fmac_f16_e32 v3, s0, v4
	flat_store_short v[0:1], v3
	flat_load_ushort v3, v[5:6] offset:32
	s_waitcnt vmcnt(0) lgkmcnt(0)
	v_mul_f16_e32 v3, s1, v3
	v_fmac_f16_e32 v3, s0, v2
	flat_store_short v[0:1], v3 offset:32
.LBB159_7:
	s_endpgm
.LBB159_8:
	s_branch .LBB159_6
	.section	.rodata,"a",@progbits
	.p2align	6, 0x0
	.amdhsa_kernel _ZN12_GLOBAL__N_127rocblas_gemm_batched_kernelIDF16_Li16ELi16ELi32ELi32ELi8ELi32ELi8ELi8ELi32ELc84ELc84EKPKDF16_S3_KPDF16_EEvlllT_PT11_llS8_llS6_PT12_llPT13_lli
		.amdhsa_group_segment_fixed_size 1024
		.amdhsa_private_segment_fixed_size 0
		.amdhsa_kernarg_size 140
		.amdhsa_user_sgpr_count 6
		.amdhsa_user_sgpr_private_segment_buffer 1
		.amdhsa_user_sgpr_dispatch_ptr 0
		.amdhsa_user_sgpr_queue_ptr 0
		.amdhsa_user_sgpr_kernarg_segment_ptr 1
		.amdhsa_user_sgpr_dispatch_id 0
		.amdhsa_user_sgpr_flat_scratch_init 0
		.amdhsa_user_sgpr_private_segment_size 0
		.amdhsa_wavefront_size32 1
		.amdhsa_uses_dynamic_stack 0
		.amdhsa_system_sgpr_private_segment_wavefront_offset 0
		.amdhsa_system_sgpr_workgroup_id_x 1
		.amdhsa_system_sgpr_workgroup_id_y 1
		.amdhsa_system_sgpr_workgroup_id_z 1
		.amdhsa_system_sgpr_workgroup_info 0
		.amdhsa_system_vgpr_workitem_id 1
		.amdhsa_next_free_vgpr 28
		.amdhsa_next_free_sgpr 36
		.amdhsa_reserve_vcc 1
		.amdhsa_reserve_flat_scratch 0
		.amdhsa_float_round_mode_32 0
		.amdhsa_float_round_mode_16_64 0
		.amdhsa_float_denorm_mode_32 3
		.amdhsa_float_denorm_mode_16_64 3
		.amdhsa_dx10_clamp 1
		.amdhsa_ieee_mode 1
		.amdhsa_fp16_overflow 0
		.amdhsa_workgroup_processor_mode 1
		.amdhsa_memory_ordered 1
		.amdhsa_forward_progress 1
		.amdhsa_shared_vgpr_count 0
		.amdhsa_exception_fp_ieee_invalid_op 0
		.amdhsa_exception_fp_denorm_src 0
		.amdhsa_exception_fp_ieee_div_zero 0
		.amdhsa_exception_fp_ieee_overflow 0
		.amdhsa_exception_fp_ieee_underflow 0
		.amdhsa_exception_fp_ieee_inexact 0
		.amdhsa_exception_int_div_zero 0
	.end_amdhsa_kernel
	.section	.text._ZN12_GLOBAL__N_127rocblas_gemm_batched_kernelIDF16_Li16ELi16ELi32ELi32ELi8ELi32ELi8ELi8ELi32ELc84ELc84EKPKDF16_S3_KPDF16_EEvlllT_PT11_llS8_llS6_PT12_llPT13_lli,"axG",@progbits,_ZN12_GLOBAL__N_127rocblas_gemm_batched_kernelIDF16_Li16ELi16ELi32ELi32ELi8ELi32ELi8ELi8ELi32ELc84ELc84EKPKDF16_S3_KPDF16_EEvlllT_PT11_llS8_llS6_PT12_llPT13_lli,comdat
.Lfunc_end159:
	.size	_ZN12_GLOBAL__N_127rocblas_gemm_batched_kernelIDF16_Li16ELi16ELi32ELi32ELi8ELi32ELi8ELi8ELi32ELc84ELc84EKPKDF16_S3_KPDF16_EEvlllT_PT11_llS8_llS6_PT12_llPT13_lli, .Lfunc_end159-_ZN12_GLOBAL__N_127rocblas_gemm_batched_kernelIDF16_Li16ELi16ELi32ELi32ELi8ELi32ELi8ELi8ELi32ELc84ELc84EKPKDF16_S3_KPDF16_EEvlllT_PT11_llS8_llS6_PT12_llPT13_lli
                                        ; -- End function
	.set _ZN12_GLOBAL__N_127rocblas_gemm_batched_kernelIDF16_Li16ELi16ELi32ELi32ELi8ELi32ELi8ELi8ELi32ELc84ELc84EKPKDF16_S3_KPDF16_EEvlllT_PT11_llS8_llS6_PT12_llPT13_lli.num_vgpr, 28
	.set _ZN12_GLOBAL__N_127rocblas_gemm_batched_kernelIDF16_Li16ELi16ELi32ELi32ELi8ELi32ELi8ELi8ELi32ELc84ELc84EKPKDF16_S3_KPDF16_EEvlllT_PT11_llS8_llS6_PT12_llPT13_lli.num_agpr, 0
	.set _ZN12_GLOBAL__N_127rocblas_gemm_batched_kernelIDF16_Li16ELi16ELi32ELi32ELi8ELi32ELi8ELi8ELi32ELc84ELc84EKPKDF16_S3_KPDF16_EEvlllT_PT11_llS8_llS6_PT12_llPT13_lli.numbered_sgpr, 36
	.set _ZN12_GLOBAL__N_127rocblas_gemm_batched_kernelIDF16_Li16ELi16ELi32ELi32ELi8ELi32ELi8ELi8ELi32ELc84ELc84EKPKDF16_S3_KPDF16_EEvlllT_PT11_llS8_llS6_PT12_llPT13_lli.num_named_barrier, 0
	.set _ZN12_GLOBAL__N_127rocblas_gemm_batched_kernelIDF16_Li16ELi16ELi32ELi32ELi8ELi32ELi8ELi8ELi32ELc84ELc84EKPKDF16_S3_KPDF16_EEvlllT_PT11_llS8_llS6_PT12_llPT13_lli.private_seg_size, 0
	.set _ZN12_GLOBAL__N_127rocblas_gemm_batched_kernelIDF16_Li16ELi16ELi32ELi32ELi8ELi32ELi8ELi8ELi32ELc84ELc84EKPKDF16_S3_KPDF16_EEvlllT_PT11_llS8_llS6_PT12_llPT13_lli.uses_vcc, 1
	.set _ZN12_GLOBAL__N_127rocblas_gemm_batched_kernelIDF16_Li16ELi16ELi32ELi32ELi8ELi32ELi8ELi8ELi32ELc84ELc84EKPKDF16_S3_KPDF16_EEvlllT_PT11_llS8_llS6_PT12_llPT13_lli.uses_flat_scratch, 0
	.set _ZN12_GLOBAL__N_127rocblas_gemm_batched_kernelIDF16_Li16ELi16ELi32ELi32ELi8ELi32ELi8ELi8ELi32ELc84ELc84EKPKDF16_S3_KPDF16_EEvlllT_PT11_llS8_llS6_PT12_llPT13_lli.has_dyn_sized_stack, 0
	.set _ZN12_GLOBAL__N_127rocblas_gemm_batched_kernelIDF16_Li16ELi16ELi32ELi32ELi8ELi32ELi8ELi8ELi32ELc84ELc84EKPKDF16_S3_KPDF16_EEvlllT_PT11_llS8_llS6_PT12_llPT13_lli.has_recursion, 0
	.set _ZN12_GLOBAL__N_127rocblas_gemm_batched_kernelIDF16_Li16ELi16ELi32ELi32ELi8ELi32ELi8ELi8ELi32ELc84ELc84EKPKDF16_S3_KPDF16_EEvlllT_PT11_llS8_llS6_PT12_llPT13_lli.has_indirect_call, 0
	.section	.AMDGPU.csdata,"",@progbits
; Kernel info:
; codeLenInByte = 1484
; TotalNumSgprs: 38
; NumVgprs: 28
; ScratchSize: 0
; MemoryBound: 0
; FloatMode: 240
; IeeeMode: 1
; LDSByteSize: 1024 bytes/workgroup (compile time only)
; SGPRBlocks: 0
; VGPRBlocks: 3
; NumSGPRsForWavesPerEU: 38
; NumVGPRsForWavesPerEU: 28
; Occupancy: 16
; WaveLimiterHint : 1
; COMPUTE_PGM_RSRC2:SCRATCH_EN: 0
; COMPUTE_PGM_RSRC2:USER_SGPR: 6
; COMPUTE_PGM_RSRC2:TRAP_HANDLER: 0
; COMPUTE_PGM_RSRC2:TGID_X_EN: 1
; COMPUTE_PGM_RSRC2:TGID_Y_EN: 1
; COMPUTE_PGM_RSRC2:TGID_Z_EN: 1
; COMPUTE_PGM_RSRC2:TIDIG_COMP_CNT: 1
	.section	.text._ZN12_GLOBAL__N_127rocblas_gemm_batched_kernelIDF16_Li16ELi16ELi32ELi32ELi8ELi32ELi8ELi8ELi32ELc67ELc67EKPKDF16_S3_KPDF16_EEvlllT_PT11_llS8_llS6_PT12_llPT13_lli,"axG",@progbits,_ZN12_GLOBAL__N_127rocblas_gemm_batched_kernelIDF16_Li16ELi16ELi32ELi32ELi8ELi32ELi8ELi8ELi32ELc67ELc67EKPKDF16_S3_KPDF16_EEvlllT_PT11_llS8_llS6_PT12_llPT13_lli,comdat
	.globl	_ZN12_GLOBAL__N_127rocblas_gemm_batched_kernelIDF16_Li16ELi16ELi32ELi32ELi8ELi32ELi8ELi8ELi32ELc67ELc67EKPKDF16_S3_KPDF16_EEvlllT_PT11_llS8_llS6_PT12_llPT13_lli ; -- Begin function _ZN12_GLOBAL__N_127rocblas_gemm_batched_kernelIDF16_Li16ELi16ELi32ELi32ELi8ELi32ELi8ELi8ELi32ELc67ELc67EKPKDF16_S3_KPDF16_EEvlllT_PT11_llS8_llS6_PT12_llPT13_lli
	.p2align	8
	.type	_ZN12_GLOBAL__N_127rocblas_gemm_batched_kernelIDF16_Li16ELi16ELi32ELi32ELi8ELi32ELi8ELi8ELi32ELc67ELc67EKPKDF16_S3_KPDF16_EEvlllT_PT11_llS8_llS6_PT12_llPT13_lli,@function
_ZN12_GLOBAL__N_127rocblas_gemm_batched_kernelIDF16_Li16ELi16ELi32ELi32ELi8ELi32ELi8ELi8ELi32ELc67ELc67EKPKDF16_S3_KPDF16_EEvlllT_PT11_llS8_llS6_PT12_llPT13_lli: ; @_ZN12_GLOBAL__N_127rocblas_gemm_batched_kernelIDF16_Li16ELi16ELi32ELi32ELi8ELi32ELi8ELi8ELi32ELc67ELc67EKPKDF16_S3_KPDF16_EEvlllT_PT11_llS8_llS6_PT12_llPT13_lli
; %bb.0:
	s_clause 0x1
	s_load_dwordx8 s[12:19], s[4:5], 0x58
	s_load_dwordx2 s[28:29], s[4:5], 0x10
	s_mov_b32 s9, 0
	s_mov_b32 s0, s7
	s_lshl_b64 s[34:35], s[8:9], 3
	s_load_dwordx4 s[8:11], s[4:5], 0x78
	v_mov_b32_e32 v3, 0
	s_waitcnt lgkmcnt(0)
	s_add_u32 s2, s12, s34
	s_addc_u32 s3, s13, s35
	s_add_u32 s18, s18, s34
	s_addc_u32 s19, s19, s35
	s_load_dwordx2 s[12:13], s[2:3], 0x0
	s_load_dwordx2 s[18:19], s[18:19], 0x0
	v_cmp_lt_i64_e64 s2, s[28:29], 1
	s_ashr_i32 s7, s6, 31
	s_ashr_i32 s1, s0, 31
	s_lshl_b64 s[6:7], s[6:7], 5
	s_lshl_b64 s[30:31], s[0:1], 5
	s_and_b32 vcc_lo, exec_lo, s2
	s_cbranch_vccnz .LBB160_3
; %bb.1:
	s_clause 0x1
	s_load_dwordx8 s[20:27], s[4:5], 0x20
	s_load_dwordx4 s[0:3], s[4:5], 0x40
	v_lshlrev_b32_e32 v9, 4, v1
	v_and_b32_e32 v11, 7, v0
	v_lshlrev_b32_e32 v8, 1, v0
	v_add_nc_u32_e32 v10, v9, v0
	v_lshlrev_b32_e32 v13, 1, v11
	v_add_nc_u32_e32 v9, 0x200, v9
	v_and_b32_e32 v12, 31, v10
	v_lshrrev_b32_e32 v2, 3, v10
	v_lshrrev_b32_e32 v10, 5, v10
	v_add_co_u32 v6, s33, s6, v12
	v_add_co_ci_u32_e64 v7, null, s7, 0, s33
	s_waitcnt lgkmcnt(0)
	s_add_u32 s20, s20, s34
	s_addc_u32 s21, s21, s35
	s_add_u32 s26, s26, s34
	s_addc_u32 s27, s27, s35
	v_mad_u64_u32 v[4:5], null, s0, v11, v[2:3]
	s_load_dwordx2 s[26:27], s[26:27], 0x0
	v_mul_lo_u32 v14, s23, v6
	v_mul_lo_u32 v15, s22, v7
	v_mad_u64_u32 v[6:7], null, s22, v6, 0
	v_lshlrev_b32_e32 v12, 1, v12
	v_lshl_or_b32 v16, v2, 4, v13
	v_mov_b32_e32 v2, v5
	v_lshlrev_b32_e32 v17, 1, v10
	s_load_dwordx2 s[20:21], s[20:21], 0x0
	v_lshl_or_b32 v10, v10, 6, v12
	v_add3_u32 v7, v7, v15, v14
	v_mad_u64_u32 v[12:13], null, s1, v11, v[2:3]
	s_lshl_b64 s[2:3], s[2:3], 1
	v_add_co_u32 v13, vcc_lo, v4, s30
	v_lshlrev_b64 v[5:6], 1, v[6:7]
	v_add_nc_u32_e32 v11, 0x200, v16
	v_add_co_ci_u32_e64 v14, null, s31, v12, vcc_lo
	s_waitcnt lgkmcnt(0)
	s_add_u32 s22, s26, s2
	s_addc_u32 s23, s27, s3
	s_lshl_b64 s[2:3], s[24:25], 1
	v_add_co_u32 v2, vcc_lo, v5, s2
	v_add_co_ci_u32_e64 v6, null, s3, v6, vcc_lo
	v_lshlrev_b64 v[4:5], 1, v[13:14]
	v_add_co_u32 v2, vcc_lo, v2, v17
	v_add_co_ci_u32_e64 v7, null, 0, v6, vcc_lo
	s_lshl_b64 s[2:3], s[0:1], 4
	v_add_co_u32 v4, vcc_lo, s22, v4
	v_add_co_ci_u32_e64 v5, null, s23, v5, vcc_lo
	v_add_co_u32 v6, vcc_lo, s20, v2
	v_add_co_ci_u32_e64 v7, null, s21, v7, vcc_lo
	v_mov_b32_e32 v2, 0
	s_mov_b64 s[20:21], 0
.LBB160_2:                              ; =>This Inner Loop Header: Depth=1
	flat_load_ushort v12, v[6:7]
	s_add_u32 s20, s20, 8
	s_addc_u32 s21, s21, 0
	v_add_co_u32 v6, vcc_lo, v6, 16
	v_cmp_lt_i64_e64 s0, s[20:21], s[28:29]
	v_add_co_ci_u32_e64 v7, null, 0, v7, vcc_lo
	s_and_b32 vcc_lo, exec_lo, s0
	s_waitcnt vmcnt(0) lgkmcnt(0)
	ds_write_b16 v10, v12
	flat_load_ushort v12, v[4:5]
	v_add_co_u32 v4, s0, v4, s2
	v_add_co_ci_u32_e64 v5, null, s3, v5, s0
	s_waitcnt vmcnt(0) lgkmcnt(0)
	ds_write_b16 v11, v12
	s_waitcnt lgkmcnt(0)
	s_barrier
	buffer_gl0_inv
	ds_read_u16 v20, v8 offset:32
	ds_read_u16 v21, v8 offset:96
	ds_read_u16 v22, v8 offset:160
	ds_read_b128 v[12:15], v9
	ds_read_b128 v[16:19], v9 offset:256
	ds_read_u16 v23, v8 offset:224
	ds_read_u16 v24, v8 offset:288
	;; [unrolled: 1-line block ×5, first 2 shown]
	s_waitcnt lgkmcnt(9)
	ds_read_u16_d16_hi v20, v8
	s_waitcnt lgkmcnt(9)
	ds_read_u16_d16_hi v21, v8 offset:64
	s_waitcnt lgkmcnt(9)
	ds_read_u16_d16_hi v22, v8 offset:128
	;; [unrolled: 2-line block ×7, first 2 shown]
	s_waitcnt lgkmcnt(0)
	s_barrier
	buffer_gl0_inv
	v_pk_fma_f16 v3, v20, v12, v3 op_sel_hi:[1,0,1]
	v_pk_fma_f16 v2, v20, v16, v2 op_sel_hi:[1,0,1]
	v_pk_fma_f16 v3, v21, v12, v3 op_sel:[0,1,0]
	v_pk_fma_f16 v2, v21, v16, v2 op_sel:[0,1,0]
	v_pk_fma_f16 v3, v22, v13, v3 op_sel_hi:[1,0,1]
	v_pk_fma_f16 v2, v22, v17, v2 op_sel_hi:[1,0,1]
	v_pk_fma_f16 v3, v23, v13, v3 op_sel:[0,1,0]
	v_pk_fma_f16 v2, v23, v17, v2 op_sel:[0,1,0]
	;; [unrolled: 4-line block ×4, first 2 shown]
	s_cbranch_vccnz .LBB160_2
	s_branch .LBB160_4
.LBB160_3:
	v_mov_b32_e32 v2, 0
.LBB160_4:
	s_clause 0x1
	s_load_dword s1, s[4:5], 0x50
	s_load_dword s0, s[4:5], 0x18
	v_add_co_u32 v5, s4, s30, v1
	v_add_co_ci_u32_e64 v9, null, s31, 0, s4
	v_add_co_u32 v0, s4, s6, v0
	v_add_co_ci_u32_e64 v1, null, s7, 0, s4
	v_mul_lo_u32 v7, v9, s8
	v_mul_lo_u32 v8, v5, s9
	s_lshl_b64 s[2:3], s[10:11], 1
	v_lshlrev_b64 v[0:1], 1, v[0:1]
	v_lshrrev_b32_e32 v6, 16, v3
	v_lshrrev_b32_e32 v4, 16, v2
	s_waitcnt lgkmcnt(0)
	s_add_u32 s2, s18, s2
	s_addc_u32 s3, s19, s3
	v_cmp_neq_f16_e64 s4, s1, 0
	s_and_b32 vcc_lo, exec_lo, s4
	s_mov_b32 s4, 0
	s_cbranch_vccnz .LBB160_8
; %bb.5:
	v_mad_u64_u32 v[10:11], null, v5, s8, 0
	s_lshl_b64 s[6:7], s[8:9], 5
	v_mul_f16_sdwa v14, s0, v3 dst_sel:DWORD dst_unused:UNUSED_PAD src0_sel:DWORD src1_sel:WORD_1
	v_mul_f16_e32 v15, s0, v3
	v_mul_f16_sdwa v16, s0, v2 dst_sel:DWORD dst_unused:UNUSED_PAD src0_sel:DWORD src1_sel:WORD_1
	v_mul_f16_e32 v17, s0, v2
	v_add3_u32 v11, v11, v8, v7
	v_lshlrev_b64 v[10:11], 1, v[10:11]
	v_add_co_u32 v10, vcc_lo, s2, v10
	v_add_co_ci_u32_e64 v11, null, s3, v11, vcc_lo
	v_add_co_u32 v12, vcc_lo, v10, s6
	v_add_co_ci_u32_e64 v13, null, s7, v11, vcc_lo
	;; [unrolled: 2-line block ×4, first 2 shown]
	flat_store_short v[10:11], v14
	flat_store_short v[10:11], v15 offset:32
	flat_store_short v[12:13], v16
	flat_store_short v[12:13], v17 offset:32
	s_andn2_b32 vcc_lo, exec_lo, s4
	s_cbranch_vccnz .LBB160_7
.LBB160_6:
	v_mul_lo_u32 v11, v9, s14
	v_mul_lo_u32 v12, v5, s15
	v_mad_u64_u32 v[9:10], null, v5, s14, 0
	s_lshl_b64 s[4:5], s[16:17], 1
	s_add_u32 s4, s12, s4
	s_addc_u32 s5, s13, s5
	v_add3_u32 v10, v10, v12, v11
	v_mad_u64_u32 v[11:12], null, v5, s8, 0
	v_lshlrev_b64 v[9:10], 1, v[9:10]
	v_add3_u32 v12, v12, v8, v7
	v_add_co_u32 v13, vcc_lo, s4, v9
	v_add_co_ci_u32_e64 v14, null, s5, v10, vcc_lo
	v_lshlrev_b64 v[7:8], 1, v[11:12]
	v_add_co_u32 v9, vcc_lo, v13, v0
	v_add_co_ci_u32_e64 v10, null, v14, v1, vcc_lo
	v_add_co_u32 v11, vcc_lo, s2, v7
	flat_load_ushort v15, v[9:10]
	v_add_co_ci_u32_e64 v12, null, s3, v8, vcc_lo
	v_add_co_u32 v7, vcc_lo, v11, v0
	s_lshl_b64 s[2:3], s[14:15], 5
	v_add_co_ci_u32_e64 v8, null, v12, v1, vcc_lo
	s_waitcnt vmcnt(0) lgkmcnt(0)
	v_mul_f16_e32 v5, s1, v15
	v_fmac_f16_e32 v5, s0, v6
	flat_store_short v[7:8], v5
	flat_load_ushort v5, v[9:10] offset:32
	s_waitcnt vmcnt(0) lgkmcnt(0)
	v_mul_f16_e32 v9, s1, v5
	v_add_co_u32 v5, vcc_lo, v13, s2
	v_add_co_ci_u32_e64 v6, null, s3, v14, vcc_lo
	v_fmac_f16_e32 v9, s0, v3
	v_add_co_u32 v5, vcc_lo, v5, v0
	v_add_co_ci_u32_e64 v6, null, v6, v1, vcc_lo
	flat_store_short v[7:8], v9 offset:32
	s_lshl_b64 s[2:3], s[8:9], 5
	flat_load_ushort v3, v[5:6]
	v_add_co_u32 v7, vcc_lo, v11, s2
	v_add_co_ci_u32_e64 v8, null, s3, v12, vcc_lo
	v_add_co_u32 v0, vcc_lo, v7, v0
	v_add_co_ci_u32_e64 v1, null, v8, v1, vcc_lo
	s_waitcnt vmcnt(0) lgkmcnt(0)
	v_mul_f16_e32 v3, s1, v3
	v_fmac_f16_e32 v3, s0, v4
	flat_store_short v[0:1], v3
	flat_load_ushort v3, v[5:6] offset:32
	s_waitcnt vmcnt(0) lgkmcnt(0)
	v_mul_f16_e32 v3, s1, v3
	v_fmac_f16_e32 v3, s0, v2
	flat_store_short v[0:1], v3 offset:32
.LBB160_7:
	s_endpgm
.LBB160_8:
	s_branch .LBB160_6
	.section	.rodata,"a",@progbits
	.p2align	6, 0x0
	.amdhsa_kernel _ZN12_GLOBAL__N_127rocblas_gemm_batched_kernelIDF16_Li16ELi16ELi32ELi32ELi8ELi32ELi8ELi8ELi32ELc67ELc67EKPKDF16_S3_KPDF16_EEvlllT_PT11_llS8_llS6_PT12_llPT13_lli
		.amdhsa_group_segment_fixed_size 1024
		.amdhsa_private_segment_fixed_size 0
		.amdhsa_kernarg_size 140
		.amdhsa_user_sgpr_count 6
		.amdhsa_user_sgpr_private_segment_buffer 1
		.amdhsa_user_sgpr_dispatch_ptr 0
		.amdhsa_user_sgpr_queue_ptr 0
		.amdhsa_user_sgpr_kernarg_segment_ptr 1
		.amdhsa_user_sgpr_dispatch_id 0
		.amdhsa_user_sgpr_flat_scratch_init 0
		.amdhsa_user_sgpr_private_segment_size 0
		.amdhsa_wavefront_size32 1
		.amdhsa_uses_dynamic_stack 0
		.amdhsa_system_sgpr_private_segment_wavefront_offset 0
		.amdhsa_system_sgpr_workgroup_id_x 1
		.amdhsa_system_sgpr_workgroup_id_y 1
		.amdhsa_system_sgpr_workgroup_id_z 1
		.amdhsa_system_sgpr_workgroup_info 0
		.amdhsa_system_vgpr_workitem_id 1
		.amdhsa_next_free_vgpr 28
		.amdhsa_next_free_sgpr 36
		.amdhsa_reserve_vcc 1
		.amdhsa_reserve_flat_scratch 0
		.amdhsa_float_round_mode_32 0
		.amdhsa_float_round_mode_16_64 0
		.amdhsa_float_denorm_mode_32 3
		.amdhsa_float_denorm_mode_16_64 3
		.amdhsa_dx10_clamp 1
		.amdhsa_ieee_mode 1
		.amdhsa_fp16_overflow 0
		.amdhsa_workgroup_processor_mode 1
		.amdhsa_memory_ordered 1
		.amdhsa_forward_progress 1
		.amdhsa_shared_vgpr_count 0
		.amdhsa_exception_fp_ieee_invalid_op 0
		.amdhsa_exception_fp_denorm_src 0
		.amdhsa_exception_fp_ieee_div_zero 0
		.amdhsa_exception_fp_ieee_overflow 0
		.amdhsa_exception_fp_ieee_underflow 0
		.amdhsa_exception_fp_ieee_inexact 0
		.amdhsa_exception_int_div_zero 0
	.end_amdhsa_kernel
	.section	.text._ZN12_GLOBAL__N_127rocblas_gemm_batched_kernelIDF16_Li16ELi16ELi32ELi32ELi8ELi32ELi8ELi8ELi32ELc67ELc67EKPKDF16_S3_KPDF16_EEvlllT_PT11_llS8_llS6_PT12_llPT13_lli,"axG",@progbits,_ZN12_GLOBAL__N_127rocblas_gemm_batched_kernelIDF16_Li16ELi16ELi32ELi32ELi8ELi32ELi8ELi8ELi32ELc67ELc67EKPKDF16_S3_KPDF16_EEvlllT_PT11_llS8_llS6_PT12_llPT13_lli,comdat
.Lfunc_end160:
	.size	_ZN12_GLOBAL__N_127rocblas_gemm_batched_kernelIDF16_Li16ELi16ELi32ELi32ELi8ELi32ELi8ELi8ELi32ELc67ELc67EKPKDF16_S3_KPDF16_EEvlllT_PT11_llS8_llS6_PT12_llPT13_lli, .Lfunc_end160-_ZN12_GLOBAL__N_127rocblas_gemm_batched_kernelIDF16_Li16ELi16ELi32ELi32ELi8ELi32ELi8ELi8ELi32ELc67ELc67EKPKDF16_S3_KPDF16_EEvlllT_PT11_llS8_llS6_PT12_llPT13_lli
                                        ; -- End function
	.set _ZN12_GLOBAL__N_127rocblas_gemm_batched_kernelIDF16_Li16ELi16ELi32ELi32ELi8ELi32ELi8ELi8ELi32ELc67ELc67EKPKDF16_S3_KPDF16_EEvlllT_PT11_llS8_llS6_PT12_llPT13_lli.num_vgpr, 28
	.set _ZN12_GLOBAL__N_127rocblas_gemm_batched_kernelIDF16_Li16ELi16ELi32ELi32ELi8ELi32ELi8ELi8ELi32ELc67ELc67EKPKDF16_S3_KPDF16_EEvlllT_PT11_llS8_llS6_PT12_llPT13_lli.num_agpr, 0
	.set _ZN12_GLOBAL__N_127rocblas_gemm_batched_kernelIDF16_Li16ELi16ELi32ELi32ELi8ELi32ELi8ELi8ELi32ELc67ELc67EKPKDF16_S3_KPDF16_EEvlllT_PT11_llS8_llS6_PT12_llPT13_lli.numbered_sgpr, 36
	.set _ZN12_GLOBAL__N_127rocblas_gemm_batched_kernelIDF16_Li16ELi16ELi32ELi32ELi8ELi32ELi8ELi8ELi32ELc67ELc67EKPKDF16_S3_KPDF16_EEvlllT_PT11_llS8_llS6_PT12_llPT13_lli.num_named_barrier, 0
	.set _ZN12_GLOBAL__N_127rocblas_gemm_batched_kernelIDF16_Li16ELi16ELi32ELi32ELi8ELi32ELi8ELi8ELi32ELc67ELc67EKPKDF16_S3_KPDF16_EEvlllT_PT11_llS8_llS6_PT12_llPT13_lli.private_seg_size, 0
	.set _ZN12_GLOBAL__N_127rocblas_gemm_batched_kernelIDF16_Li16ELi16ELi32ELi32ELi8ELi32ELi8ELi8ELi32ELc67ELc67EKPKDF16_S3_KPDF16_EEvlllT_PT11_llS8_llS6_PT12_llPT13_lli.uses_vcc, 1
	.set _ZN12_GLOBAL__N_127rocblas_gemm_batched_kernelIDF16_Li16ELi16ELi32ELi32ELi8ELi32ELi8ELi8ELi32ELc67ELc67EKPKDF16_S3_KPDF16_EEvlllT_PT11_llS8_llS6_PT12_llPT13_lli.uses_flat_scratch, 0
	.set _ZN12_GLOBAL__N_127rocblas_gemm_batched_kernelIDF16_Li16ELi16ELi32ELi32ELi8ELi32ELi8ELi8ELi32ELc67ELc67EKPKDF16_S3_KPDF16_EEvlllT_PT11_llS8_llS6_PT12_llPT13_lli.has_dyn_sized_stack, 0
	.set _ZN12_GLOBAL__N_127rocblas_gemm_batched_kernelIDF16_Li16ELi16ELi32ELi32ELi8ELi32ELi8ELi8ELi32ELc67ELc67EKPKDF16_S3_KPDF16_EEvlllT_PT11_llS8_llS6_PT12_llPT13_lli.has_recursion, 0
	.set _ZN12_GLOBAL__N_127rocblas_gemm_batched_kernelIDF16_Li16ELi16ELi32ELi32ELi8ELi32ELi8ELi8ELi32ELc67ELc67EKPKDF16_S3_KPDF16_EEvlllT_PT11_llS8_llS6_PT12_llPT13_lli.has_indirect_call, 0
	.section	.AMDGPU.csdata,"",@progbits
; Kernel info:
; codeLenInByte = 1484
; TotalNumSgprs: 38
; NumVgprs: 28
; ScratchSize: 0
; MemoryBound: 0
; FloatMode: 240
; IeeeMode: 1
; LDSByteSize: 1024 bytes/workgroup (compile time only)
; SGPRBlocks: 0
; VGPRBlocks: 3
; NumSGPRsForWavesPerEU: 38
; NumVGPRsForWavesPerEU: 28
; Occupancy: 16
; WaveLimiterHint : 1
; COMPUTE_PGM_RSRC2:SCRATCH_EN: 0
; COMPUTE_PGM_RSRC2:USER_SGPR: 6
; COMPUTE_PGM_RSRC2:TRAP_HANDLER: 0
; COMPUTE_PGM_RSRC2:TGID_X_EN: 1
; COMPUTE_PGM_RSRC2:TGID_Y_EN: 1
; COMPUTE_PGM_RSRC2:TGID_Z_EN: 1
; COMPUTE_PGM_RSRC2:TIDIG_COMP_CNT: 1
	.section	.text._ZN12_GLOBAL__N_127rocblas_gemm_batched_kernelIDF16_Li16ELi16ELi32ELi32ELi8ELi32ELi8ELi8ELi32ELc67ELc78EKPKDF16_S3_KPDF16_EEvlllT_PT11_llS8_llS6_PT12_llPT13_lli,"axG",@progbits,_ZN12_GLOBAL__N_127rocblas_gemm_batched_kernelIDF16_Li16ELi16ELi32ELi32ELi8ELi32ELi8ELi8ELi32ELc67ELc78EKPKDF16_S3_KPDF16_EEvlllT_PT11_llS8_llS6_PT12_llPT13_lli,comdat
	.globl	_ZN12_GLOBAL__N_127rocblas_gemm_batched_kernelIDF16_Li16ELi16ELi32ELi32ELi8ELi32ELi8ELi8ELi32ELc67ELc78EKPKDF16_S3_KPDF16_EEvlllT_PT11_llS8_llS6_PT12_llPT13_lli ; -- Begin function _ZN12_GLOBAL__N_127rocblas_gemm_batched_kernelIDF16_Li16ELi16ELi32ELi32ELi8ELi32ELi8ELi8ELi32ELc67ELc78EKPKDF16_S3_KPDF16_EEvlllT_PT11_llS8_llS6_PT12_llPT13_lli
	.p2align	8
	.type	_ZN12_GLOBAL__N_127rocblas_gemm_batched_kernelIDF16_Li16ELi16ELi32ELi32ELi8ELi32ELi8ELi8ELi32ELc67ELc78EKPKDF16_S3_KPDF16_EEvlllT_PT11_llS8_llS6_PT12_llPT13_lli,@function
_ZN12_GLOBAL__N_127rocblas_gemm_batched_kernelIDF16_Li16ELi16ELi32ELi32ELi8ELi32ELi8ELi8ELi32ELc67ELc78EKPKDF16_S3_KPDF16_EEvlllT_PT11_llS8_llS6_PT12_llPT13_lli: ; @_ZN12_GLOBAL__N_127rocblas_gemm_batched_kernelIDF16_Li16ELi16ELi32ELi32ELi8ELi32ELi8ELi8ELi32ELc67ELc78EKPKDF16_S3_KPDF16_EEvlllT_PT11_llS8_llS6_PT12_llPT13_lli
; %bb.0:
	s_clause 0x1
	s_load_dwordx8 s[12:19], s[4:5], 0x58
	s_load_dwordx2 s[28:29], s[4:5], 0x10
	s_mov_b32 s9, 0
	s_mov_b32 s0, s7
	s_lshl_b64 s[34:35], s[8:9], 3
	s_load_dwordx4 s[8:11], s[4:5], 0x78
	s_waitcnt lgkmcnt(0)
	s_add_u32 s2, s12, s34
	s_addc_u32 s3, s13, s35
	s_add_u32 s18, s18, s34
	s_addc_u32 s19, s19, s35
	s_load_dwordx2 s[12:13], s[2:3], 0x0
	s_load_dwordx2 s[18:19], s[18:19], 0x0
	v_cmp_lt_i64_e64 s2, s[28:29], 1
	s_ashr_i32 s7, s6, 31
	s_ashr_i32 s1, s0, 31
	s_lshl_b64 s[6:7], s[6:7], 5
	s_lshl_b64 s[30:31], s[0:1], 5
	s_and_b32 vcc_lo, exec_lo, s2
	s_cbranch_vccnz .LBB161_3
; %bb.1:
	v_lshlrev_b32_e32 v6, 4, v1
	s_clause 0x1
	s_load_dwordx8 s[20:27], s[4:5], 0x20
	s_load_dwordx4 s[0:3], s[4:5], 0x40
	v_and_b32_e32 v3, 7, v0
	v_add_nc_u32_e32 v2, v6, v0
	v_lshlrev_b32_e32 v12, 1, v3
	v_lshrrev_b32_e32 v7, 3, v2
	v_and_b32_e32 v8, 31, v2
	v_lshrrev_b32_e32 v13, 5, v2
	v_add_co_u32 v2, s33, v7, s30
	v_add_co_ci_u32_e64 v3, null, 0, s31, s33
	v_add_co_u32 v4, s33, s6, v8
	v_add_co_ci_u32_e64 v5, null, s7, 0, s33
	s_waitcnt lgkmcnt(0)
	v_mul_lo_u32 v9, s1, v2
	v_mul_lo_u32 v10, s0, v3
	v_mad_u64_u32 v[2:3], null, s0, v2, 0
	v_mul_lo_u32 v11, s23, v4
	v_mul_lo_u32 v14, s22, v5
	v_mad_u64_u32 v[4:5], null, s22, v4, 0
	s_add_u32 s20, s20, s34
	s_addc_u32 s21, s21, s35
	s_add_u32 s26, s26, s34
	v_add3_u32 v3, v3, v10, v9
	s_addc_u32 s27, s27, s35
	s_load_dwordx2 s[20:21], s[20:21], 0x0
	s_load_dwordx2 s[0:1], s[26:27], 0x0
	v_add3_u32 v5, v5, v14, v11
	v_lshlrev_b64 v[2:3], 1, v[2:3]
	s_lshl_b64 s[2:3], s[2:3], 1
	v_add_nc_u32_e32 v11, 0x200, v6
	v_lshlrev_b32_e32 v6, 1, v13
	v_lshlrev_b64 v[4:5], 1, v[4:5]
	v_lshlrev_b32_e32 v8, 1, v8
	v_add_co_u32 v2, vcc_lo, v2, s2
	v_add_co_ci_u32_e64 v3, null, s3, v3, vcc_lo
	s_lshl_b64 s[2:3], s[24:25], 1
	v_lshl_or_b32 v7, v7, 4, v12
	v_add_co_u32 v4, vcc_lo, v4, s2
	v_add_co_ci_u32_e64 v5, null, s3, v5, vcc_lo
	v_add_co_u32 v2, vcc_lo, v2, v12
	v_add_co_ci_u32_e64 v3, null, 0, v3, vcc_lo
	;; [unrolled: 2-line block ×3, first 2 shown]
	s_waitcnt lgkmcnt(0)
	v_add_co_u32 v2, vcc_lo, s0, v2
	v_add_co_ci_u32_e64 v3, null, s1, v3, vcc_lo
	v_add_co_u32 v4, vcc_lo, s20, v4
	v_lshl_or_b32 v8, v13, 6, v8
	v_add_nc_u32_e32 v9, 0x200, v7
	v_lshlrev_b32_e32 v10, 1, v0
	v_add_co_ci_u32_e64 v5, null, s21, v5, vcc_lo
	v_mov_b32_e32 v6, 0
	v_mov_b32_e32 v7, 0
	s_mov_b64 s[2:3], 0
.LBB161_2:                              ; =>This Inner Loop Header: Depth=1
	flat_load_ushort v12, v[4:5]
	s_add_u32 s2, s2, 8
	s_addc_u32 s3, s3, 0
	v_add_co_u32 v4, vcc_lo, v4, 16
	v_cmp_lt_i64_e64 s0, s[2:3], s[28:29]
	v_add_co_ci_u32_e64 v5, null, 0, v5, vcc_lo
	s_and_b32 vcc_lo, exec_lo, s0
	s_waitcnt vmcnt(0) lgkmcnt(0)
	ds_write_b16 v8, v12
	flat_load_ushort v12, v[2:3]
	v_add_co_u32 v2, s0, v2, 16
	v_add_co_ci_u32_e64 v3, null, 0, v3, s0
	s_waitcnt vmcnt(0) lgkmcnt(0)
	ds_write_b16 v9, v12
	s_waitcnt lgkmcnt(0)
	s_barrier
	buffer_gl0_inv
	ds_read_u16 v20, v10 offset:32
	ds_read_u16 v21, v10 offset:96
	;; [unrolled: 1-line block ×3, first 2 shown]
	ds_read_b128 v[12:15], v11
	ds_read_b128 v[16:19], v11 offset:256
	ds_read_u16 v23, v10 offset:224
	ds_read_u16 v24, v10 offset:288
	;; [unrolled: 1-line block ×5, first 2 shown]
	s_waitcnt lgkmcnt(9)
	ds_read_u16_d16_hi v20, v10
	s_waitcnt lgkmcnt(9)
	ds_read_u16_d16_hi v21, v10 offset:64
	s_waitcnt lgkmcnt(9)
	ds_read_u16_d16_hi v22, v10 offset:128
	;; [unrolled: 2-line block ×7, first 2 shown]
	s_waitcnt lgkmcnt(0)
	s_barrier
	buffer_gl0_inv
	v_pk_fma_f16 v7, v20, v12, v7 op_sel_hi:[1,0,1]
	v_pk_fma_f16 v6, v20, v16, v6 op_sel_hi:[1,0,1]
	v_pk_fma_f16 v7, v21, v12, v7 op_sel:[0,1,0]
	v_pk_fma_f16 v6, v21, v16, v6 op_sel:[0,1,0]
	v_pk_fma_f16 v7, v22, v13, v7 op_sel_hi:[1,0,1]
	v_pk_fma_f16 v6, v22, v17, v6 op_sel_hi:[1,0,1]
	v_pk_fma_f16 v7, v23, v13, v7 op_sel:[0,1,0]
	v_pk_fma_f16 v6, v23, v17, v6 op_sel:[0,1,0]
	;; [unrolled: 4-line block ×4, first 2 shown]
	s_cbranch_vccnz .LBB161_2
	s_branch .LBB161_4
.LBB161_3:
	v_mov_b32_e32 v7, 0
	v_mov_b32_e32 v6, 0
.LBB161_4:
	s_clause 0x1
	s_load_dword s1, s[4:5], 0x50
	s_load_dword s0, s[4:5], 0x18
	v_add_co_u32 v3, s4, s30, v1
	v_add_co_ci_u32_e64 v9, null, s31, 0, s4
	v_add_co_u32 v0, s4, s6, v0
	v_add_co_ci_u32_e64 v1, null, s7, 0, s4
	v_mul_lo_u32 v5, v9, s8
	v_mul_lo_u32 v8, v3, s9
	s_lshl_b64 s[2:3], s[10:11], 1
	v_lshlrev_b64 v[0:1], 1, v[0:1]
	v_lshrrev_b32_e32 v4, 16, v7
	v_lshrrev_b32_e32 v2, 16, v6
	s_waitcnt lgkmcnt(0)
	s_add_u32 s2, s18, s2
	s_addc_u32 s3, s19, s3
	v_cmp_neq_f16_e64 s4, s1, 0
	s_and_b32 vcc_lo, exec_lo, s4
	s_mov_b32 s4, 0
	s_cbranch_vccnz .LBB161_8
; %bb.5:
	v_mad_u64_u32 v[10:11], null, v3, s8, 0
	s_lshl_b64 s[6:7], s[8:9], 5
	v_mul_f16_sdwa v14, s0, v7 dst_sel:DWORD dst_unused:UNUSED_PAD src0_sel:DWORD src1_sel:WORD_1
	v_mul_f16_e32 v15, s0, v7
	v_mul_f16_sdwa v16, s0, v6 dst_sel:DWORD dst_unused:UNUSED_PAD src0_sel:DWORD src1_sel:WORD_1
	v_mul_f16_e32 v17, s0, v6
	v_add3_u32 v11, v11, v8, v5
	v_lshlrev_b64 v[10:11], 1, v[10:11]
	v_add_co_u32 v10, vcc_lo, s2, v10
	v_add_co_ci_u32_e64 v11, null, s3, v11, vcc_lo
	v_add_co_u32 v12, vcc_lo, v10, s6
	v_add_co_ci_u32_e64 v13, null, s7, v11, vcc_lo
	;; [unrolled: 2-line block ×4, first 2 shown]
	flat_store_short v[10:11], v14
	flat_store_short v[10:11], v15 offset:32
	flat_store_short v[12:13], v16
	flat_store_short v[12:13], v17 offset:32
	s_andn2_b32 vcc_lo, exec_lo, s4
	s_cbranch_vccnz .LBB161_7
.LBB161_6:
	v_mul_lo_u32 v11, v9, s14
	v_mul_lo_u32 v12, v3, s15
	v_mad_u64_u32 v[9:10], null, v3, s14, 0
	s_lshl_b64 s[4:5], s[16:17], 1
	s_add_u32 s4, s12, s4
	s_addc_u32 s5, s13, s5
	v_add3_u32 v10, v10, v12, v11
	v_mad_u64_u32 v[11:12], null, v3, s8, 0
	v_lshlrev_b64 v[9:10], 1, v[9:10]
	v_add3_u32 v12, v12, v8, v5
	v_add_co_u32 v13, vcc_lo, s4, v9
	v_add_co_ci_u32_e64 v14, null, s5, v10, vcc_lo
	v_lshlrev_b64 v[11:12], 1, v[11:12]
	v_add_co_u32 v9, vcc_lo, v13, v0
	v_add_co_ci_u32_e64 v10, null, v14, v1, vcc_lo
	v_add_co_u32 v5, vcc_lo, s2, v11
	flat_load_ushort v15, v[9:10]
	v_add_co_ci_u32_e64 v8, null, s3, v12, vcc_lo
	v_add_co_u32 v11, vcc_lo, v5, v0
	s_lshl_b64 s[2:3], s[14:15], 5
	v_add_co_ci_u32_e64 v12, null, v8, v1, vcc_lo
	s_waitcnt vmcnt(0) lgkmcnt(0)
	v_mul_f16_e32 v3, s1, v15
	v_fmac_f16_e32 v3, s0, v4
	flat_store_short v[11:12], v3
	flat_load_ushort v3, v[9:10] offset:32
	s_waitcnt vmcnt(0) lgkmcnt(0)
	v_mul_f16_e32 v9, s1, v3
	v_add_co_u32 v3, vcc_lo, v13, s2
	v_add_co_ci_u32_e64 v4, null, s3, v14, vcc_lo
	v_fmac_f16_e32 v9, s0, v7
	v_add_co_u32 v3, vcc_lo, v3, v0
	v_add_co_ci_u32_e64 v4, null, v4, v1, vcc_lo
	flat_store_short v[11:12], v9 offset:32
	s_lshl_b64 s[2:3], s[8:9], 5
	flat_load_ushort v7, v[3:4]
	v_add_co_u32 v5, vcc_lo, v5, s2
	v_add_co_ci_u32_e64 v8, null, s3, v8, vcc_lo
	v_add_co_u32 v0, vcc_lo, v5, v0
	v_add_co_ci_u32_e64 v1, null, v8, v1, vcc_lo
	s_waitcnt vmcnt(0) lgkmcnt(0)
	v_mul_f16_e32 v7, s1, v7
	v_fmac_f16_e32 v7, s0, v2
	flat_store_short v[0:1], v7
	flat_load_ushort v2, v[3:4] offset:32
	s_waitcnt vmcnt(0) lgkmcnt(0)
	v_mul_f16_e32 v2, s1, v2
	v_fmac_f16_e32 v2, s0, v6
	flat_store_short v[0:1], v2 offset:32
.LBB161_7:
	s_endpgm
.LBB161_8:
	s_branch .LBB161_6
	.section	.rodata,"a",@progbits
	.p2align	6, 0x0
	.amdhsa_kernel _ZN12_GLOBAL__N_127rocblas_gemm_batched_kernelIDF16_Li16ELi16ELi32ELi32ELi8ELi32ELi8ELi8ELi32ELc67ELc78EKPKDF16_S3_KPDF16_EEvlllT_PT11_llS8_llS6_PT12_llPT13_lli
		.amdhsa_group_segment_fixed_size 1024
		.amdhsa_private_segment_fixed_size 0
		.amdhsa_kernarg_size 140
		.amdhsa_user_sgpr_count 6
		.amdhsa_user_sgpr_private_segment_buffer 1
		.amdhsa_user_sgpr_dispatch_ptr 0
		.amdhsa_user_sgpr_queue_ptr 0
		.amdhsa_user_sgpr_kernarg_segment_ptr 1
		.amdhsa_user_sgpr_dispatch_id 0
		.amdhsa_user_sgpr_flat_scratch_init 0
		.amdhsa_user_sgpr_private_segment_size 0
		.amdhsa_wavefront_size32 1
		.amdhsa_uses_dynamic_stack 0
		.amdhsa_system_sgpr_private_segment_wavefront_offset 0
		.amdhsa_system_sgpr_workgroup_id_x 1
		.amdhsa_system_sgpr_workgroup_id_y 1
		.amdhsa_system_sgpr_workgroup_id_z 1
		.amdhsa_system_sgpr_workgroup_info 0
		.amdhsa_system_vgpr_workitem_id 1
		.amdhsa_next_free_vgpr 28
		.amdhsa_next_free_sgpr 36
		.amdhsa_reserve_vcc 1
		.amdhsa_reserve_flat_scratch 0
		.amdhsa_float_round_mode_32 0
		.amdhsa_float_round_mode_16_64 0
		.amdhsa_float_denorm_mode_32 3
		.amdhsa_float_denorm_mode_16_64 3
		.amdhsa_dx10_clamp 1
		.amdhsa_ieee_mode 1
		.amdhsa_fp16_overflow 0
		.amdhsa_workgroup_processor_mode 1
		.amdhsa_memory_ordered 1
		.amdhsa_forward_progress 1
		.amdhsa_shared_vgpr_count 0
		.amdhsa_exception_fp_ieee_invalid_op 0
		.amdhsa_exception_fp_denorm_src 0
		.amdhsa_exception_fp_ieee_div_zero 0
		.amdhsa_exception_fp_ieee_overflow 0
		.amdhsa_exception_fp_ieee_underflow 0
		.amdhsa_exception_fp_ieee_inexact 0
		.amdhsa_exception_int_div_zero 0
	.end_amdhsa_kernel
	.section	.text._ZN12_GLOBAL__N_127rocblas_gemm_batched_kernelIDF16_Li16ELi16ELi32ELi32ELi8ELi32ELi8ELi8ELi32ELc67ELc78EKPKDF16_S3_KPDF16_EEvlllT_PT11_llS8_llS6_PT12_llPT13_lli,"axG",@progbits,_ZN12_GLOBAL__N_127rocblas_gemm_batched_kernelIDF16_Li16ELi16ELi32ELi32ELi8ELi32ELi8ELi8ELi32ELc67ELc78EKPKDF16_S3_KPDF16_EEvlllT_PT11_llS8_llS6_PT12_llPT13_lli,comdat
.Lfunc_end161:
	.size	_ZN12_GLOBAL__N_127rocblas_gemm_batched_kernelIDF16_Li16ELi16ELi32ELi32ELi8ELi32ELi8ELi8ELi32ELc67ELc78EKPKDF16_S3_KPDF16_EEvlllT_PT11_llS8_llS6_PT12_llPT13_lli, .Lfunc_end161-_ZN12_GLOBAL__N_127rocblas_gemm_batched_kernelIDF16_Li16ELi16ELi32ELi32ELi8ELi32ELi8ELi8ELi32ELc67ELc78EKPKDF16_S3_KPDF16_EEvlllT_PT11_llS8_llS6_PT12_llPT13_lli
                                        ; -- End function
	.set _ZN12_GLOBAL__N_127rocblas_gemm_batched_kernelIDF16_Li16ELi16ELi32ELi32ELi8ELi32ELi8ELi8ELi32ELc67ELc78EKPKDF16_S3_KPDF16_EEvlllT_PT11_llS8_llS6_PT12_llPT13_lli.num_vgpr, 28
	.set _ZN12_GLOBAL__N_127rocblas_gemm_batched_kernelIDF16_Li16ELi16ELi32ELi32ELi8ELi32ELi8ELi8ELi32ELc67ELc78EKPKDF16_S3_KPDF16_EEvlllT_PT11_llS8_llS6_PT12_llPT13_lli.num_agpr, 0
	.set _ZN12_GLOBAL__N_127rocblas_gemm_batched_kernelIDF16_Li16ELi16ELi32ELi32ELi8ELi32ELi8ELi8ELi32ELc67ELc78EKPKDF16_S3_KPDF16_EEvlllT_PT11_llS8_llS6_PT12_llPT13_lli.numbered_sgpr, 36
	.set _ZN12_GLOBAL__N_127rocblas_gemm_batched_kernelIDF16_Li16ELi16ELi32ELi32ELi8ELi32ELi8ELi8ELi32ELc67ELc78EKPKDF16_S3_KPDF16_EEvlllT_PT11_llS8_llS6_PT12_llPT13_lli.num_named_barrier, 0
	.set _ZN12_GLOBAL__N_127rocblas_gemm_batched_kernelIDF16_Li16ELi16ELi32ELi32ELi8ELi32ELi8ELi8ELi32ELc67ELc78EKPKDF16_S3_KPDF16_EEvlllT_PT11_llS8_llS6_PT12_llPT13_lli.private_seg_size, 0
	.set _ZN12_GLOBAL__N_127rocblas_gemm_batched_kernelIDF16_Li16ELi16ELi32ELi32ELi8ELi32ELi8ELi8ELi32ELc67ELc78EKPKDF16_S3_KPDF16_EEvlllT_PT11_llS8_llS6_PT12_llPT13_lli.uses_vcc, 1
	.set _ZN12_GLOBAL__N_127rocblas_gemm_batched_kernelIDF16_Li16ELi16ELi32ELi32ELi8ELi32ELi8ELi8ELi32ELc67ELc78EKPKDF16_S3_KPDF16_EEvlllT_PT11_llS8_llS6_PT12_llPT13_lli.uses_flat_scratch, 0
	.set _ZN12_GLOBAL__N_127rocblas_gemm_batched_kernelIDF16_Li16ELi16ELi32ELi32ELi8ELi32ELi8ELi8ELi32ELc67ELc78EKPKDF16_S3_KPDF16_EEvlllT_PT11_llS8_llS6_PT12_llPT13_lli.has_dyn_sized_stack, 0
	.set _ZN12_GLOBAL__N_127rocblas_gemm_batched_kernelIDF16_Li16ELi16ELi32ELi32ELi8ELi32ELi8ELi8ELi32ELc67ELc78EKPKDF16_S3_KPDF16_EEvlllT_PT11_llS8_llS6_PT12_llPT13_lli.has_recursion, 0
	.set _ZN12_GLOBAL__N_127rocblas_gemm_batched_kernelIDF16_Li16ELi16ELi32ELi32ELi8ELi32ELi8ELi8ELi32ELc67ELc78EKPKDF16_S3_KPDF16_EEvlllT_PT11_llS8_llS6_PT12_llPT13_lli.has_indirect_call, 0
	.section	.AMDGPU.csdata,"",@progbits
; Kernel info:
; codeLenInByte = 1520
; TotalNumSgprs: 38
; NumVgprs: 28
; ScratchSize: 0
; MemoryBound: 0
; FloatMode: 240
; IeeeMode: 1
; LDSByteSize: 1024 bytes/workgroup (compile time only)
; SGPRBlocks: 0
; VGPRBlocks: 3
; NumSGPRsForWavesPerEU: 38
; NumVGPRsForWavesPerEU: 28
; Occupancy: 16
; WaveLimiterHint : 1
; COMPUTE_PGM_RSRC2:SCRATCH_EN: 0
; COMPUTE_PGM_RSRC2:USER_SGPR: 6
; COMPUTE_PGM_RSRC2:TRAP_HANDLER: 0
; COMPUTE_PGM_RSRC2:TGID_X_EN: 1
; COMPUTE_PGM_RSRC2:TGID_Y_EN: 1
; COMPUTE_PGM_RSRC2:TGID_Z_EN: 1
; COMPUTE_PGM_RSRC2:TIDIG_COMP_CNT: 1
	.section	.text._ZN12_GLOBAL__N_127rocblas_gemm_batched_kernelIDF16_Li16ELi16ELi32ELi32ELi8ELi32ELi8ELi8ELi32ELc67ELc84EKPKDF16_S3_KPDF16_EEvlllT_PT11_llS8_llS6_PT12_llPT13_lli,"axG",@progbits,_ZN12_GLOBAL__N_127rocblas_gemm_batched_kernelIDF16_Li16ELi16ELi32ELi32ELi8ELi32ELi8ELi8ELi32ELc67ELc84EKPKDF16_S3_KPDF16_EEvlllT_PT11_llS8_llS6_PT12_llPT13_lli,comdat
	.globl	_ZN12_GLOBAL__N_127rocblas_gemm_batched_kernelIDF16_Li16ELi16ELi32ELi32ELi8ELi32ELi8ELi8ELi32ELc67ELc84EKPKDF16_S3_KPDF16_EEvlllT_PT11_llS8_llS6_PT12_llPT13_lli ; -- Begin function _ZN12_GLOBAL__N_127rocblas_gemm_batched_kernelIDF16_Li16ELi16ELi32ELi32ELi8ELi32ELi8ELi8ELi32ELc67ELc84EKPKDF16_S3_KPDF16_EEvlllT_PT11_llS8_llS6_PT12_llPT13_lli
	.p2align	8
	.type	_ZN12_GLOBAL__N_127rocblas_gemm_batched_kernelIDF16_Li16ELi16ELi32ELi32ELi8ELi32ELi8ELi8ELi32ELc67ELc84EKPKDF16_S3_KPDF16_EEvlllT_PT11_llS8_llS6_PT12_llPT13_lli,@function
_ZN12_GLOBAL__N_127rocblas_gemm_batched_kernelIDF16_Li16ELi16ELi32ELi32ELi8ELi32ELi8ELi8ELi32ELc67ELc84EKPKDF16_S3_KPDF16_EEvlllT_PT11_llS8_llS6_PT12_llPT13_lli: ; @_ZN12_GLOBAL__N_127rocblas_gemm_batched_kernelIDF16_Li16ELi16ELi32ELi32ELi8ELi32ELi8ELi8ELi32ELc67ELc84EKPKDF16_S3_KPDF16_EEvlllT_PT11_llS8_llS6_PT12_llPT13_lli
; %bb.0:
	s_clause 0x1
	s_load_dwordx8 s[12:19], s[4:5], 0x58
	s_load_dwordx2 s[28:29], s[4:5], 0x10
	s_mov_b32 s9, 0
	s_mov_b32 s0, s7
	s_lshl_b64 s[34:35], s[8:9], 3
	s_load_dwordx4 s[8:11], s[4:5], 0x78
	v_mov_b32_e32 v3, 0
	s_waitcnt lgkmcnt(0)
	s_add_u32 s2, s12, s34
	s_addc_u32 s3, s13, s35
	s_add_u32 s18, s18, s34
	s_addc_u32 s19, s19, s35
	s_load_dwordx2 s[12:13], s[2:3], 0x0
	s_load_dwordx2 s[18:19], s[18:19], 0x0
	v_cmp_lt_i64_e64 s2, s[28:29], 1
	s_ashr_i32 s7, s6, 31
	s_ashr_i32 s1, s0, 31
	s_lshl_b64 s[6:7], s[6:7], 5
	s_lshl_b64 s[30:31], s[0:1], 5
	s_and_b32 vcc_lo, exec_lo, s2
	s_cbranch_vccnz .LBB162_3
; %bb.1:
	s_clause 0x1
	s_load_dwordx8 s[20:27], s[4:5], 0x20
	s_load_dwordx4 s[0:3], s[4:5], 0x40
	v_lshlrev_b32_e32 v9, 4, v1
	v_and_b32_e32 v11, 7, v0
	v_lshlrev_b32_e32 v8, 1, v0
	v_add_nc_u32_e32 v10, v9, v0
	v_lshlrev_b32_e32 v13, 1, v11
	v_add_nc_u32_e32 v9, 0x200, v9
	v_and_b32_e32 v12, 31, v10
	v_lshrrev_b32_e32 v2, 3, v10
	v_lshrrev_b32_e32 v10, 5, v10
	v_add_co_u32 v6, s33, s6, v12
	v_add_co_ci_u32_e64 v7, null, s7, 0, s33
	s_waitcnt lgkmcnt(0)
	s_add_u32 s20, s20, s34
	s_addc_u32 s21, s21, s35
	s_add_u32 s26, s26, s34
	s_addc_u32 s27, s27, s35
	v_mad_u64_u32 v[4:5], null, s0, v11, v[2:3]
	s_load_dwordx2 s[26:27], s[26:27], 0x0
	v_mul_lo_u32 v14, s23, v6
	v_mul_lo_u32 v15, s22, v7
	v_mad_u64_u32 v[6:7], null, s22, v6, 0
	v_lshlrev_b32_e32 v12, 1, v12
	v_lshl_or_b32 v16, v2, 4, v13
	v_mov_b32_e32 v2, v5
	v_lshlrev_b32_e32 v17, 1, v10
	s_load_dwordx2 s[20:21], s[20:21], 0x0
	v_lshl_or_b32 v10, v10, 6, v12
	v_add3_u32 v7, v7, v15, v14
	v_mad_u64_u32 v[12:13], null, s1, v11, v[2:3]
	s_lshl_b64 s[2:3], s[2:3], 1
	v_add_co_u32 v13, vcc_lo, v4, s30
	v_lshlrev_b64 v[5:6], 1, v[6:7]
	v_add_nc_u32_e32 v11, 0x200, v16
	v_add_co_ci_u32_e64 v14, null, s31, v12, vcc_lo
	s_waitcnt lgkmcnt(0)
	s_add_u32 s22, s26, s2
	s_addc_u32 s23, s27, s3
	s_lshl_b64 s[2:3], s[24:25], 1
	v_add_co_u32 v2, vcc_lo, v5, s2
	v_add_co_ci_u32_e64 v6, null, s3, v6, vcc_lo
	v_lshlrev_b64 v[4:5], 1, v[13:14]
	v_add_co_u32 v2, vcc_lo, v2, v17
	v_add_co_ci_u32_e64 v7, null, 0, v6, vcc_lo
	s_lshl_b64 s[2:3], s[0:1], 4
	v_add_co_u32 v4, vcc_lo, s22, v4
	v_add_co_ci_u32_e64 v5, null, s23, v5, vcc_lo
	v_add_co_u32 v6, vcc_lo, s20, v2
	v_add_co_ci_u32_e64 v7, null, s21, v7, vcc_lo
	v_mov_b32_e32 v2, 0
	s_mov_b64 s[20:21], 0
.LBB162_2:                              ; =>This Inner Loop Header: Depth=1
	flat_load_ushort v12, v[6:7]
	s_add_u32 s20, s20, 8
	s_addc_u32 s21, s21, 0
	v_add_co_u32 v6, vcc_lo, v6, 16
	v_cmp_lt_i64_e64 s0, s[20:21], s[28:29]
	v_add_co_ci_u32_e64 v7, null, 0, v7, vcc_lo
	s_and_b32 vcc_lo, exec_lo, s0
	s_waitcnt vmcnt(0) lgkmcnt(0)
	ds_write_b16 v10, v12
	flat_load_ushort v12, v[4:5]
	v_add_co_u32 v4, s0, v4, s2
	v_add_co_ci_u32_e64 v5, null, s3, v5, s0
	s_waitcnt vmcnt(0) lgkmcnt(0)
	ds_write_b16 v11, v12
	s_waitcnt lgkmcnt(0)
	s_barrier
	buffer_gl0_inv
	ds_read_u16 v20, v8 offset:32
	ds_read_u16 v21, v8 offset:96
	;; [unrolled: 1-line block ×3, first 2 shown]
	ds_read_b128 v[12:15], v9
	ds_read_b128 v[16:19], v9 offset:256
	ds_read_u16 v23, v8 offset:224
	ds_read_u16 v24, v8 offset:288
	;; [unrolled: 1-line block ×5, first 2 shown]
	s_waitcnt lgkmcnt(9)
	ds_read_u16_d16_hi v20, v8
	s_waitcnt lgkmcnt(9)
	ds_read_u16_d16_hi v21, v8 offset:64
	s_waitcnt lgkmcnt(9)
	ds_read_u16_d16_hi v22, v8 offset:128
	;; [unrolled: 2-line block ×7, first 2 shown]
	s_waitcnt lgkmcnt(0)
	s_barrier
	buffer_gl0_inv
	v_pk_fma_f16 v3, v20, v12, v3 op_sel_hi:[1,0,1]
	v_pk_fma_f16 v2, v20, v16, v2 op_sel_hi:[1,0,1]
	v_pk_fma_f16 v3, v21, v12, v3 op_sel:[0,1,0]
	v_pk_fma_f16 v2, v21, v16, v2 op_sel:[0,1,0]
	v_pk_fma_f16 v3, v22, v13, v3 op_sel_hi:[1,0,1]
	v_pk_fma_f16 v2, v22, v17, v2 op_sel_hi:[1,0,1]
	v_pk_fma_f16 v3, v23, v13, v3 op_sel:[0,1,0]
	v_pk_fma_f16 v2, v23, v17, v2 op_sel:[0,1,0]
	;; [unrolled: 4-line block ×4, first 2 shown]
	s_cbranch_vccnz .LBB162_2
	s_branch .LBB162_4
.LBB162_3:
	v_mov_b32_e32 v2, 0
.LBB162_4:
	s_clause 0x1
	s_load_dword s1, s[4:5], 0x50
	s_load_dword s0, s[4:5], 0x18
	v_add_co_u32 v5, s4, s30, v1
	v_add_co_ci_u32_e64 v9, null, s31, 0, s4
	v_add_co_u32 v0, s4, s6, v0
	v_add_co_ci_u32_e64 v1, null, s7, 0, s4
	v_mul_lo_u32 v7, v9, s8
	v_mul_lo_u32 v8, v5, s9
	s_lshl_b64 s[2:3], s[10:11], 1
	v_lshlrev_b64 v[0:1], 1, v[0:1]
	v_lshrrev_b32_e32 v6, 16, v3
	v_lshrrev_b32_e32 v4, 16, v2
	s_waitcnt lgkmcnt(0)
	s_add_u32 s2, s18, s2
	s_addc_u32 s3, s19, s3
	v_cmp_neq_f16_e64 s4, s1, 0
	s_and_b32 vcc_lo, exec_lo, s4
	s_mov_b32 s4, 0
	s_cbranch_vccnz .LBB162_8
; %bb.5:
	v_mad_u64_u32 v[10:11], null, v5, s8, 0
	s_lshl_b64 s[6:7], s[8:9], 5
	v_mul_f16_sdwa v14, s0, v3 dst_sel:DWORD dst_unused:UNUSED_PAD src0_sel:DWORD src1_sel:WORD_1
	v_mul_f16_e32 v15, s0, v3
	v_mul_f16_sdwa v16, s0, v2 dst_sel:DWORD dst_unused:UNUSED_PAD src0_sel:DWORD src1_sel:WORD_1
	v_mul_f16_e32 v17, s0, v2
	v_add3_u32 v11, v11, v8, v7
	v_lshlrev_b64 v[10:11], 1, v[10:11]
	v_add_co_u32 v10, vcc_lo, s2, v10
	v_add_co_ci_u32_e64 v11, null, s3, v11, vcc_lo
	v_add_co_u32 v12, vcc_lo, v10, s6
	v_add_co_ci_u32_e64 v13, null, s7, v11, vcc_lo
	;; [unrolled: 2-line block ×4, first 2 shown]
	flat_store_short v[10:11], v14
	flat_store_short v[10:11], v15 offset:32
	flat_store_short v[12:13], v16
	flat_store_short v[12:13], v17 offset:32
	s_andn2_b32 vcc_lo, exec_lo, s4
	s_cbranch_vccnz .LBB162_7
.LBB162_6:
	v_mul_lo_u32 v11, v9, s14
	v_mul_lo_u32 v12, v5, s15
	v_mad_u64_u32 v[9:10], null, v5, s14, 0
	s_lshl_b64 s[4:5], s[16:17], 1
	s_add_u32 s4, s12, s4
	s_addc_u32 s5, s13, s5
	v_add3_u32 v10, v10, v12, v11
	v_mad_u64_u32 v[11:12], null, v5, s8, 0
	v_lshlrev_b64 v[9:10], 1, v[9:10]
	v_add3_u32 v12, v12, v8, v7
	v_add_co_u32 v13, vcc_lo, s4, v9
	v_add_co_ci_u32_e64 v14, null, s5, v10, vcc_lo
	v_lshlrev_b64 v[7:8], 1, v[11:12]
	v_add_co_u32 v9, vcc_lo, v13, v0
	v_add_co_ci_u32_e64 v10, null, v14, v1, vcc_lo
	v_add_co_u32 v11, vcc_lo, s2, v7
	flat_load_ushort v15, v[9:10]
	v_add_co_ci_u32_e64 v12, null, s3, v8, vcc_lo
	v_add_co_u32 v7, vcc_lo, v11, v0
	s_lshl_b64 s[2:3], s[14:15], 5
	v_add_co_ci_u32_e64 v8, null, v12, v1, vcc_lo
	s_waitcnt vmcnt(0) lgkmcnt(0)
	v_mul_f16_e32 v5, s1, v15
	v_fmac_f16_e32 v5, s0, v6
	flat_store_short v[7:8], v5
	flat_load_ushort v5, v[9:10] offset:32
	s_waitcnt vmcnt(0) lgkmcnt(0)
	v_mul_f16_e32 v9, s1, v5
	v_add_co_u32 v5, vcc_lo, v13, s2
	v_add_co_ci_u32_e64 v6, null, s3, v14, vcc_lo
	v_fmac_f16_e32 v9, s0, v3
	v_add_co_u32 v5, vcc_lo, v5, v0
	v_add_co_ci_u32_e64 v6, null, v6, v1, vcc_lo
	flat_store_short v[7:8], v9 offset:32
	s_lshl_b64 s[2:3], s[8:9], 5
	flat_load_ushort v3, v[5:6]
	v_add_co_u32 v7, vcc_lo, v11, s2
	v_add_co_ci_u32_e64 v8, null, s3, v12, vcc_lo
	v_add_co_u32 v0, vcc_lo, v7, v0
	v_add_co_ci_u32_e64 v1, null, v8, v1, vcc_lo
	s_waitcnt vmcnt(0) lgkmcnt(0)
	v_mul_f16_e32 v3, s1, v3
	v_fmac_f16_e32 v3, s0, v4
	flat_store_short v[0:1], v3
	flat_load_ushort v3, v[5:6] offset:32
	s_waitcnt vmcnt(0) lgkmcnt(0)
	v_mul_f16_e32 v3, s1, v3
	v_fmac_f16_e32 v3, s0, v2
	flat_store_short v[0:1], v3 offset:32
.LBB162_7:
	s_endpgm
.LBB162_8:
	s_branch .LBB162_6
	.section	.rodata,"a",@progbits
	.p2align	6, 0x0
	.amdhsa_kernel _ZN12_GLOBAL__N_127rocblas_gemm_batched_kernelIDF16_Li16ELi16ELi32ELi32ELi8ELi32ELi8ELi8ELi32ELc67ELc84EKPKDF16_S3_KPDF16_EEvlllT_PT11_llS8_llS6_PT12_llPT13_lli
		.amdhsa_group_segment_fixed_size 1024
		.amdhsa_private_segment_fixed_size 0
		.amdhsa_kernarg_size 140
		.amdhsa_user_sgpr_count 6
		.amdhsa_user_sgpr_private_segment_buffer 1
		.amdhsa_user_sgpr_dispatch_ptr 0
		.amdhsa_user_sgpr_queue_ptr 0
		.amdhsa_user_sgpr_kernarg_segment_ptr 1
		.amdhsa_user_sgpr_dispatch_id 0
		.amdhsa_user_sgpr_flat_scratch_init 0
		.amdhsa_user_sgpr_private_segment_size 0
		.amdhsa_wavefront_size32 1
		.amdhsa_uses_dynamic_stack 0
		.amdhsa_system_sgpr_private_segment_wavefront_offset 0
		.amdhsa_system_sgpr_workgroup_id_x 1
		.amdhsa_system_sgpr_workgroup_id_y 1
		.amdhsa_system_sgpr_workgroup_id_z 1
		.amdhsa_system_sgpr_workgroup_info 0
		.amdhsa_system_vgpr_workitem_id 1
		.amdhsa_next_free_vgpr 28
		.amdhsa_next_free_sgpr 36
		.amdhsa_reserve_vcc 1
		.amdhsa_reserve_flat_scratch 0
		.amdhsa_float_round_mode_32 0
		.amdhsa_float_round_mode_16_64 0
		.amdhsa_float_denorm_mode_32 3
		.amdhsa_float_denorm_mode_16_64 3
		.amdhsa_dx10_clamp 1
		.amdhsa_ieee_mode 1
		.amdhsa_fp16_overflow 0
		.amdhsa_workgroup_processor_mode 1
		.amdhsa_memory_ordered 1
		.amdhsa_forward_progress 1
		.amdhsa_shared_vgpr_count 0
		.amdhsa_exception_fp_ieee_invalid_op 0
		.amdhsa_exception_fp_denorm_src 0
		.amdhsa_exception_fp_ieee_div_zero 0
		.amdhsa_exception_fp_ieee_overflow 0
		.amdhsa_exception_fp_ieee_underflow 0
		.amdhsa_exception_fp_ieee_inexact 0
		.amdhsa_exception_int_div_zero 0
	.end_amdhsa_kernel
	.section	.text._ZN12_GLOBAL__N_127rocblas_gemm_batched_kernelIDF16_Li16ELi16ELi32ELi32ELi8ELi32ELi8ELi8ELi32ELc67ELc84EKPKDF16_S3_KPDF16_EEvlllT_PT11_llS8_llS6_PT12_llPT13_lli,"axG",@progbits,_ZN12_GLOBAL__N_127rocblas_gemm_batched_kernelIDF16_Li16ELi16ELi32ELi32ELi8ELi32ELi8ELi8ELi32ELc67ELc84EKPKDF16_S3_KPDF16_EEvlllT_PT11_llS8_llS6_PT12_llPT13_lli,comdat
.Lfunc_end162:
	.size	_ZN12_GLOBAL__N_127rocblas_gemm_batched_kernelIDF16_Li16ELi16ELi32ELi32ELi8ELi32ELi8ELi8ELi32ELc67ELc84EKPKDF16_S3_KPDF16_EEvlllT_PT11_llS8_llS6_PT12_llPT13_lli, .Lfunc_end162-_ZN12_GLOBAL__N_127rocblas_gemm_batched_kernelIDF16_Li16ELi16ELi32ELi32ELi8ELi32ELi8ELi8ELi32ELc67ELc84EKPKDF16_S3_KPDF16_EEvlllT_PT11_llS8_llS6_PT12_llPT13_lli
                                        ; -- End function
	.set _ZN12_GLOBAL__N_127rocblas_gemm_batched_kernelIDF16_Li16ELi16ELi32ELi32ELi8ELi32ELi8ELi8ELi32ELc67ELc84EKPKDF16_S3_KPDF16_EEvlllT_PT11_llS8_llS6_PT12_llPT13_lli.num_vgpr, 28
	.set _ZN12_GLOBAL__N_127rocblas_gemm_batched_kernelIDF16_Li16ELi16ELi32ELi32ELi8ELi32ELi8ELi8ELi32ELc67ELc84EKPKDF16_S3_KPDF16_EEvlllT_PT11_llS8_llS6_PT12_llPT13_lli.num_agpr, 0
	.set _ZN12_GLOBAL__N_127rocblas_gemm_batched_kernelIDF16_Li16ELi16ELi32ELi32ELi8ELi32ELi8ELi8ELi32ELc67ELc84EKPKDF16_S3_KPDF16_EEvlllT_PT11_llS8_llS6_PT12_llPT13_lli.numbered_sgpr, 36
	.set _ZN12_GLOBAL__N_127rocblas_gemm_batched_kernelIDF16_Li16ELi16ELi32ELi32ELi8ELi32ELi8ELi8ELi32ELc67ELc84EKPKDF16_S3_KPDF16_EEvlllT_PT11_llS8_llS6_PT12_llPT13_lli.num_named_barrier, 0
	.set _ZN12_GLOBAL__N_127rocblas_gemm_batched_kernelIDF16_Li16ELi16ELi32ELi32ELi8ELi32ELi8ELi8ELi32ELc67ELc84EKPKDF16_S3_KPDF16_EEvlllT_PT11_llS8_llS6_PT12_llPT13_lli.private_seg_size, 0
	.set _ZN12_GLOBAL__N_127rocblas_gemm_batched_kernelIDF16_Li16ELi16ELi32ELi32ELi8ELi32ELi8ELi8ELi32ELc67ELc84EKPKDF16_S3_KPDF16_EEvlllT_PT11_llS8_llS6_PT12_llPT13_lli.uses_vcc, 1
	.set _ZN12_GLOBAL__N_127rocblas_gemm_batched_kernelIDF16_Li16ELi16ELi32ELi32ELi8ELi32ELi8ELi8ELi32ELc67ELc84EKPKDF16_S3_KPDF16_EEvlllT_PT11_llS8_llS6_PT12_llPT13_lli.uses_flat_scratch, 0
	.set _ZN12_GLOBAL__N_127rocblas_gemm_batched_kernelIDF16_Li16ELi16ELi32ELi32ELi8ELi32ELi8ELi8ELi32ELc67ELc84EKPKDF16_S3_KPDF16_EEvlllT_PT11_llS8_llS6_PT12_llPT13_lli.has_dyn_sized_stack, 0
	.set _ZN12_GLOBAL__N_127rocblas_gemm_batched_kernelIDF16_Li16ELi16ELi32ELi32ELi8ELi32ELi8ELi8ELi32ELc67ELc84EKPKDF16_S3_KPDF16_EEvlllT_PT11_llS8_llS6_PT12_llPT13_lli.has_recursion, 0
	.set _ZN12_GLOBAL__N_127rocblas_gemm_batched_kernelIDF16_Li16ELi16ELi32ELi32ELi8ELi32ELi8ELi8ELi32ELc67ELc84EKPKDF16_S3_KPDF16_EEvlllT_PT11_llS8_llS6_PT12_llPT13_lli.has_indirect_call, 0
	.section	.AMDGPU.csdata,"",@progbits
; Kernel info:
; codeLenInByte = 1484
; TotalNumSgprs: 38
; NumVgprs: 28
; ScratchSize: 0
; MemoryBound: 0
; FloatMode: 240
; IeeeMode: 1
; LDSByteSize: 1024 bytes/workgroup (compile time only)
; SGPRBlocks: 0
; VGPRBlocks: 3
; NumSGPRsForWavesPerEU: 38
; NumVGPRsForWavesPerEU: 28
; Occupancy: 16
; WaveLimiterHint : 1
; COMPUTE_PGM_RSRC2:SCRATCH_EN: 0
; COMPUTE_PGM_RSRC2:USER_SGPR: 6
; COMPUTE_PGM_RSRC2:TRAP_HANDLER: 0
; COMPUTE_PGM_RSRC2:TGID_X_EN: 1
; COMPUTE_PGM_RSRC2:TGID_Y_EN: 1
; COMPUTE_PGM_RSRC2:TGID_Z_EN: 1
; COMPUTE_PGM_RSRC2:TIDIG_COMP_CNT: 1
	.section	.text._ZN12_GLOBAL__N_127rocblas_gemm_batched_kernelIDF16_Li16ELi16ELi32ELi32ELi8ELi32ELi8ELi8ELi32ELc78ELc67EKPKDF16_S3_KPDF16_EEvlllT_PT11_llS8_llS6_PT12_llPT13_lli,"axG",@progbits,_ZN12_GLOBAL__N_127rocblas_gemm_batched_kernelIDF16_Li16ELi16ELi32ELi32ELi8ELi32ELi8ELi8ELi32ELc78ELc67EKPKDF16_S3_KPDF16_EEvlllT_PT11_llS8_llS6_PT12_llPT13_lli,comdat
	.globl	_ZN12_GLOBAL__N_127rocblas_gemm_batched_kernelIDF16_Li16ELi16ELi32ELi32ELi8ELi32ELi8ELi8ELi32ELc78ELc67EKPKDF16_S3_KPDF16_EEvlllT_PT11_llS8_llS6_PT12_llPT13_lli ; -- Begin function _ZN12_GLOBAL__N_127rocblas_gemm_batched_kernelIDF16_Li16ELi16ELi32ELi32ELi8ELi32ELi8ELi8ELi32ELc78ELc67EKPKDF16_S3_KPDF16_EEvlllT_PT11_llS8_llS6_PT12_llPT13_lli
	.p2align	8
	.type	_ZN12_GLOBAL__N_127rocblas_gemm_batched_kernelIDF16_Li16ELi16ELi32ELi32ELi8ELi32ELi8ELi8ELi32ELc78ELc67EKPKDF16_S3_KPDF16_EEvlllT_PT11_llS8_llS6_PT12_llPT13_lli,@function
_ZN12_GLOBAL__N_127rocblas_gemm_batched_kernelIDF16_Li16ELi16ELi32ELi32ELi8ELi32ELi8ELi8ELi32ELc78ELc67EKPKDF16_S3_KPDF16_EEvlllT_PT11_llS8_llS6_PT12_llPT13_lli: ; @_ZN12_GLOBAL__N_127rocblas_gemm_batched_kernelIDF16_Li16ELi16ELi32ELi32ELi8ELi32ELi8ELi8ELi32ELc78ELc67EKPKDF16_S3_KPDF16_EEvlllT_PT11_llS8_llS6_PT12_llPT13_lli
; %bb.0:
	s_clause 0x1
	s_load_dwordx8 s[12:19], s[4:5], 0x58
	s_load_dwordx2 s[28:29], s[4:5], 0x10
	s_mov_b32 s9, 0
	s_mov_b32 s0, s7
	s_lshl_b64 s[34:35], s[8:9], 3
	s_load_dwordx4 s[8:11], s[4:5], 0x78
	v_mov_b32_e32 v3, 0
	s_waitcnt lgkmcnt(0)
	s_add_u32 s2, s12, s34
	s_addc_u32 s3, s13, s35
	s_add_u32 s18, s18, s34
	s_addc_u32 s19, s19, s35
	s_load_dwordx2 s[12:13], s[2:3], 0x0
	s_load_dwordx2 s[18:19], s[18:19], 0x0
	v_cmp_lt_i64_e64 s2, s[28:29], 1
	s_ashr_i32 s7, s6, 31
	s_ashr_i32 s1, s0, 31
	s_lshl_b64 s[6:7], s[6:7], 5
	s_lshl_b64 s[30:31], s[0:1], 5
	s_and_b32 vcc_lo, exec_lo, s2
	s_cbranch_vccnz .LBB163_3
; %bb.1:
	s_clause 0x1
	s_load_dwordx8 s[20:27], s[4:5], 0x20
	s_load_dwordx4 s[0:3], s[4:5], 0x40
	v_lshlrev_b32_e32 v9, 4, v1
	v_and_b32_e32 v11, 7, v0
	v_lshlrev_b32_e32 v8, 1, v0
	v_add_nc_u32_e32 v4, v9, v0
	v_lshlrev_b32_e32 v10, 1, v11
	v_add_nc_u32_e32 v9, 0x200, v9
	v_lshrrev_b32_e32 v2, 3, v4
	v_lshrrev_b32_e32 v14, 5, v4
	v_and_b32_e32 v15, 31, v4
	v_lshl_or_b32 v16, v2, 4, v10
	v_lshlrev_b32_e32 v12, 1, v15
	s_waitcnt lgkmcnt(0)
	v_mad_u64_u32 v[6:7], null, s22, v14, s[6:7]
	v_mad_u64_u32 v[4:5], null, s0, v11, v[2:3]
	s_add_u32 s20, s20, s34
	s_addc_u32 s21, s21, s35
	s_add_u32 s26, s26, s34
	s_addc_u32 s27, s27, s35
	s_load_dwordx2 s[20:21], s[20:21], 0x0
	s_load_dwordx2 s[26:27], s[26:27], 0x0
	v_mov_b32_e32 v2, v5
	v_mov_b32_e32 v5, v7
	v_lshl_or_b32 v10, v14, 6, v12
	v_add_co_u32 v4, vcc_lo, v4, s30
	v_mad_u64_u32 v[12:13], null, s1, v11, v[2:3]
	v_mad_u64_u32 v[13:14], null, s23, v14, v[5:6]
	s_lshl_b64 s[2:3], s[2:3], 1
	v_add_nc_u32_e32 v11, 0x200, v16
	v_mov_b32_e32 v2, 0
	v_add_co_ci_u32_e64 v5, null, s31, v12, vcc_lo
	v_add_co_u32 v6, vcc_lo, v6, v15
	v_add_co_ci_u32_e64 v7, null, 0, v13, vcc_lo
	v_lshlrev_b64 v[4:5], 1, v[4:5]
	s_waitcnt lgkmcnt(0)
	s_add_u32 s26, s26, s2
	s_addc_u32 s27, s27, s3
	v_lshlrev_b64 v[6:7], 1, v[6:7]
	s_lshl_b64 s[2:3], s[0:1], 4
	s_lshl_b64 s[0:1], s[24:25], 1
	v_add_co_u32 v4, vcc_lo, s26, v4
	s_add_u32 s0, s20, s0
	s_addc_u32 s1, s21, s1
	v_add_co_ci_u32_e64 v5, null, s27, v5, vcc_lo
	v_add_co_u32 v6, vcc_lo, s0, v6
	v_add_co_ci_u32_e64 v7, null, s1, v7, vcc_lo
	s_lshl_b64 s[20:21], s[22:23], 4
	s_mov_b64 s[22:23], 0
.LBB163_2:                              ; =>This Inner Loop Header: Depth=1
	flat_load_ushort v12, v[6:7]
	s_add_u32 s22, s22, 8
	s_addc_u32 s23, s23, 0
	v_add_co_u32 v6, vcc_lo, v6, s20
	v_cmp_lt_i64_e64 s0, s[22:23], s[28:29]
	v_add_co_ci_u32_e64 v7, null, s21, v7, vcc_lo
	s_and_b32 vcc_lo, exec_lo, s0
	s_waitcnt vmcnt(0) lgkmcnt(0)
	ds_write_b16 v10, v12
	flat_load_ushort v12, v[4:5]
	v_add_co_u32 v4, s0, v4, s2
	v_add_co_ci_u32_e64 v5, null, s3, v5, s0
	s_waitcnt vmcnt(0) lgkmcnt(0)
	ds_write_b16 v11, v12
	s_waitcnt lgkmcnt(0)
	s_barrier
	buffer_gl0_inv
	ds_read_u16 v20, v8 offset:32
	ds_read_u16 v21, v8 offset:96
	;; [unrolled: 1-line block ×3, first 2 shown]
	ds_read_b128 v[12:15], v9
	ds_read_b128 v[16:19], v9 offset:256
	ds_read_u16 v23, v8 offset:224
	ds_read_u16 v24, v8 offset:288
	;; [unrolled: 1-line block ×5, first 2 shown]
	s_waitcnt lgkmcnt(9)
	ds_read_u16_d16_hi v20, v8
	s_waitcnt lgkmcnt(9)
	ds_read_u16_d16_hi v21, v8 offset:64
	s_waitcnt lgkmcnt(9)
	ds_read_u16_d16_hi v22, v8 offset:128
	;; [unrolled: 2-line block ×7, first 2 shown]
	s_waitcnt lgkmcnt(0)
	s_barrier
	buffer_gl0_inv
	v_pk_fma_f16 v3, v20, v12, v3 op_sel_hi:[1,0,1]
	v_pk_fma_f16 v2, v20, v16, v2 op_sel_hi:[1,0,1]
	v_pk_fma_f16 v3, v21, v12, v3 op_sel:[0,1,0]
	v_pk_fma_f16 v2, v21, v16, v2 op_sel:[0,1,0]
	v_pk_fma_f16 v3, v22, v13, v3 op_sel_hi:[1,0,1]
	v_pk_fma_f16 v2, v22, v17, v2 op_sel_hi:[1,0,1]
	v_pk_fma_f16 v3, v23, v13, v3 op_sel:[0,1,0]
	v_pk_fma_f16 v2, v23, v17, v2 op_sel:[0,1,0]
	;; [unrolled: 4-line block ×4, first 2 shown]
	s_cbranch_vccnz .LBB163_2
	s_branch .LBB163_4
.LBB163_3:
	v_mov_b32_e32 v2, 0
.LBB163_4:
	s_clause 0x1
	s_load_dword s1, s[4:5], 0x50
	s_load_dword s0, s[4:5], 0x18
	v_add_co_u32 v5, s4, s30, v1
	v_add_co_ci_u32_e64 v9, null, s31, 0, s4
	v_add_co_u32 v0, s4, s6, v0
	v_add_co_ci_u32_e64 v1, null, s7, 0, s4
	v_mul_lo_u32 v7, v9, s8
	v_mul_lo_u32 v8, v5, s9
	s_lshl_b64 s[2:3], s[10:11], 1
	v_lshlrev_b64 v[0:1], 1, v[0:1]
	v_lshrrev_b32_e32 v6, 16, v3
	v_lshrrev_b32_e32 v4, 16, v2
	s_waitcnt lgkmcnt(0)
	s_add_u32 s2, s18, s2
	s_addc_u32 s3, s19, s3
	v_cmp_neq_f16_e64 s4, s1, 0
	s_and_b32 vcc_lo, exec_lo, s4
	s_mov_b32 s4, 0
	s_cbranch_vccnz .LBB163_8
; %bb.5:
	v_mad_u64_u32 v[10:11], null, v5, s8, 0
	s_lshl_b64 s[6:7], s[8:9], 5
	v_mul_f16_sdwa v14, s0, v3 dst_sel:DWORD dst_unused:UNUSED_PAD src0_sel:DWORD src1_sel:WORD_1
	v_mul_f16_e32 v15, s0, v3
	v_mul_f16_sdwa v16, s0, v2 dst_sel:DWORD dst_unused:UNUSED_PAD src0_sel:DWORD src1_sel:WORD_1
	v_mul_f16_e32 v17, s0, v2
	v_add3_u32 v11, v11, v8, v7
	v_lshlrev_b64 v[10:11], 1, v[10:11]
	v_add_co_u32 v10, vcc_lo, s2, v10
	v_add_co_ci_u32_e64 v11, null, s3, v11, vcc_lo
	v_add_co_u32 v12, vcc_lo, v10, s6
	v_add_co_ci_u32_e64 v13, null, s7, v11, vcc_lo
	;; [unrolled: 2-line block ×4, first 2 shown]
	flat_store_short v[10:11], v14
	flat_store_short v[10:11], v15 offset:32
	flat_store_short v[12:13], v16
	flat_store_short v[12:13], v17 offset:32
	s_andn2_b32 vcc_lo, exec_lo, s4
	s_cbranch_vccnz .LBB163_7
.LBB163_6:
	v_mul_lo_u32 v11, v9, s14
	v_mul_lo_u32 v12, v5, s15
	v_mad_u64_u32 v[9:10], null, v5, s14, 0
	s_lshl_b64 s[4:5], s[16:17], 1
	s_add_u32 s4, s12, s4
	s_addc_u32 s5, s13, s5
	v_add3_u32 v10, v10, v12, v11
	v_mad_u64_u32 v[11:12], null, v5, s8, 0
	v_lshlrev_b64 v[9:10], 1, v[9:10]
	v_add3_u32 v12, v12, v8, v7
	v_add_co_u32 v13, vcc_lo, s4, v9
	v_add_co_ci_u32_e64 v14, null, s5, v10, vcc_lo
	v_lshlrev_b64 v[7:8], 1, v[11:12]
	v_add_co_u32 v9, vcc_lo, v13, v0
	v_add_co_ci_u32_e64 v10, null, v14, v1, vcc_lo
	v_add_co_u32 v11, vcc_lo, s2, v7
	flat_load_ushort v15, v[9:10]
	v_add_co_ci_u32_e64 v12, null, s3, v8, vcc_lo
	v_add_co_u32 v7, vcc_lo, v11, v0
	s_lshl_b64 s[2:3], s[14:15], 5
	v_add_co_ci_u32_e64 v8, null, v12, v1, vcc_lo
	s_waitcnt vmcnt(0) lgkmcnt(0)
	v_mul_f16_e32 v5, s1, v15
	v_fmac_f16_e32 v5, s0, v6
	flat_store_short v[7:8], v5
	flat_load_ushort v5, v[9:10] offset:32
	s_waitcnt vmcnt(0) lgkmcnt(0)
	v_mul_f16_e32 v9, s1, v5
	v_add_co_u32 v5, vcc_lo, v13, s2
	v_add_co_ci_u32_e64 v6, null, s3, v14, vcc_lo
	v_fmac_f16_e32 v9, s0, v3
	v_add_co_u32 v5, vcc_lo, v5, v0
	v_add_co_ci_u32_e64 v6, null, v6, v1, vcc_lo
	flat_store_short v[7:8], v9 offset:32
	s_lshl_b64 s[2:3], s[8:9], 5
	flat_load_ushort v3, v[5:6]
	v_add_co_u32 v7, vcc_lo, v11, s2
	v_add_co_ci_u32_e64 v8, null, s3, v12, vcc_lo
	v_add_co_u32 v0, vcc_lo, v7, v0
	v_add_co_ci_u32_e64 v1, null, v8, v1, vcc_lo
	s_waitcnt vmcnt(0) lgkmcnt(0)
	v_mul_f16_e32 v3, s1, v3
	v_fmac_f16_e32 v3, s0, v4
	flat_store_short v[0:1], v3
	flat_load_ushort v3, v[5:6] offset:32
	s_waitcnt vmcnt(0) lgkmcnt(0)
	v_mul_f16_e32 v3, s1, v3
	v_fmac_f16_e32 v3, s0, v2
	flat_store_short v[0:1], v3 offset:32
.LBB163_7:
	s_endpgm
.LBB163_8:
	s_branch .LBB163_6
	.section	.rodata,"a",@progbits
	.p2align	6, 0x0
	.amdhsa_kernel _ZN12_GLOBAL__N_127rocblas_gemm_batched_kernelIDF16_Li16ELi16ELi32ELi32ELi8ELi32ELi8ELi8ELi32ELc78ELc67EKPKDF16_S3_KPDF16_EEvlllT_PT11_llS8_llS6_PT12_llPT13_lli
		.amdhsa_group_segment_fixed_size 1024
		.amdhsa_private_segment_fixed_size 0
		.amdhsa_kernarg_size 140
		.amdhsa_user_sgpr_count 6
		.amdhsa_user_sgpr_private_segment_buffer 1
		.amdhsa_user_sgpr_dispatch_ptr 0
		.amdhsa_user_sgpr_queue_ptr 0
		.amdhsa_user_sgpr_kernarg_segment_ptr 1
		.amdhsa_user_sgpr_dispatch_id 0
		.amdhsa_user_sgpr_flat_scratch_init 0
		.amdhsa_user_sgpr_private_segment_size 0
		.amdhsa_wavefront_size32 1
		.amdhsa_uses_dynamic_stack 0
		.amdhsa_system_sgpr_private_segment_wavefront_offset 0
		.amdhsa_system_sgpr_workgroup_id_x 1
		.amdhsa_system_sgpr_workgroup_id_y 1
		.amdhsa_system_sgpr_workgroup_id_z 1
		.amdhsa_system_sgpr_workgroup_info 0
		.amdhsa_system_vgpr_workitem_id 1
		.amdhsa_next_free_vgpr 28
		.amdhsa_next_free_sgpr 36
		.amdhsa_reserve_vcc 1
		.amdhsa_reserve_flat_scratch 0
		.amdhsa_float_round_mode_32 0
		.amdhsa_float_round_mode_16_64 0
		.amdhsa_float_denorm_mode_32 3
		.amdhsa_float_denorm_mode_16_64 3
		.amdhsa_dx10_clamp 1
		.amdhsa_ieee_mode 1
		.amdhsa_fp16_overflow 0
		.amdhsa_workgroup_processor_mode 1
		.amdhsa_memory_ordered 1
		.amdhsa_forward_progress 1
		.amdhsa_shared_vgpr_count 0
		.amdhsa_exception_fp_ieee_invalid_op 0
		.amdhsa_exception_fp_denorm_src 0
		.amdhsa_exception_fp_ieee_div_zero 0
		.amdhsa_exception_fp_ieee_overflow 0
		.amdhsa_exception_fp_ieee_underflow 0
		.amdhsa_exception_fp_ieee_inexact 0
		.amdhsa_exception_int_div_zero 0
	.end_amdhsa_kernel
	.section	.text._ZN12_GLOBAL__N_127rocblas_gemm_batched_kernelIDF16_Li16ELi16ELi32ELi32ELi8ELi32ELi8ELi8ELi32ELc78ELc67EKPKDF16_S3_KPDF16_EEvlllT_PT11_llS8_llS6_PT12_llPT13_lli,"axG",@progbits,_ZN12_GLOBAL__N_127rocblas_gemm_batched_kernelIDF16_Li16ELi16ELi32ELi32ELi8ELi32ELi8ELi8ELi32ELc78ELc67EKPKDF16_S3_KPDF16_EEvlllT_PT11_llS8_llS6_PT12_llPT13_lli,comdat
.Lfunc_end163:
	.size	_ZN12_GLOBAL__N_127rocblas_gemm_batched_kernelIDF16_Li16ELi16ELi32ELi32ELi8ELi32ELi8ELi8ELi32ELc78ELc67EKPKDF16_S3_KPDF16_EEvlllT_PT11_llS8_llS6_PT12_llPT13_lli, .Lfunc_end163-_ZN12_GLOBAL__N_127rocblas_gemm_batched_kernelIDF16_Li16ELi16ELi32ELi32ELi8ELi32ELi8ELi8ELi32ELc78ELc67EKPKDF16_S3_KPDF16_EEvlllT_PT11_llS8_llS6_PT12_llPT13_lli
                                        ; -- End function
	.set _ZN12_GLOBAL__N_127rocblas_gemm_batched_kernelIDF16_Li16ELi16ELi32ELi32ELi8ELi32ELi8ELi8ELi32ELc78ELc67EKPKDF16_S3_KPDF16_EEvlllT_PT11_llS8_llS6_PT12_llPT13_lli.num_vgpr, 28
	.set _ZN12_GLOBAL__N_127rocblas_gemm_batched_kernelIDF16_Li16ELi16ELi32ELi32ELi8ELi32ELi8ELi8ELi32ELc78ELc67EKPKDF16_S3_KPDF16_EEvlllT_PT11_llS8_llS6_PT12_llPT13_lli.num_agpr, 0
	.set _ZN12_GLOBAL__N_127rocblas_gemm_batched_kernelIDF16_Li16ELi16ELi32ELi32ELi8ELi32ELi8ELi8ELi32ELc78ELc67EKPKDF16_S3_KPDF16_EEvlllT_PT11_llS8_llS6_PT12_llPT13_lli.numbered_sgpr, 36
	.set _ZN12_GLOBAL__N_127rocblas_gemm_batched_kernelIDF16_Li16ELi16ELi32ELi32ELi8ELi32ELi8ELi8ELi32ELc78ELc67EKPKDF16_S3_KPDF16_EEvlllT_PT11_llS8_llS6_PT12_llPT13_lli.num_named_barrier, 0
	.set _ZN12_GLOBAL__N_127rocblas_gemm_batched_kernelIDF16_Li16ELi16ELi32ELi32ELi8ELi32ELi8ELi8ELi32ELc78ELc67EKPKDF16_S3_KPDF16_EEvlllT_PT11_llS8_llS6_PT12_llPT13_lli.private_seg_size, 0
	.set _ZN12_GLOBAL__N_127rocblas_gemm_batched_kernelIDF16_Li16ELi16ELi32ELi32ELi8ELi32ELi8ELi8ELi32ELc78ELc67EKPKDF16_S3_KPDF16_EEvlllT_PT11_llS8_llS6_PT12_llPT13_lli.uses_vcc, 1
	.set _ZN12_GLOBAL__N_127rocblas_gemm_batched_kernelIDF16_Li16ELi16ELi32ELi32ELi8ELi32ELi8ELi8ELi32ELc78ELc67EKPKDF16_S3_KPDF16_EEvlllT_PT11_llS8_llS6_PT12_llPT13_lli.uses_flat_scratch, 0
	.set _ZN12_GLOBAL__N_127rocblas_gemm_batched_kernelIDF16_Li16ELi16ELi32ELi32ELi8ELi32ELi8ELi8ELi32ELc78ELc67EKPKDF16_S3_KPDF16_EEvlllT_PT11_llS8_llS6_PT12_llPT13_lli.has_dyn_sized_stack, 0
	.set _ZN12_GLOBAL__N_127rocblas_gemm_batched_kernelIDF16_Li16ELi16ELi32ELi32ELi8ELi32ELi8ELi8ELi32ELc78ELc67EKPKDF16_S3_KPDF16_EEvlllT_PT11_llS8_llS6_PT12_llPT13_lli.has_recursion, 0
	.set _ZN12_GLOBAL__N_127rocblas_gemm_batched_kernelIDF16_Li16ELi16ELi32ELi32ELi8ELi32ELi8ELi8ELi32ELc78ELc67EKPKDF16_S3_KPDF16_EEvlllT_PT11_llS8_llS6_PT12_llPT13_lli.has_indirect_call, 0
	.section	.AMDGPU.csdata,"",@progbits
; Kernel info:
; codeLenInByte = 1448
; TotalNumSgprs: 38
; NumVgprs: 28
; ScratchSize: 0
; MemoryBound: 0
; FloatMode: 240
; IeeeMode: 1
; LDSByteSize: 1024 bytes/workgroup (compile time only)
; SGPRBlocks: 0
; VGPRBlocks: 3
; NumSGPRsForWavesPerEU: 38
; NumVGPRsForWavesPerEU: 28
; Occupancy: 16
; WaveLimiterHint : 1
; COMPUTE_PGM_RSRC2:SCRATCH_EN: 0
; COMPUTE_PGM_RSRC2:USER_SGPR: 6
; COMPUTE_PGM_RSRC2:TRAP_HANDLER: 0
; COMPUTE_PGM_RSRC2:TGID_X_EN: 1
; COMPUTE_PGM_RSRC2:TGID_Y_EN: 1
; COMPUTE_PGM_RSRC2:TGID_Z_EN: 1
; COMPUTE_PGM_RSRC2:TIDIG_COMP_CNT: 1
	.section	.text._ZN12_GLOBAL__N_127rocblas_gemm_batched_kernelIDF16_Li16ELi16ELi32ELi32ELi8ELi32ELi8ELi8ELi32ELc84ELc67EKPKDF16_S3_KPDF16_EEvlllT_PT11_llS8_llS6_PT12_llPT13_lli,"axG",@progbits,_ZN12_GLOBAL__N_127rocblas_gemm_batched_kernelIDF16_Li16ELi16ELi32ELi32ELi8ELi32ELi8ELi8ELi32ELc84ELc67EKPKDF16_S3_KPDF16_EEvlllT_PT11_llS8_llS6_PT12_llPT13_lli,comdat
	.globl	_ZN12_GLOBAL__N_127rocblas_gemm_batched_kernelIDF16_Li16ELi16ELi32ELi32ELi8ELi32ELi8ELi8ELi32ELc84ELc67EKPKDF16_S3_KPDF16_EEvlllT_PT11_llS8_llS6_PT12_llPT13_lli ; -- Begin function _ZN12_GLOBAL__N_127rocblas_gemm_batched_kernelIDF16_Li16ELi16ELi32ELi32ELi8ELi32ELi8ELi8ELi32ELc84ELc67EKPKDF16_S3_KPDF16_EEvlllT_PT11_llS8_llS6_PT12_llPT13_lli
	.p2align	8
	.type	_ZN12_GLOBAL__N_127rocblas_gemm_batched_kernelIDF16_Li16ELi16ELi32ELi32ELi8ELi32ELi8ELi8ELi32ELc84ELc67EKPKDF16_S3_KPDF16_EEvlllT_PT11_llS8_llS6_PT12_llPT13_lli,@function
_ZN12_GLOBAL__N_127rocblas_gemm_batched_kernelIDF16_Li16ELi16ELi32ELi32ELi8ELi32ELi8ELi8ELi32ELc84ELc67EKPKDF16_S3_KPDF16_EEvlllT_PT11_llS8_llS6_PT12_llPT13_lli: ; @_ZN12_GLOBAL__N_127rocblas_gemm_batched_kernelIDF16_Li16ELi16ELi32ELi32ELi8ELi32ELi8ELi8ELi32ELc84ELc67EKPKDF16_S3_KPDF16_EEvlllT_PT11_llS8_llS6_PT12_llPT13_lli
; %bb.0:
	s_clause 0x1
	s_load_dwordx8 s[12:19], s[4:5], 0x58
	s_load_dwordx2 s[28:29], s[4:5], 0x10
	s_mov_b32 s9, 0
	s_mov_b32 s0, s7
	s_lshl_b64 s[34:35], s[8:9], 3
	s_load_dwordx4 s[8:11], s[4:5], 0x78
	v_mov_b32_e32 v3, 0
	s_waitcnt lgkmcnt(0)
	s_add_u32 s2, s12, s34
	s_addc_u32 s3, s13, s35
	s_add_u32 s18, s18, s34
	s_addc_u32 s19, s19, s35
	s_load_dwordx2 s[12:13], s[2:3], 0x0
	s_load_dwordx2 s[18:19], s[18:19], 0x0
	v_cmp_lt_i64_e64 s2, s[28:29], 1
	s_ashr_i32 s7, s6, 31
	s_ashr_i32 s1, s0, 31
	s_lshl_b64 s[6:7], s[6:7], 5
	s_lshl_b64 s[30:31], s[0:1], 5
	s_and_b32 vcc_lo, exec_lo, s2
	s_cbranch_vccnz .LBB164_3
; %bb.1:
	s_clause 0x1
	s_load_dwordx8 s[20:27], s[4:5], 0x20
	s_load_dwordx4 s[0:3], s[4:5], 0x40
	v_lshlrev_b32_e32 v9, 4, v1
	v_and_b32_e32 v11, 7, v0
	v_lshlrev_b32_e32 v8, 1, v0
	v_add_nc_u32_e32 v10, v9, v0
	v_lshlrev_b32_e32 v13, 1, v11
	v_add_nc_u32_e32 v9, 0x200, v9
	v_and_b32_e32 v12, 31, v10
	v_lshrrev_b32_e32 v2, 3, v10
	v_lshrrev_b32_e32 v10, 5, v10
	v_add_co_u32 v6, s33, s6, v12
	v_add_co_ci_u32_e64 v7, null, s7, 0, s33
	s_waitcnt lgkmcnt(0)
	s_add_u32 s20, s20, s34
	s_addc_u32 s21, s21, s35
	s_add_u32 s26, s26, s34
	s_addc_u32 s27, s27, s35
	v_mad_u64_u32 v[4:5], null, s0, v11, v[2:3]
	s_load_dwordx2 s[26:27], s[26:27], 0x0
	v_mul_lo_u32 v14, s23, v6
	v_mul_lo_u32 v15, s22, v7
	v_mad_u64_u32 v[6:7], null, s22, v6, 0
	v_lshlrev_b32_e32 v12, 1, v12
	v_lshl_or_b32 v16, v2, 4, v13
	v_mov_b32_e32 v2, v5
	v_lshlrev_b32_e32 v17, 1, v10
	s_load_dwordx2 s[20:21], s[20:21], 0x0
	v_lshl_or_b32 v10, v10, 6, v12
	v_add3_u32 v7, v7, v15, v14
	v_mad_u64_u32 v[12:13], null, s1, v11, v[2:3]
	s_lshl_b64 s[2:3], s[2:3], 1
	v_add_co_u32 v13, vcc_lo, v4, s30
	v_lshlrev_b64 v[5:6], 1, v[6:7]
	v_add_nc_u32_e32 v11, 0x200, v16
	v_add_co_ci_u32_e64 v14, null, s31, v12, vcc_lo
	s_waitcnt lgkmcnt(0)
	s_add_u32 s22, s26, s2
	s_addc_u32 s23, s27, s3
	s_lshl_b64 s[2:3], s[24:25], 1
	v_add_co_u32 v2, vcc_lo, v5, s2
	v_add_co_ci_u32_e64 v6, null, s3, v6, vcc_lo
	v_lshlrev_b64 v[4:5], 1, v[13:14]
	v_add_co_u32 v2, vcc_lo, v2, v17
	v_add_co_ci_u32_e64 v7, null, 0, v6, vcc_lo
	s_lshl_b64 s[2:3], s[0:1], 4
	v_add_co_u32 v4, vcc_lo, s22, v4
	v_add_co_ci_u32_e64 v5, null, s23, v5, vcc_lo
	v_add_co_u32 v6, vcc_lo, s20, v2
	v_add_co_ci_u32_e64 v7, null, s21, v7, vcc_lo
	v_mov_b32_e32 v2, 0
	s_mov_b64 s[20:21], 0
.LBB164_2:                              ; =>This Inner Loop Header: Depth=1
	flat_load_ushort v12, v[6:7]
	s_add_u32 s20, s20, 8
	s_addc_u32 s21, s21, 0
	v_add_co_u32 v6, vcc_lo, v6, 16
	v_cmp_lt_i64_e64 s0, s[20:21], s[28:29]
	v_add_co_ci_u32_e64 v7, null, 0, v7, vcc_lo
	s_and_b32 vcc_lo, exec_lo, s0
	s_waitcnt vmcnt(0) lgkmcnt(0)
	ds_write_b16 v10, v12
	flat_load_ushort v12, v[4:5]
	v_add_co_u32 v4, s0, v4, s2
	v_add_co_ci_u32_e64 v5, null, s3, v5, s0
	s_waitcnt vmcnt(0) lgkmcnt(0)
	ds_write_b16 v11, v12
	s_waitcnt lgkmcnt(0)
	s_barrier
	buffer_gl0_inv
	ds_read_u16 v20, v8 offset:32
	ds_read_u16 v21, v8 offset:96
	;; [unrolled: 1-line block ×3, first 2 shown]
	ds_read_b128 v[12:15], v9
	ds_read_b128 v[16:19], v9 offset:256
	ds_read_u16 v23, v8 offset:224
	ds_read_u16 v24, v8 offset:288
	;; [unrolled: 1-line block ×5, first 2 shown]
	s_waitcnt lgkmcnt(9)
	ds_read_u16_d16_hi v20, v8
	s_waitcnt lgkmcnt(9)
	ds_read_u16_d16_hi v21, v8 offset:64
	s_waitcnt lgkmcnt(9)
	ds_read_u16_d16_hi v22, v8 offset:128
	;; [unrolled: 2-line block ×7, first 2 shown]
	s_waitcnt lgkmcnt(0)
	s_barrier
	buffer_gl0_inv
	v_pk_fma_f16 v3, v20, v12, v3 op_sel_hi:[1,0,1]
	v_pk_fma_f16 v2, v20, v16, v2 op_sel_hi:[1,0,1]
	v_pk_fma_f16 v3, v21, v12, v3 op_sel:[0,1,0]
	v_pk_fma_f16 v2, v21, v16, v2 op_sel:[0,1,0]
	v_pk_fma_f16 v3, v22, v13, v3 op_sel_hi:[1,0,1]
	v_pk_fma_f16 v2, v22, v17, v2 op_sel_hi:[1,0,1]
	v_pk_fma_f16 v3, v23, v13, v3 op_sel:[0,1,0]
	v_pk_fma_f16 v2, v23, v17, v2 op_sel:[0,1,0]
	;; [unrolled: 4-line block ×4, first 2 shown]
	s_cbranch_vccnz .LBB164_2
	s_branch .LBB164_4
.LBB164_3:
	v_mov_b32_e32 v2, 0
.LBB164_4:
	s_clause 0x1
	s_load_dword s1, s[4:5], 0x50
	s_load_dword s0, s[4:5], 0x18
	v_add_co_u32 v5, s4, s30, v1
	v_add_co_ci_u32_e64 v9, null, s31, 0, s4
	v_add_co_u32 v0, s4, s6, v0
	v_add_co_ci_u32_e64 v1, null, s7, 0, s4
	v_mul_lo_u32 v7, v9, s8
	v_mul_lo_u32 v8, v5, s9
	s_lshl_b64 s[2:3], s[10:11], 1
	v_lshlrev_b64 v[0:1], 1, v[0:1]
	v_lshrrev_b32_e32 v6, 16, v3
	v_lshrrev_b32_e32 v4, 16, v2
	s_waitcnt lgkmcnt(0)
	s_add_u32 s2, s18, s2
	s_addc_u32 s3, s19, s3
	v_cmp_neq_f16_e64 s4, s1, 0
	s_and_b32 vcc_lo, exec_lo, s4
	s_mov_b32 s4, 0
	s_cbranch_vccnz .LBB164_8
; %bb.5:
	v_mad_u64_u32 v[10:11], null, v5, s8, 0
	s_lshl_b64 s[6:7], s[8:9], 5
	v_mul_f16_sdwa v14, s0, v3 dst_sel:DWORD dst_unused:UNUSED_PAD src0_sel:DWORD src1_sel:WORD_1
	v_mul_f16_e32 v15, s0, v3
	v_mul_f16_sdwa v16, s0, v2 dst_sel:DWORD dst_unused:UNUSED_PAD src0_sel:DWORD src1_sel:WORD_1
	v_mul_f16_e32 v17, s0, v2
	v_add3_u32 v11, v11, v8, v7
	v_lshlrev_b64 v[10:11], 1, v[10:11]
	v_add_co_u32 v10, vcc_lo, s2, v10
	v_add_co_ci_u32_e64 v11, null, s3, v11, vcc_lo
	v_add_co_u32 v12, vcc_lo, v10, s6
	v_add_co_ci_u32_e64 v13, null, s7, v11, vcc_lo
	v_add_co_u32 v10, vcc_lo, v10, v0
	v_add_co_ci_u32_e64 v11, null, v11, v1, vcc_lo
	v_add_co_u32 v12, vcc_lo, v12, v0
	v_add_co_ci_u32_e64 v13, null, v13, v1, vcc_lo
	flat_store_short v[10:11], v14
	flat_store_short v[10:11], v15 offset:32
	flat_store_short v[12:13], v16
	flat_store_short v[12:13], v17 offset:32
	s_andn2_b32 vcc_lo, exec_lo, s4
	s_cbranch_vccnz .LBB164_7
.LBB164_6:
	v_mul_lo_u32 v11, v9, s14
	v_mul_lo_u32 v12, v5, s15
	v_mad_u64_u32 v[9:10], null, v5, s14, 0
	s_lshl_b64 s[4:5], s[16:17], 1
	s_add_u32 s4, s12, s4
	s_addc_u32 s5, s13, s5
	v_add3_u32 v10, v10, v12, v11
	v_mad_u64_u32 v[11:12], null, v5, s8, 0
	v_lshlrev_b64 v[9:10], 1, v[9:10]
	v_add3_u32 v12, v12, v8, v7
	v_add_co_u32 v13, vcc_lo, s4, v9
	v_add_co_ci_u32_e64 v14, null, s5, v10, vcc_lo
	v_lshlrev_b64 v[7:8], 1, v[11:12]
	v_add_co_u32 v9, vcc_lo, v13, v0
	v_add_co_ci_u32_e64 v10, null, v14, v1, vcc_lo
	v_add_co_u32 v11, vcc_lo, s2, v7
	flat_load_ushort v15, v[9:10]
	v_add_co_ci_u32_e64 v12, null, s3, v8, vcc_lo
	v_add_co_u32 v7, vcc_lo, v11, v0
	s_lshl_b64 s[2:3], s[14:15], 5
	v_add_co_ci_u32_e64 v8, null, v12, v1, vcc_lo
	s_waitcnt vmcnt(0) lgkmcnt(0)
	v_mul_f16_e32 v5, s1, v15
	v_fmac_f16_e32 v5, s0, v6
	flat_store_short v[7:8], v5
	flat_load_ushort v5, v[9:10] offset:32
	s_waitcnt vmcnt(0) lgkmcnt(0)
	v_mul_f16_e32 v9, s1, v5
	v_add_co_u32 v5, vcc_lo, v13, s2
	v_add_co_ci_u32_e64 v6, null, s3, v14, vcc_lo
	v_fmac_f16_e32 v9, s0, v3
	v_add_co_u32 v5, vcc_lo, v5, v0
	v_add_co_ci_u32_e64 v6, null, v6, v1, vcc_lo
	flat_store_short v[7:8], v9 offset:32
	s_lshl_b64 s[2:3], s[8:9], 5
	flat_load_ushort v3, v[5:6]
	v_add_co_u32 v7, vcc_lo, v11, s2
	v_add_co_ci_u32_e64 v8, null, s3, v12, vcc_lo
	v_add_co_u32 v0, vcc_lo, v7, v0
	v_add_co_ci_u32_e64 v1, null, v8, v1, vcc_lo
	s_waitcnt vmcnt(0) lgkmcnt(0)
	v_mul_f16_e32 v3, s1, v3
	v_fmac_f16_e32 v3, s0, v4
	flat_store_short v[0:1], v3
	flat_load_ushort v3, v[5:6] offset:32
	s_waitcnt vmcnt(0) lgkmcnt(0)
	v_mul_f16_e32 v3, s1, v3
	v_fmac_f16_e32 v3, s0, v2
	flat_store_short v[0:1], v3 offset:32
.LBB164_7:
	s_endpgm
.LBB164_8:
	s_branch .LBB164_6
	.section	.rodata,"a",@progbits
	.p2align	6, 0x0
	.amdhsa_kernel _ZN12_GLOBAL__N_127rocblas_gemm_batched_kernelIDF16_Li16ELi16ELi32ELi32ELi8ELi32ELi8ELi8ELi32ELc84ELc67EKPKDF16_S3_KPDF16_EEvlllT_PT11_llS8_llS6_PT12_llPT13_lli
		.amdhsa_group_segment_fixed_size 1024
		.amdhsa_private_segment_fixed_size 0
		.amdhsa_kernarg_size 140
		.amdhsa_user_sgpr_count 6
		.amdhsa_user_sgpr_private_segment_buffer 1
		.amdhsa_user_sgpr_dispatch_ptr 0
		.amdhsa_user_sgpr_queue_ptr 0
		.amdhsa_user_sgpr_kernarg_segment_ptr 1
		.amdhsa_user_sgpr_dispatch_id 0
		.amdhsa_user_sgpr_flat_scratch_init 0
		.amdhsa_user_sgpr_private_segment_size 0
		.amdhsa_wavefront_size32 1
		.amdhsa_uses_dynamic_stack 0
		.amdhsa_system_sgpr_private_segment_wavefront_offset 0
		.amdhsa_system_sgpr_workgroup_id_x 1
		.amdhsa_system_sgpr_workgroup_id_y 1
		.amdhsa_system_sgpr_workgroup_id_z 1
		.amdhsa_system_sgpr_workgroup_info 0
		.amdhsa_system_vgpr_workitem_id 1
		.amdhsa_next_free_vgpr 28
		.amdhsa_next_free_sgpr 36
		.amdhsa_reserve_vcc 1
		.amdhsa_reserve_flat_scratch 0
		.amdhsa_float_round_mode_32 0
		.amdhsa_float_round_mode_16_64 0
		.amdhsa_float_denorm_mode_32 3
		.amdhsa_float_denorm_mode_16_64 3
		.amdhsa_dx10_clamp 1
		.amdhsa_ieee_mode 1
		.amdhsa_fp16_overflow 0
		.amdhsa_workgroup_processor_mode 1
		.amdhsa_memory_ordered 1
		.amdhsa_forward_progress 1
		.amdhsa_shared_vgpr_count 0
		.amdhsa_exception_fp_ieee_invalid_op 0
		.amdhsa_exception_fp_denorm_src 0
		.amdhsa_exception_fp_ieee_div_zero 0
		.amdhsa_exception_fp_ieee_overflow 0
		.amdhsa_exception_fp_ieee_underflow 0
		.amdhsa_exception_fp_ieee_inexact 0
		.amdhsa_exception_int_div_zero 0
	.end_amdhsa_kernel
	.section	.text._ZN12_GLOBAL__N_127rocblas_gemm_batched_kernelIDF16_Li16ELi16ELi32ELi32ELi8ELi32ELi8ELi8ELi32ELc84ELc67EKPKDF16_S3_KPDF16_EEvlllT_PT11_llS8_llS6_PT12_llPT13_lli,"axG",@progbits,_ZN12_GLOBAL__N_127rocblas_gemm_batched_kernelIDF16_Li16ELi16ELi32ELi32ELi8ELi32ELi8ELi8ELi32ELc84ELc67EKPKDF16_S3_KPDF16_EEvlllT_PT11_llS8_llS6_PT12_llPT13_lli,comdat
.Lfunc_end164:
	.size	_ZN12_GLOBAL__N_127rocblas_gemm_batched_kernelIDF16_Li16ELi16ELi32ELi32ELi8ELi32ELi8ELi8ELi32ELc84ELc67EKPKDF16_S3_KPDF16_EEvlllT_PT11_llS8_llS6_PT12_llPT13_lli, .Lfunc_end164-_ZN12_GLOBAL__N_127rocblas_gemm_batched_kernelIDF16_Li16ELi16ELi32ELi32ELi8ELi32ELi8ELi8ELi32ELc84ELc67EKPKDF16_S3_KPDF16_EEvlllT_PT11_llS8_llS6_PT12_llPT13_lli
                                        ; -- End function
	.set _ZN12_GLOBAL__N_127rocblas_gemm_batched_kernelIDF16_Li16ELi16ELi32ELi32ELi8ELi32ELi8ELi8ELi32ELc84ELc67EKPKDF16_S3_KPDF16_EEvlllT_PT11_llS8_llS6_PT12_llPT13_lli.num_vgpr, 28
	.set _ZN12_GLOBAL__N_127rocblas_gemm_batched_kernelIDF16_Li16ELi16ELi32ELi32ELi8ELi32ELi8ELi8ELi32ELc84ELc67EKPKDF16_S3_KPDF16_EEvlllT_PT11_llS8_llS6_PT12_llPT13_lli.num_agpr, 0
	.set _ZN12_GLOBAL__N_127rocblas_gemm_batched_kernelIDF16_Li16ELi16ELi32ELi32ELi8ELi32ELi8ELi8ELi32ELc84ELc67EKPKDF16_S3_KPDF16_EEvlllT_PT11_llS8_llS6_PT12_llPT13_lli.numbered_sgpr, 36
	.set _ZN12_GLOBAL__N_127rocblas_gemm_batched_kernelIDF16_Li16ELi16ELi32ELi32ELi8ELi32ELi8ELi8ELi32ELc84ELc67EKPKDF16_S3_KPDF16_EEvlllT_PT11_llS8_llS6_PT12_llPT13_lli.num_named_barrier, 0
	.set _ZN12_GLOBAL__N_127rocblas_gemm_batched_kernelIDF16_Li16ELi16ELi32ELi32ELi8ELi32ELi8ELi8ELi32ELc84ELc67EKPKDF16_S3_KPDF16_EEvlllT_PT11_llS8_llS6_PT12_llPT13_lli.private_seg_size, 0
	.set _ZN12_GLOBAL__N_127rocblas_gemm_batched_kernelIDF16_Li16ELi16ELi32ELi32ELi8ELi32ELi8ELi8ELi32ELc84ELc67EKPKDF16_S3_KPDF16_EEvlllT_PT11_llS8_llS6_PT12_llPT13_lli.uses_vcc, 1
	.set _ZN12_GLOBAL__N_127rocblas_gemm_batched_kernelIDF16_Li16ELi16ELi32ELi32ELi8ELi32ELi8ELi8ELi32ELc84ELc67EKPKDF16_S3_KPDF16_EEvlllT_PT11_llS8_llS6_PT12_llPT13_lli.uses_flat_scratch, 0
	.set _ZN12_GLOBAL__N_127rocblas_gemm_batched_kernelIDF16_Li16ELi16ELi32ELi32ELi8ELi32ELi8ELi8ELi32ELc84ELc67EKPKDF16_S3_KPDF16_EEvlllT_PT11_llS8_llS6_PT12_llPT13_lli.has_dyn_sized_stack, 0
	.set _ZN12_GLOBAL__N_127rocblas_gemm_batched_kernelIDF16_Li16ELi16ELi32ELi32ELi8ELi32ELi8ELi8ELi32ELc84ELc67EKPKDF16_S3_KPDF16_EEvlllT_PT11_llS8_llS6_PT12_llPT13_lli.has_recursion, 0
	.set _ZN12_GLOBAL__N_127rocblas_gemm_batched_kernelIDF16_Li16ELi16ELi32ELi32ELi8ELi32ELi8ELi8ELi32ELc84ELc67EKPKDF16_S3_KPDF16_EEvlllT_PT11_llS8_llS6_PT12_llPT13_lli.has_indirect_call, 0
	.section	.AMDGPU.csdata,"",@progbits
; Kernel info:
; codeLenInByte = 1484
; TotalNumSgprs: 38
; NumVgprs: 28
; ScratchSize: 0
; MemoryBound: 0
; FloatMode: 240
; IeeeMode: 1
; LDSByteSize: 1024 bytes/workgroup (compile time only)
; SGPRBlocks: 0
; VGPRBlocks: 3
; NumSGPRsForWavesPerEU: 38
; NumVGPRsForWavesPerEU: 28
; Occupancy: 16
; WaveLimiterHint : 1
; COMPUTE_PGM_RSRC2:SCRATCH_EN: 0
; COMPUTE_PGM_RSRC2:USER_SGPR: 6
; COMPUTE_PGM_RSRC2:TRAP_HANDLER: 0
; COMPUTE_PGM_RSRC2:TGID_X_EN: 1
; COMPUTE_PGM_RSRC2:TGID_Y_EN: 1
; COMPUTE_PGM_RSRC2:TGID_Z_EN: 1
; COMPUTE_PGM_RSRC2:TIDIG_COMP_CNT: 1
	.section	.text._ZN12_GLOBAL__N_135rocblas_gemm_batched_general_kernelIDF16_Li16ELi16ELi32ELi32ELi8ELi32ELi8ELi8ELi32ELc78ELc78EKPKDF16_S3_KPDF16_EEvlllT_PT11_llS8_llS6_PT12_llPT13_lli,"axG",@progbits,_ZN12_GLOBAL__N_135rocblas_gemm_batched_general_kernelIDF16_Li16ELi16ELi32ELi32ELi8ELi32ELi8ELi8ELi32ELc78ELc78EKPKDF16_S3_KPDF16_EEvlllT_PT11_llS8_llS6_PT12_llPT13_lli,comdat
	.globl	_ZN12_GLOBAL__N_135rocblas_gemm_batched_general_kernelIDF16_Li16ELi16ELi32ELi32ELi8ELi32ELi8ELi8ELi32ELc78ELc78EKPKDF16_S3_KPDF16_EEvlllT_PT11_llS8_llS6_PT12_llPT13_lli ; -- Begin function _ZN12_GLOBAL__N_135rocblas_gemm_batched_general_kernelIDF16_Li16ELi16ELi32ELi32ELi8ELi32ELi8ELi8ELi32ELc78ELc78EKPKDF16_S3_KPDF16_EEvlllT_PT11_llS8_llS6_PT12_llPT13_lli
	.p2align	8
	.type	_ZN12_GLOBAL__N_135rocblas_gemm_batched_general_kernelIDF16_Li16ELi16ELi32ELi32ELi8ELi32ELi8ELi8ELi32ELc78ELc78EKPKDF16_S3_KPDF16_EEvlllT_PT11_llS8_llS6_PT12_llPT13_lli,@function
_ZN12_GLOBAL__N_135rocblas_gemm_batched_general_kernelIDF16_Li16ELi16ELi32ELi32ELi8ELi32ELi8ELi8ELi32ELc78ELc78EKPKDF16_S3_KPDF16_EEvlllT_PT11_llS8_llS6_PT12_llPT13_lli: ; @_ZN12_GLOBAL__N_135rocblas_gemm_batched_general_kernelIDF16_Li16ELi16ELi32ELi32ELi8ELi32ELi8ELi8ELi32ELc78ELc78EKPKDF16_S3_KPDF16_EEvlllT_PT11_llS8_llS6_PT12_llPT13_lli
; %bb.0:
	s_clause 0x1
	s_load_dwordx8 s[12:19], s[4:5], 0x58
	s_load_dwordx2 s[34:35], s[4:5], 0x10
	s_mov_b32 s9, 0
	s_load_dwordx4 s[28:31], s[4:5], 0x0
	s_lshl_b64 s[42:43], s[8:9], 3
	s_load_dwordx4 s[8:11], s[4:5], 0x78
	s_mov_b32 s0, s7
	v_mov_b32_e32 v7, 0
	s_waitcnt lgkmcnt(0)
	s_add_u32 s2, s12, s42
	s_addc_u32 s3, s13, s43
	s_add_u32 s18, s18, s42
	s_addc_u32 s19, s19, s43
	s_load_dwordx2 s[12:13], s[2:3], 0x0
	s_load_dwordx2 s[2:3], s[18:19], 0x0
	v_cmp_lt_i64_e64 s20, s[34:35], 1
	s_ashr_i32 s7, s6, 31
	s_ashr_i32 s1, s0, 31
	s_lshl_b64 s[18:19], s[6:7], 5
	s_lshl_b64 s[40:41], s[0:1], 5
	s_and_b32 vcc_lo, exec_lo, s20
	s_cbranch_vccnz .LBB165_7
; %bb.1:
	s_load_dwordx8 s[20:27], s[4:5], 0x20
	v_lshlrev_b32_e32 v2, 4, v1
	s_load_dwordx4 s[36:39], s[4:5], 0x40
	v_mov_b32_e32 v3, s19
	v_and_b32_e32 v6, 7, v0
	v_lshlrev_b32_e32 v9, 1, v0
	v_add_nc_u32_e32 v4, v2, v0
	v_add_nc_u32_e32 v10, 0x200, v2
	v_lshlrev_b32_e32 v8, 1, v6
	v_lshrrev_b32_e32 v12, 3, v4
	v_lshrrev_b32_e32 v11, 5, v4
	v_and_b32_e32 v13, 31, v4
	v_add_co_u32 v4, s0, v12, s40
	v_add_co_ci_u32_e64 v5, null, 0, s41, s0
	v_or_b32_e32 v2, s18, v13
	s_waitcnt lgkmcnt(0)
	v_mad_u64_u32 v[14:15], null, s22, v11, 0
	v_cmp_gt_i64_e64 s1, s[30:31], v[4:5]
	v_mul_lo_u32 v18, s37, v4
	v_cmp_gt_i64_e64 s0, s[28:29], v[2:3]
	v_mad_u64_u32 v[3:4], null, s36, v4, 0
	v_mul_lo_u32 v5, s36, v5
	v_mov_b32_e32 v2, v15
	s_add_u32 s26, s26, s42
	s_addc_u32 s27, s27, s43
	s_add_u32 s20, s20, s42
	s_load_dwordx2 s[26:27], s[26:27], 0x0
	v_mad_u64_u32 v[15:16], null, s23, v11, v[2:3]
	v_add3_u32 v4, v4, v5, v18
	s_addc_u32 s21, s21, s43
	s_lshl_b64 s[36:37], s[38:39], 1
	s_load_dwordx2 s[20:21], s[20:21], 0x0
	s_lshl_b64 s[6:7], s[6:7], 6
	v_lshlrev_b64 v[2:3], 1, v[3:4]
	v_lshlrev_b64 v[4:5], 1, v[14:15]
	s_lshl_b64 s[24:25], s[24:25], 1
	v_lshlrev_b32_e32 v17, 1, v13
	s_add_u32 s6, s24, s6
	s_addc_u32 s7, s25, s7
	v_add_co_u32 v2, vcc_lo, v2, s36
	v_add_co_ci_u32_e64 v3, null, s37, v3, vcc_lo
	v_add_co_u32 v4, vcc_lo, s6, v4
	v_add_co_ci_u32_e64 v5, null, s7, v5, vcc_lo
	;; [unrolled: 2-line block ×3, first 2 shown]
	v_add_co_u32 v4, vcc_lo, v4, v17
	v_lshl_or_b32 v13, v12, 4, v8
	v_add_co_ci_u32_e64 v5, null, 0, v5, vcc_lo
	s_waitcnt lgkmcnt(0)
	v_add_co_u32 v2, vcc_lo, s26, v2
	v_add_co_ci_u32_e64 v3, null, s27, v3, vcc_lo
	v_add_co_u32 v4, vcc_lo, s20, v4
	v_lshl_or_b32 v12, v11, 6, v17
	v_add_nc_u32_e32 v13, 0x200, v13
	v_add_co_ci_u32_e64 v5, null, s21, v5, vcc_lo
	v_mov_b32_e32 v8, 0
	s_lshl_b64 s[6:7], s[22:23], 4
	s_mov_b64 s[20:21], 0
	s_branch .LBB165_3
.LBB165_2:                              ;   in Loop: Header=BB165_3 Depth=1
	s_or_b32 exec_lo, exec_lo, s22
	s_waitcnt vmcnt(0) lgkmcnt(0)
	ds_write_b16 v13, v14
	s_waitcnt lgkmcnt(0)
	s_barrier
	buffer_gl0_inv
	ds_read_u16 v22, v9
	ds_read_u16 v23, v9 offset:64
	ds_read_u16 v24, v9 offset:128
	;; [unrolled: 1-line block ×7, first 2 shown]
	s_add_u32 s20, s20, 8
	s_addc_u32 s21, s21, 0
	v_add_co_u32 v2, vcc_lo, v2, 16
	v_cmp_lt_i64_e64 s22, s[20:21], s[34:35]
	v_add_co_ci_u32_e64 v3, null, 0, v3, vcc_lo
	v_add_co_u32 v4, vcc_lo, v4, s6
	v_add_co_ci_u32_e64 v5, null, s7, v5, vcc_lo
	s_and_b32 vcc_lo, exec_lo, s22
	s_waitcnt lgkmcnt(7)
	ds_read_u16_d16_hi v22, v9 offset:32
	ds_read_b128 v[14:17], v10
	ds_read_b128 v[18:21], v10 offset:256
	s_waitcnt lgkmcnt(9)
	ds_read_u16_d16_hi v23, v9 offset:96
	s_waitcnt lgkmcnt(9)
	ds_read_u16_d16_hi v24, v9 offset:160
	;; [unrolled: 2-line block ×7, first 2 shown]
	s_waitcnt lgkmcnt(0)
	s_barrier
	buffer_gl0_inv
	v_pk_fma_f16 v7, v22, v14, v7 op_sel_hi:[1,0,1]
	v_pk_fma_f16 v8, v22, v18, v8 op_sel_hi:[1,0,1]
	v_pk_fma_f16 v7, v23, v14, v7 op_sel:[0,1,0]
	v_pk_fma_f16 v8, v23, v18, v8 op_sel:[0,1,0]
	v_pk_fma_f16 v7, v24, v15, v7 op_sel_hi:[1,0,1]
	v_pk_fma_f16 v8, v24, v19, v8 op_sel_hi:[1,0,1]
	v_pk_fma_f16 v7, v25, v15, v7 op_sel:[0,1,0]
	v_pk_fma_f16 v8, v25, v19, v8 op_sel:[0,1,0]
	;; [unrolled: 4-line block ×4, first 2 shown]
	s_cbranch_vccz .LBB165_8
.LBB165_3:                              ; =>This Inner Loop Header: Depth=1
	v_add_co_u32 v14, s22, v11, s20
	v_add_co_ci_u32_e64 v15, null, 0, s21, s22
	v_cmp_gt_i64_e32 vcc_lo, s[34:35], v[14:15]
	v_mov_b32_e32 v14, 0
	v_mov_b32_e32 v15, 0
	s_and_b32 s23, s0, vcc_lo
	s_and_saveexec_b32 s22, s23
	s_cbranch_execz .LBB165_5
; %bb.4:                                ;   in Loop: Header=BB165_3 Depth=1
	flat_load_ushort v15, v[4:5]
.LBB165_5:                              ;   in Loop: Header=BB165_3 Depth=1
	s_or_b32 exec_lo, exec_lo, s22
	v_add_co_u32 v16, s22, v6, s20
	v_add_co_ci_u32_e64 v17, null, 0, s21, s22
	s_waitcnt vmcnt(0) lgkmcnt(0)
	ds_write_b16 v12, v15
	v_cmp_gt_i64_e32 vcc_lo, s[34:35], v[16:17]
	s_and_b32 s23, vcc_lo, s1
	s_and_saveexec_b32 s22, s23
	s_cbranch_execz .LBB165_2
; %bb.6:                                ;   in Loop: Header=BB165_3 Depth=1
	flat_load_ushort v14, v[2:3]
	s_branch .LBB165_2
.LBB165_7:
	v_mov_b32_e32 v8, 0
.LBB165_8:
	s_clause 0x1
	s_load_dword s6, s[4:5], 0x50
	s_load_dword s4, s[4:5], 0x18
	v_add_co_u32 v1, s5, s40, v1
	v_add_co_ci_u32_e64 v2, null, s41, 0, s5
	s_lshl_b64 s[0:1], s[10:11], 1
	s_waitcnt lgkmcnt(0)
	s_add_u32 s5, s2, s0
	v_cmp_gt_i64_e64 s0, s[30:31], v[1:2]
	s_addc_u32 s3, s3, s1
	v_cmp_neq_f16_e64 s7, s6, 0
	s_and_b32 vcc_lo, exec_lo, s7
	s_cbranch_vccnz .LBB165_21
; %bb.9:
	s_and_saveexec_b32 s7, s0
	s_cbranch_execz .LBB165_19
; %bb.10:
	v_mul_lo_u32 v5, v2, s8
	v_mul_lo_u32 v6, v1, s9
	v_mad_u64_u32 v[3:4], null, v1, s8, 0
	v_add3_u32 v4, v4, v6, v5
	v_add_co_u32 v5, s1, s18, v0
	v_add_co_ci_u32_e64 v6, null, s19, 0, s1
	v_lshlrev_b64 v[9:10], 1, v[3:4]
	v_cmp_gt_i64_e32 vcc_lo, s[28:29], v[5:6]
	v_lshlrev_b64 v[3:4], 1, v[5:6]
	v_add_co_u32 v9, s1, s5, v9
	v_add_co_ci_u32_e64 v10, null, s3, v10, s1
	s_and_saveexec_b32 s2, vcc_lo
	s_cbranch_execz .LBB165_12
; %bb.11:
	v_add_co_u32 v11, s1, v9, v3
	v_add_co_ci_u32_e64 v12, null, v10, v4, s1
	v_mul_f16_e32 v13, s4, v7
	flat_store_short v[11:12], v13
.LBB165_12:
	s_or_b32 exec_lo, exec_lo, s2
	v_add_co_u32 v5, s1, v5, 16
	v_add_co_ci_u32_e64 v6, null, 0, v6, s1
	v_cmp_gt_i64_e64 s1, s[28:29], v[5:6]
	s_and_saveexec_b32 s10, s1
	s_cbranch_execz .LBB165_14
; %bb.13:
	v_add_co_u32 v5, s2, v9, v3
	v_add_co_ci_u32_e64 v6, null, v10, v4, s2
	v_mul_f16_sdwa v11, s4, v7 dst_sel:DWORD dst_unused:UNUSED_PAD src0_sel:DWORD src1_sel:WORD_1
	flat_store_short v[5:6], v11 offset:32
.LBB165_14:
	s_or_b32 exec_lo, exec_lo, s10
	v_add_co_u32 v5, s2, v1, 16
	v_add_co_ci_u32_e64 v6, null, 0, v2, s2
	v_cmp_gt_i64_e64 s2, s[30:31], v[5:6]
	s_and_b32 exec_lo, exec_lo, s2
	s_cbranch_execz .LBB165_19
; %bb.15:
	s_lshl_b64 s[10:11], s[8:9], 5
	v_add_co_u32 v5, s2, v9, s10
	v_add_co_ci_u32_e64 v6, null, s11, v10, s2
	v_add_co_u32 v3, s2, v5, v3
	v_add_co_ci_u32_e64 v4, null, v6, v4, s2
	s_and_saveexec_b32 s2, vcc_lo
	s_cbranch_execz .LBB165_17
; %bb.16:
	v_mul_f16_e32 v5, s4, v8
	flat_store_short v[3:4], v5
.LBB165_17:
	s_or_b32 exec_lo, exec_lo, s2
	s_and_b32 exec_lo, exec_lo, s1
	s_cbranch_execz .LBB165_19
; %bb.18:
	v_mul_f16_sdwa v5, s4, v8 dst_sel:DWORD dst_unused:UNUSED_PAD src0_sel:DWORD src1_sel:WORD_1
	flat_store_short v[3:4], v5 offset:32
.LBB165_19:
	s_or_b32 exec_lo, exec_lo, s7
	s_cbranch_execz .LBB165_22
.LBB165_20:
	s_endpgm
.LBB165_21:
.LBB165_22:
	s_and_saveexec_b32 s1, s0
	s_cbranch_execz .LBB165_20
; %bb.23:
	v_mul_lo_u32 v5, v2, s14
	v_mul_lo_u32 v6, v1, s15
	v_mad_u64_u32 v[3:4], null, v1, s14, 0
	v_mul_lo_u32 v11, v2, s8
	v_mul_lo_u32 v12, v1, s9
	v_mad_u64_u32 v[9:10], null, v1, s8, 0
	s_lshl_b64 s[0:1], s[16:17], 1
	v_add3_u32 v4, v4, v6, v5
	v_add_co_u32 v5, s2, s18, v0
	v_add_co_ci_u32_e64 v6, null, s19, 0, s2
	v_add3_u32 v10, v10, v12, v11
	v_lshlrev_b64 v[3:4], 1, v[3:4]
	s_add_u32 s0, s12, s0
	s_addc_u32 s1, s13, s1
	v_cmp_gt_i64_e32 vcc_lo, s[28:29], v[5:6]
	v_lshlrev_b64 v[10:11], 1, v[9:10]
	v_add_co_u32 v0, s0, s0, v3
	v_add_co_ci_u32_e64 v9, null, s1, v4, s0
	v_add_co_u32 v10, s0, s5, v10
	v_lshlrev_b64 v[3:4], 1, v[5:6]
	v_add_co_ci_u32_e64 v11, null, s3, v11, s0
	s_and_saveexec_b32 s1, vcc_lo
	s_cbranch_execz .LBB165_25
; %bb.24:
	v_add_co_u32 v12, s0, v0, v3
	v_add_co_ci_u32_e64 v13, null, v9, v4, s0
	flat_load_ushort v12, v[12:13]
	s_waitcnt vmcnt(0) lgkmcnt(0)
	v_mul_f16_e32 v14, s6, v12
	v_add_co_u32 v12, s0, v10, v3
	v_add_co_ci_u32_e64 v13, null, v11, v4, s0
	v_fmac_f16_e32 v14, s4, v7
	flat_store_short v[12:13], v14
.LBB165_25:
	s_or_b32 exec_lo, exec_lo, s1
	v_add_co_u32 v5, s0, v5, 16
	v_add_co_ci_u32_e64 v6, null, 0, v6, s0
	v_cmp_gt_i64_e64 s0, s[28:29], v[5:6]
	s_and_saveexec_b32 s2, s0
	s_cbranch_execz .LBB165_27
; %bb.26:
	v_add_co_u32 v5, s1, v0, v3
	v_add_co_ci_u32_e64 v6, null, v9, v4, s1
	flat_load_ushort v5, v[5:6] offset:32
	v_lshrrev_b32_e32 v6, 16, v7
	s_waitcnt vmcnt(0) lgkmcnt(0)
	v_mul_f16_e32 v7, s6, v5
	v_add_co_u32 v5, s1, v10, v3
	v_fmac_f16_e32 v7, s4, v6
	v_add_co_ci_u32_e64 v6, null, v11, v4, s1
	flat_store_short v[5:6], v7 offset:32
.LBB165_27:
	s_or_b32 exec_lo, exec_lo, s2
	v_add_co_u32 v1, s1, v1, 16
	v_add_co_ci_u32_e64 v2, null, 0, v2, s1
	v_cmp_gt_i64_e64 s1, s[30:31], v[1:2]
	s_and_b32 exec_lo, exec_lo, s1
	s_cbranch_execz .LBB165_20
; %bb.28:
	s_lshl_b64 s[2:3], s[14:15], 5
	v_add_co_u32 v0, s1, v0, s2
	v_add_co_ci_u32_e64 v1, null, s3, v9, s1
	s_lshl_b64 s[2:3], s[8:9], 5
	v_add_co_u32 v2, s1, v10, s2
	v_add_co_ci_u32_e64 v7, null, s3, v11, s1
	v_add_co_u32 v5, s1, v0, v3
	v_add_co_ci_u32_e64 v6, null, v1, v4, s1
	;; [unrolled: 2-line block ×3, first 2 shown]
	s_and_saveexec_b32 s1, vcc_lo
	s_cbranch_execz .LBB165_30
; %bb.29:
	flat_load_ushort v2, v[5:6]
	s_waitcnt vmcnt(0) lgkmcnt(0)
	v_mul_f16_e32 v2, s6, v2
	v_fmac_f16_e32 v2, s4, v8
	flat_store_short v[0:1], v2
.LBB165_30:
	s_or_b32 exec_lo, exec_lo, s1
	s_and_b32 exec_lo, exec_lo, s0
	s_cbranch_execz .LBB165_20
; %bb.31:
	flat_load_ushort v2, v[5:6] offset:32
	v_lshrrev_b32_e32 v3, 16, v8
	s_waitcnt vmcnt(0) lgkmcnt(0)
	v_mul_f16_e32 v2, s6, v2
	v_fmac_f16_e32 v2, s4, v3
	flat_store_short v[0:1], v2 offset:32
	s_endpgm
	.section	.rodata,"a",@progbits
	.p2align	6, 0x0
	.amdhsa_kernel _ZN12_GLOBAL__N_135rocblas_gemm_batched_general_kernelIDF16_Li16ELi16ELi32ELi32ELi8ELi32ELi8ELi8ELi32ELc78ELc78EKPKDF16_S3_KPDF16_EEvlllT_PT11_llS8_llS6_PT12_llPT13_lli
		.amdhsa_group_segment_fixed_size 1024
		.amdhsa_private_segment_fixed_size 0
		.amdhsa_kernarg_size 140
		.amdhsa_user_sgpr_count 6
		.amdhsa_user_sgpr_private_segment_buffer 1
		.amdhsa_user_sgpr_dispatch_ptr 0
		.amdhsa_user_sgpr_queue_ptr 0
		.amdhsa_user_sgpr_kernarg_segment_ptr 1
		.amdhsa_user_sgpr_dispatch_id 0
		.amdhsa_user_sgpr_flat_scratch_init 0
		.amdhsa_user_sgpr_private_segment_size 0
		.amdhsa_wavefront_size32 1
		.amdhsa_uses_dynamic_stack 0
		.amdhsa_system_sgpr_private_segment_wavefront_offset 0
		.amdhsa_system_sgpr_workgroup_id_x 1
		.amdhsa_system_sgpr_workgroup_id_y 1
		.amdhsa_system_sgpr_workgroup_id_z 1
		.amdhsa_system_sgpr_workgroup_info 0
		.amdhsa_system_vgpr_workitem_id 1
		.amdhsa_next_free_vgpr 30
		.amdhsa_next_free_sgpr 44
		.amdhsa_reserve_vcc 1
		.amdhsa_reserve_flat_scratch 0
		.amdhsa_float_round_mode_32 0
		.amdhsa_float_round_mode_16_64 0
		.amdhsa_float_denorm_mode_32 3
		.amdhsa_float_denorm_mode_16_64 3
		.amdhsa_dx10_clamp 1
		.amdhsa_ieee_mode 1
		.amdhsa_fp16_overflow 0
		.amdhsa_workgroup_processor_mode 1
		.amdhsa_memory_ordered 1
		.amdhsa_forward_progress 1
		.amdhsa_shared_vgpr_count 0
		.amdhsa_exception_fp_ieee_invalid_op 0
		.amdhsa_exception_fp_denorm_src 0
		.amdhsa_exception_fp_ieee_div_zero 0
		.amdhsa_exception_fp_ieee_overflow 0
		.amdhsa_exception_fp_ieee_underflow 0
		.amdhsa_exception_fp_ieee_inexact 0
		.amdhsa_exception_int_div_zero 0
	.end_amdhsa_kernel
	.section	.text._ZN12_GLOBAL__N_135rocblas_gemm_batched_general_kernelIDF16_Li16ELi16ELi32ELi32ELi8ELi32ELi8ELi8ELi32ELc78ELc78EKPKDF16_S3_KPDF16_EEvlllT_PT11_llS8_llS6_PT12_llPT13_lli,"axG",@progbits,_ZN12_GLOBAL__N_135rocblas_gemm_batched_general_kernelIDF16_Li16ELi16ELi32ELi32ELi8ELi32ELi8ELi8ELi32ELc78ELc78EKPKDF16_S3_KPDF16_EEvlllT_PT11_llS8_llS6_PT12_llPT13_lli,comdat
.Lfunc_end165:
	.size	_ZN12_GLOBAL__N_135rocblas_gemm_batched_general_kernelIDF16_Li16ELi16ELi32ELi32ELi8ELi32ELi8ELi8ELi32ELc78ELc78EKPKDF16_S3_KPDF16_EEvlllT_PT11_llS8_llS6_PT12_llPT13_lli, .Lfunc_end165-_ZN12_GLOBAL__N_135rocblas_gemm_batched_general_kernelIDF16_Li16ELi16ELi32ELi32ELi8ELi32ELi8ELi8ELi32ELc78ELc78EKPKDF16_S3_KPDF16_EEvlllT_PT11_llS8_llS6_PT12_llPT13_lli
                                        ; -- End function
	.set _ZN12_GLOBAL__N_135rocblas_gemm_batched_general_kernelIDF16_Li16ELi16ELi32ELi32ELi8ELi32ELi8ELi8ELi32ELc78ELc78EKPKDF16_S3_KPDF16_EEvlllT_PT11_llS8_llS6_PT12_llPT13_lli.num_vgpr, 30
	.set _ZN12_GLOBAL__N_135rocblas_gemm_batched_general_kernelIDF16_Li16ELi16ELi32ELi32ELi8ELi32ELi8ELi8ELi32ELc78ELc78EKPKDF16_S3_KPDF16_EEvlllT_PT11_llS8_llS6_PT12_llPT13_lli.num_agpr, 0
	.set _ZN12_GLOBAL__N_135rocblas_gemm_batched_general_kernelIDF16_Li16ELi16ELi32ELi32ELi8ELi32ELi8ELi8ELi32ELc78ELc78EKPKDF16_S3_KPDF16_EEvlllT_PT11_llS8_llS6_PT12_llPT13_lli.numbered_sgpr, 44
	.set _ZN12_GLOBAL__N_135rocblas_gemm_batched_general_kernelIDF16_Li16ELi16ELi32ELi32ELi8ELi32ELi8ELi8ELi32ELc78ELc78EKPKDF16_S3_KPDF16_EEvlllT_PT11_llS8_llS6_PT12_llPT13_lli.num_named_barrier, 0
	.set _ZN12_GLOBAL__N_135rocblas_gemm_batched_general_kernelIDF16_Li16ELi16ELi32ELi32ELi8ELi32ELi8ELi8ELi32ELc78ELc78EKPKDF16_S3_KPDF16_EEvlllT_PT11_llS8_llS6_PT12_llPT13_lli.private_seg_size, 0
	.set _ZN12_GLOBAL__N_135rocblas_gemm_batched_general_kernelIDF16_Li16ELi16ELi32ELi32ELi8ELi32ELi8ELi8ELi32ELc78ELc78EKPKDF16_S3_KPDF16_EEvlllT_PT11_llS8_llS6_PT12_llPT13_lli.uses_vcc, 1
	.set _ZN12_GLOBAL__N_135rocblas_gemm_batched_general_kernelIDF16_Li16ELi16ELi32ELi32ELi8ELi32ELi8ELi8ELi32ELc78ELc78EKPKDF16_S3_KPDF16_EEvlllT_PT11_llS8_llS6_PT12_llPT13_lli.uses_flat_scratch, 0
	.set _ZN12_GLOBAL__N_135rocblas_gemm_batched_general_kernelIDF16_Li16ELi16ELi32ELi32ELi8ELi32ELi8ELi8ELi32ELc78ELc78EKPKDF16_S3_KPDF16_EEvlllT_PT11_llS8_llS6_PT12_llPT13_lli.has_dyn_sized_stack, 0
	.set _ZN12_GLOBAL__N_135rocblas_gemm_batched_general_kernelIDF16_Li16ELi16ELi32ELi32ELi8ELi32ELi8ELi8ELi32ELc78ELc78EKPKDF16_S3_KPDF16_EEvlllT_PT11_llS8_llS6_PT12_llPT13_lli.has_recursion, 0
	.set _ZN12_GLOBAL__N_135rocblas_gemm_batched_general_kernelIDF16_Li16ELi16ELi32ELi32ELi8ELi32ELi8ELi8ELi32ELc78ELc78EKPKDF16_S3_KPDF16_EEvlllT_PT11_llS8_llS6_PT12_llPT13_lli.has_indirect_call, 0
	.section	.AMDGPU.csdata,"",@progbits
; Kernel info:
; codeLenInByte = 1928
; TotalNumSgprs: 46
; NumVgprs: 30
; ScratchSize: 0
; MemoryBound: 0
; FloatMode: 240
; IeeeMode: 1
; LDSByteSize: 1024 bytes/workgroup (compile time only)
; SGPRBlocks: 0
; VGPRBlocks: 3
; NumSGPRsForWavesPerEU: 46
; NumVGPRsForWavesPerEU: 30
; Occupancy: 16
; WaveLimiterHint : 1
; COMPUTE_PGM_RSRC2:SCRATCH_EN: 0
; COMPUTE_PGM_RSRC2:USER_SGPR: 6
; COMPUTE_PGM_RSRC2:TRAP_HANDLER: 0
; COMPUTE_PGM_RSRC2:TGID_X_EN: 1
; COMPUTE_PGM_RSRC2:TGID_Y_EN: 1
; COMPUTE_PGM_RSRC2:TGID_Z_EN: 1
; COMPUTE_PGM_RSRC2:TIDIG_COMP_CNT: 1
	.section	.text._ZN12_GLOBAL__N_135rocblas_gemm_batched_general_kernelIDF16_Li16ELi16ELi32ELi32ELi8ELi32ELi8ELi8ELi32ELc84ELc78EKPKDF16_S3_KPDF16_EEvlllT_PT11_llS8_llS6_PT12_llPT13_lli,"axG",@progbits,_ZN12_GLOBAL__N_135rocblas_gemm_batched_general_kernelIDF16_Li16ELi16ELi32ELi32ELi8ELi32ELi8ELi8ELi32ELc84ELc78EKPKDF16_S3_KPDF16_EEvlllT_PT11_llS8_llS6_PT12_llPT13_lli,comdat
	.globl	_ZN12_GLOBAL__N_135rocblas_gemm_batched_general_kernelIDF16_Li16ELi16ELi32ELi32ELi8ELi32ELi8ELi8ELi32ELc84ELc78EKPKDF16_S3_KPDF16_EEvlllT_PT11_llS8_llS6_PT12_llPT13_lli ; -- Begin function _ZN12_GLOBAL__N_135rocblas_gemm_batched_general_kernelIDF16_Li16ELi16ELi32ELi32ELi8ELi32ELi8ELi8ELi32ELc84ELc78EKPKDF16_S3_KPDF16_EEvlllT_PT11_llS8_llS6_PT12_llPT13_lli
	.p2align	8
	.type	_ZN12_GLOBAL__N_135rocblas_gemm_batched_general_kernelIDF16_Li16ELi16ELi32ELi32ELi8ELi32ELi8ELi8ELi32ELc84ELc78EKPKDF16_S3_KPDF16_EEvlllT_PT11_llS8_llS6_PT12_llPT13_lli,@function
_ZN12_GLOBAL__N_135rocblas_gemm_batched_general_kernelIDF16_Li16ELi16ELi32ELi32ELi8ELi32ELi8ELi8ELi32ELc84ELc78EKPKDF16_S3_KPDF16_EEvlllT_PT11_llS8_llS6_PT12_llPT13_lli: ; @_ZN12_GLOBAL__N_135rocblas_gemm_batched_general_kernelIDF16_Li16ELi16ELi32ELi32ELi8ELi32ELi8ELi8ELi32ELc84ELc78EKPKDF16_S3_KPDF16_EEvlllT_PT11_llS8_llS6_PT12_llPT13_lli
; %bb.0:
	s_clause 0x1
	s_load_dwordx8 s[12:19], s[4:5], 0x58
	s_load_dwordx2 s[34:35], s[4:5], 0x10
	s_mov_b32 s9, 0
	s_load_dwordx4 s[28:31], s[4:5], 0x0
	s_lshl_b64 s[38:39], s[8:9], 3
	s_load_dwordx4 s[8:11], s[4:5], 0x78
	s_mov_b32 s0, s7
	v_mov_b32_e32 v7, 0
	s_waitcnt lgkmcnt(0)
	s_add_u32 s2, s12, s38
	s_addc_u32 s3, s13, s39
	s_add_u32 s18, s18, s38
	s_addc_u32 s19, s19, s39
	s_load_dwordx2 s[12:13], s[2:3], 0x0
	s_load_dwordx2 s[18:19], s[18:19], 0x0
	v_cmp_lt_i64_e64 s2, s[34:35], 1
	s_ashr_i32 s7, s6, 31
	s_ashr_i32 s1, s0, 31
	s_lshl_b64 s[6:7], s[6:7], 5
	s_lshl_b64 s[36:37], s[0:1], 5
	s_and_b32 vcc_lo, exec_lo, s2
	s_cbranch_vccnz .LBB166_7
; %bb.1:
	v_lshlrev_b32_e32 v8, 4, v1
	s_clause 0x1
	s_load_dwordx4 s[0:3], s[4:5], 0x40
	s_load_dwordx8 s[20:27], s[4:5], 0x20
	v_mov_b32_e32 v3, s7
	v_and_b32_e32 v6, 7, v0
	v_add_nc_u32_e32 v2, v8, v0
	v_lshlrev_b32_e32 v16, 1, v6
	v_lshrrev_b32_e32 v10, 3, v2
	v_and_b32_e32 v11, 31, v2
	v_lshrrev_b32_e32 v9, 5, v2
	v_add_co_u32 v4, s33, v10, s36
	v_add_co_ci_u32_e64 v5, null, 0, s37, s33
	v_or_b32_e32 v2, s6, v11
	v_lshlrev_b32_e32 v17, 1, v11
	s_waitcnt lgkmcnt(0)
	v_mul_lo_u32 v18, s1, v4
	v_add_co_u32 v11, s1, s6, v11
	v_add_co_ci_u32_e64 v14, null, s7, 0, s1
	v_mul_lo_u32 v19, s0, v5
	v_mad_u64_u32 v[12:13], null, s0, v4, 0
	v_mul_lo_u32 v20, s23, v11
	v_mul_lo_u32 v21, s22, v14
	v_mad_u64_u32 v[14:15], null, s22, v11, 0
	s_add_u32 s26, s26, s38
	s_addc_u32 s27, s27, s39
	v_add3_u32 v13, v13, v19, v18
	s_add_u32 s20, s20, s38
	s_load_dwordx2 s[26:27], s[26:27], 0x0
	s_addc_u32 s21, s21, s39
	v_add3_u32 v15, v15, v21, v20
	s_load_dwordx2 s[20:21], s[20:21], 0x0
	v_cmp_gt_i64_e64 s0, s[28:29], v[2:3]
	v_lshlrev_b64 v[2:3], 1, v[12:13]
	v_cmp_gt_i64_e64 s1, s[30:31], v[4:5]
	s_lshl_b64 s[2:3], s[2:3], 1
	v_lshlrev_b64 v[4:5], 1, v[14:15]
	v_add_nc_u32_e32 v13, 0x200, v8
	v_lshlrev_b32_e32 v8, 1, v9
	v_add_co_u32 v2, vcc_lo, v2, s2
	v_add_co_ci_u32_e64 v3, null, s3, v3, vcc_lo
	s_lshl_b64 s[2:3], s[24:25], 1
	v_lshl_or_b32 v11, v10, 4, v16
	v_add_co_u32 v4, vcc_lo, v4, s2
	v_add_co_ci_u32_e64 v5, null, s3, v5, vcc_lo
	v_add_co_u32 v2, vcc_lo, v2, v16
	v_add_co_ci_u32_e64 v3, null, 0, v3, vcc_lo
	;; [unrolled: 2-line block ×3, first 2 shown]
	s_waitcnt lgkmcnt(0)
	v_add_co_u32 v2, vcc_lo, s26, v2
	v_add_co_ci_u32_e64 v3, null, s27, v3, vcc_lo
	v_add_co_u32 v4, vcc_lo, s20, v4
	v_lshl_or_b32 v10, v9, 6, v17
	v_add_nc_u32_e32 v11, 0x200, v11
	v_lshlrev_b32_e32 v12, 1, v0
	v_add_co_ci_u32_e64 v5, null, s21, v5, vcc_lo
	v_mov_b32_e32 v8, 0
	s_mov_b64 s[2:3], 0
	s_branch .LBB166_3
.LBB166_2:                              ;   in Loop: Header=BB166_3 Depth=1
	s_or_b32 exec_lo, exec_lo, s20
	s_waitcnt vmcnt(0) lgkmcnt(0)
	ds_write_b16 v11, v14
	s_waitcnt lgkmcnt(0)
	s_barrier
	buffer_gl0_inv
	ds_read_u16 v22, v12
	ds_read_u16 v23, v12 offset:64
	ds_read_u16 v24, v12 offset:128
	;; [unrolled: 1-line block ×7, first 2 shown]
	s_add_u32 s2, s2, 8
	s_addc_u32 s3, s3, 0
	v_add_co_u32 v2, vcc_lo, v2, 16
	v_cmp_lt_i64_e64 s20, s[2:3], s[34:35]
	v_add_co_ci_u32_e64 v3, null, 0, v3, vcc_lo
	v_add_co_u32 v4, vcc_lo, v4, 16
	v_add_co_ci_u32_e64 v5, null, 0, v5, vcc_lo
	s_and_b32 vcc_lo, exec_lo, s20
	s_waitcnt lgkmcnt(7)
	ds_read_u16_d16_hi v22, v12 offset:32
	ds_read_b128 v[14:17], v13
	ds_read_b128 v[18:21], v13 offset:256
	s_waitcnt lgkmcnt(9)
	ds_read_u16_d16_hi v23, v12 offset:96
	s_waitcnt lgkmcnt(9)
	ds_read_u16_d16_hi v24, v12 offset:160
	;; [unrolled: 2-line block ×7, first 2 shown]
	s_waitcnt lgkmcnt(0)
	s_barrier
	buffer_gl0_inv
	v_pk_fma_f16 v7, v22, v14, v7 op_sel_hi:[1,0,1]
	v_pk_fma_f16 v8, v22, v18, v8 op_sel_hi:[1,0,1]
	v_pk_fma_f16 v7, v23, v14, v7 op_sel:[0,1,0]
	v_pk_fma_f16 v8, v23, v18, v8 op_sel:[0,1,0]
	v_pk_fma_f16 v7, v24, v15, v7 op_sel_hi:[1,0,1]
	v_pk_fma_f16 v8, v24, v19, v8 op_sel_hi:[1,0,1]
	v_pk_fma_f16 v7, v25, v15, v7 op_sel:[0,1,0]
	v_pk_fma_f16 v8, v25, v19, v8 op_sel:[0,1,0]
	;; [unrolled: 4-line block ×4, first 2 shown]
	s_cbranch_vccz .LBB166_8
.LBB166_3:                              ; =>This Inner Loop Header: Depth=1
	v_add_co_u32 v14, s20, v9, s2
	v_add_co_ci_u32_e64 v15, null, 0, s3, s20
	v_cmp_gt_i64_e32 vcc_lo, s[34:35], v[14:15]
	v_mov_b32_e32 v14, 0
	v_mov_b32_e32 v15, 0
	s_and_b32 s21, s0, vcc_lo
	s_and_saveexec_b32 s20, s21
	s_cbranch_execz .LBB166_5
; %bb.4:                                ;   in Loop: Header=BB166_3 Depth=1
	flat_load_ushort v15, v[4:5]
.LBB166_5:                              ;   in Loop: Header=BB166_3 Depth=1
	s_or_b32 exec_lo, exec_lo, s20
	v_add_co_u32 v16, s20, v6, s2
	v_add_co_ci_u32_e64 v17, null, 0, s3, s20
	s_waitcnt vmcnt(0) lgkmcnt(0)
	ds_write_b16 v10, v15
	v_cmp_gt_i64_e32 vcc_lo, s[34:35], v[16:17]
	s_and_b32 s21, vcc_lo, s1
	s_and_saveexec_b32 s20, s21
	s_cbranch_execz .LBB166_2
; %bb.6:                                ;   in Loop: Header=BB166_3 Depth=1
	flat_load_ushort v14, v[2:3]
	s_branch .LBB166_2
.LBB166_7:
	v_mov_b32_e32 v8, 0
.LBB166_8:
	s_clause 0x1
	s_load_dword s20, s[4:5], 0x50
	s_load_dword s3, s[4:5], 0x18
	v_add_co_u32 v1, s2, s36, v1
	v_add_co_ci_u32_e64 v2, null, s37, 0, s2
	s_lshl_b64 s[0:1], s[10:11], 1
	s_waitcnt lgkmcnt(0)
	s_add_u32 s4, s18, s0
	v_cmp_gt_i64_e64 s0, s[30:31], v[1:2]
	s_addc_u32 s5, s19, s1
	v_cmp_neq_f16_e64 s2, s20, 0
	s_and_b32 vcc_lo, exec_lo, s2
	s_cbranch_vccnz .LBB166_21
; %bb.9:
	s_and_saveexec_b32 s10, s0
	s_cbranch_execz .LBB166_19
; %bb.10:
	v_mul_lo_u32 v5, v2, s8
	v_mul_lo_u32 v6, v1, s9
	v_mad_u64_u32 v[3:4], null, v1, s8, 0
	v_add3_u32 v4, v4, v6, v5
	v_add_co_u32 v5, s1, s6, v0
	v_add_co_ci_u32_e64 v6, null, s7, 0, s1
	v_lshlrev_b64 v[9:10], 1, v[3:4]
	v_cmp_gt_i64_e32 vcc_lo, s[28:29], v[5:6]
	v_lshlrev_b64 v[3:4], 1, v[5:6]
	v_add_co_u32 v9, s1, s4, v9
	v_add_co_ci_u32_e64 v10, null, s5, v10, s1
	s_and_saveexec_b32 s2, vcc_lo
	s_cbranch_execz .LBB166_12
; %bb.11:
	v_add_co_u32 v11, s1, v9, v3
	v_add_co_ci_u32_e64 v12, null, v10, v4, s1
	v_mul_f16_e32 v13, s3, v7
	flat_store_short v[11:12], v13
.LBB166_12:
	s_or_b32 exec_lo, exec_lo, s2
	v_add_co_u32 v5, s1, v5, 16
	v_add_co_ci_u32_e64 v6, null, 0, v6, s1
	v_cmp_gt_i64_e64 s1, s[28:29], v[5:6]
	s_and_saveexec_b32 s11, s1
	s_cbranch_execz .LBB166_14
; %bb.13:
	v_add_co_u32 v5, s2, v9, v3
	v_add_co_ci_u32_e64 v6, null, v10, v4, s2
	v_mul_f16_sdwa v11, s3, v7 dst_sel:DWORD dst_unused:UNUSED_PAD src0_sel:DWORD src1_sel:WORD_1
	flat_store_short v[5:6], v11 offset:32
.LBB166_14:
	s_or_b32 exec_lo, exec_lo, s11
	v_add_co_u32 v5, s2, v1, 16
	v_add_co_ci_u32_e64 v6, null, 0, v2, s2
	v_cmp_gt_i64_e64 s2, s[30:31], v[5:6]
	s_and_b32 exec_lo, exec_lo, s2
	s_cbranch_execz .LBB166_19
; %bb.15:
	s_lshl_b64 s[18:19], s[8:9], 5
	v_add_co_u32 v5, s2, v9, s18
	v_add_co_ci_u32_e64 v6, null, s19, v10, s2
	v_add_co_u32 v3, s2, v5, v3
	v_add_co_ci_u32_e64 v4, null, v6, v4, s2
	s_and_saveexec_b32 s2, vcc_lo
	s_cbranch_execz .LBB166_17
; %bb.16:
	v_mul_f16_e32 v5, s3, v8
	flat_store_short v[3:4], v5
.LBB166_17:
	s_or_b32 exec_lo, exec_lo, s2
	s_and_b32 exec_lo, exec_lo, s1
	s_cbranch_execz .LBB166_19
; %bb.18:
	v_mul_f16_sdwa v5, s3, v8 dst_sel:DWORD dst_unused:UNUSED_PAD src0_sel:DWORD src1_sel:WORD_1
	flat_store_short v[3:4], v5 offset:32
.LBB166_19:
	s_or_b32 exec_lo, exec_lo, s10
	s_cbranch_execz .LBB166_22
.LBB166_20:
	s_endpgm
.LBB166_21:
.LBB166_22:
	s_and_saveexec_b32 s1, s0
	s_cbranch_execz .LBB166_20
; %bb.23:
	v_mul_lo_u32 v5, v2, s14
	v_mul_lo_u32 v6, v1, s15
	v_mad_u64_u32 v[3:4], null, v1, s14, 0
	v_mul_lo_u32 v11, v2, s8
	v_mul_lo_u32 v12, v1, s9
	v_mad_u64_u32 v[9:10], null, v1, s8, 0
	s_lshl_b64 s[0:1], s[16:17], 1
	v_add3_u32 v4, v4, v6, v5
	v_add_co_u32 v5, s2, s6, v0
	v_add_co_ci_u32_e64 v6, null, s7, 0, s2
	v_add3_u32 v10, v10, v12, v11
	v_lshlrev_b64 v[3:4], 1, v[3:4]
	s_add_u32 s0, s12, s0
	s_addc_u32 s1, s13, s1
	v_cmp_gt_i64_e32 vcc_lo, s[28:29], v[5:6]
	v_lshlrev_b64 v[10:11], 1, v[9:10]
	v_add_co_u32 v0, s0, s0, v3
	v_add_co_ci_u32_e64 v9, null, s1, v4, s0
	v_add_co_u32 v10, s0, s4, v10
	v_lshlrev_b64 v[3:4], 1, v[5:6]
	v_add_co_ci_u32_e64 v11, null, s5, v11, s0
	s_and_saveexec_b32 s1, vcc_lo
	s_cbranch_execz .LBB166_25
; %bb.24:
	v_add_co_u32 v12, s0, v0, v3
	v_add_co_ci_u32_e64 v13, null, v9, v4, s0
	flat_load_ushort v12, v[12:13]
	s_waitcnt vmcnt(0) lgkmcnt(0)
	v_mul_f16_e32 v14, s20, v12
	v_add_co_u32 v12, s0, v10, v3
	v_add_co_ci_u32_e64 v13, null, v11, v4, s0
	v_fmac_f16_e32 v14, s3, v7
	flat_store_short v[12:13], v14
.LBB166_25:
	s_or_b32 exec_lo, exec_lo, s1
	v_add_co_u32 v5, s0, v5, 16
	v_add_co_ci_u32_e64 v6, null, 0, v6, s0
	v_cmp_gt_i64_e64 s0, s[28:29], v[5:6]
	s_and_saveexec_b32 s2, s0
	s_cbranch_execz .LBB166_27
; %bb.26:
	v_add_co_u32 v5, s1, v0, v3
	v_add_co_ci_u32_e64 v6, null, v9, v4, s1
	flat_load_ushort v5, v[5:6] offset:32
	v_lshrrev_b32_e32 v6, 16, v7
	s_waitcnt vmcnt(0) lgkmcnt(0)
	v_mul_f16_e32 v7, s20, v5
	v_add_co_u32 v5, s1, v10, v3
	v_fmac_f16_e32 v7, s3, v6
	v_add_co_ci_u32_e64 v6, null, v11, v4, s1
	flat_store_short v[5:6], v7 offset:32
.LBB166_27:
	s_or_b32 exec_lo, exec_lo, s2
	v_add_co_u32 v1, s1, v1, 16
	v_add_co_ci_u32_e64 v2, null, 0, v2, s1
	v_cmp_gt_i64_e64 s1, s[30:31], v[1:2]
	s_and_b32 exec_lo, exec_lo, s1
	s_cbranch_execz .LBB166_20
; %bb.28:
	s_lshl_b64 s[4:5], s[14:15], 5
	v_add_co_u32 v0, s1, v0, s4
	v_add_co_ci_u32_e64 v1, null, s5, v9, s1
	s_lshl_b64 s[4:5], s[8:9], 5
	v_add_co_u32 v2, s1, v10, s4
	v_add_co_ci_u32_e64 v7, null, s5, v11, s1
	v_add_co_u32 v5, s1, v0, v3
	v_add_co_ci_u32_e64 v6, null, v1, v4, s1
	;; [unrolled: 2-line block ×3, first 2 shown]
	s_and_saveexec_b32 s1, vcc_lo
	s_cbranch_execz .LBB166_30
; %bb.29:
	flat_load_ushort v2, v[5:6]
	s_waitcnt vmcnt(0) lgkmcnt(0)
	v_mul_f16_e32 v2, s20, v2
	v_fmac_f16_e32 v2, s3, v8
	flat_store_short v[0:1], v2
.LBB166_30:
	s_or_b32 exec_lo, exec_lo, s1
	s_and_b32 exec_lo, exec_lo, s0
	s_cbranch_execz .LBB166_20
; %bb.31:
	flat_load_ushort v2, v[5:6] offset:32
	v_lshrrev_b32_e32 v3, 16, v8
	s_waitcnt vmcnt(0) lgkmcnt(0)
	v_mul_f16_e32 v2, s20, v2
	v_fmac_f16_e32 v2, s3, v3
	flat_store_short v[0:1], v2 offset:32
	s_endpgm
	.section	.rodata,"a",@progbits
	.p2align	6, 0x0
	.amdhsa_kernel _ZN12_GLOBAL__N_135rocblas_gemm_batched_general_kernelIDF16_Li16ELi16ELi32ELi32ELi8ELi32ELi8ELi8ELi32ELc84ELc78EKPKDF16_S3_KPDF16_EEvlllT_PT11_llS8_llS6_PT12_llPT13_lli
		.amdhsa_group_segment_fixed_size 1024
		.amdhsa_private_segment_fixed_size 0
		.amdhsa_kernarg_size 140
		.amdhsa_user_sgpr_count 6
		.amdhsa_user_sgpr_private_segment_buffer 1
		.amdhsa_user_sgpr_dispatch_ptr 0
		.amdhsa_user_sgpr_queue_ptr 0
		.amdhsa_user_sgpr_kernarg_segment_ptr 1
		.amdhsa_user_sgpr_dispatch_id 0
		.amdhsa_user_sgpr_flat_scratch_init 0
		.amdhsa_user_sgpr_private_segment_size 0
		.amdhsa_wavefront_size32 1
		.amdhsa_uses_dynamic_stack 0
		.amdhsa_system_sgpr_private_segment_wavefront_offset 0
		.amdhsa_system_sgpr_workgroup_id_x 1
		.amdhsa_system_sgpr_workgroup_id_y 1
		.amdhsa_system_sgpr_workgroup_id_z 1
		.amdhsa_system_sgpr_workgroup_info 0
		.amdhsa_system_vgpr_workitem_id 1
		.amdhsa_next_free_vgpr 30
		.amdhsa_next_free_sgpr 40
		.amdhsa_reserve_vcc 1
		.amdhsa_reserve_flat_scratch 0
		.amdhsa_float_round_mode_32 0
		.amdhsa_float_round_mode_16_64 0
		.amdhsa_float_denorm_mode_32 3
		.amdhsa_float_denorm_mode_16_64 3
		.amdhsa_dx10_clamp 1
		.amdhsa_ieee_mode 1
		.amdhsa_fp16_overflow 0
		.amdhsa_workgroup_processor_mode 1
		.amdhsa_memory_ordered 1
		.amdhsa_forward_progress 1
		.amdhsa_shared_vgpr_count 0
		.amdhsa_exception_fp_ieee_invalid_op 0
		.amdhsa_exception_fp_denorm_src 0
		.amdhsa_exception_fp_ieee_div_zero 0
		.amdhsa_exception_fp_ieee_overflow 0
		.amdhsa_exception_fp_ieee_underflow 0
		.amdhsa_exception_fp_ieee_inexact 0
		.amdhsa_exception_int_div_zero 0
	.end_amdhsa_kernel
	.section	.text._ZN12_GLOBAL__N_135rocblas_gemm_batched_general_kernelIDF16_Li16ELi16ELi32ELi32ELi8ELi32ELi8ELi8ELi32ELc84ELc78EKPKDF16_S3_KPDF16_EEvlllT_PT11_llS8_llS6_PT12_llPT13_lli,"axG",@progbits,_ZN12_GLOBAL__N_135rocblas_gemm_batched_general_kernelIDF16_Li16ELi16ELi32ELi32ELi8ELi32ELi8ELi8ELi32ELc84ELc78EKPKDF16_S3_KPDF16_EEvlllT_PT11_llS8_llS6_PT12_llPT13_lli,comdat
.Lfunc_end166:
	.size	_ZN12_GLOBAL__N_135rocblas_gemm_batched_general_kernelIDF16_Li16ELi16ELi32ELi32ELi8ELi32ELi8ELi8ELi32ELc84ELc78EKPKDF16_S3_KPDF16_EEvlllT_PT11_llS8_llS6_PT12_llPT13_lli, .Lfunc_end166-_ZN12_GLOBAL__N_135rocblas_gemm_batched_general_kernelIDF16_Li16ELi16ELi32ELi32ELi8ELi32ELi8ELi8ELi32ELc84ELc78EKPKDF16_S3_KPDF16_EEvlllT_PT11_llS8_llS6_PT12_llPT13_lli
                                        ; -- End function
	.set _ZN12_GLOBAL__N_135rocblas_gemm_batched_general_kernelIDF16_Li16ELi16ELi32ELi32ELi8ELi32ELi8ELi8ELi32ELc84ELc78EKPKDF16_S3_KPDF16_EEvlllT_PT11_llS8_llS6_PT12_llPT13_lli.num_vgpr, 30
	.set _ZN12_GLOBAL__N_135rocblas_gemm_batched_general_kernelIDF16_Li16ELi16ELi32ELi32ELi8ELi32ELi8ELi8ELi32ELc84ELc78EKPKDF16_S3_KPDF16_EEvlllT_PT11_llS8_llS6_PT12_llPT13_lli.num_agpr, 0
	.set _ZN12_GLOBAL__N_135rocblas_gemm_batched_general_kernelIDF16_Li16ELi16ELi32ELi32ELi8ELi32ELi8ELi8ELi32ELc84ELc78EKPKDF16_S3_KPDF16_EEvlllT_PT11_llS8_llS6_PT12_llPT13_lli.numbered_sgpr, 40
	.set _ZN12_GLOBAL__N_135rocblas_gemm_batched_general_kernelIDF16_Li16ELi16ELi32ELi32ELi8ELi32ELi8ELi8ELi32ELc84ELc78EKPKDF16_S3_KPDF16_EEvlllT_PT11_llS8_llS6_PT12_llPT13_lli.num_named_barrier, 0
	.set _ZN12_GLOBAL__N_135rocblas_gemm_batched_general_kernelIDF16_Li16ELi16ELi32ELi32ELi8ELi32ELi8ELi8ELi32ELc84ELc78EKPKDF16_S3_KPDF16_EEvlllT_PT11_llS8_llS6_PT12_llPT13_lli.private_seg_size, 0
	.set _ZN12_GLOBAL__N_135rocblas_gemm_batched_general_kernelIDF16_Li16ELi16ELi32ELi32ELi8ELi32ELi8ELi8ELi32ELc84ELc78EKPKDF16_S3_KPDF16_EEvlllT_PT11_llS8_llS6_PT12_llPT13_lli.uses_vcc, 1
	.set _ZN12_GLOBAL__N_135rocblas_gemm_batched_general_kernelIDF16_Li16ELi16ELi32ELi32ELi8ELi32ELi8ELi8ELi32ELc84ELc78EKPKDF16_S3_KPDF16_EEvlllT_PT11_llS8_llS6_PT12_llPT13_lli.uses_flat_scratch, 0
	.set _ZN12_GLOBAL__N_135rocblas_gemm_batched_general_kernelIDF16_Li16ELi16ELi32ELi32ELi8ELi32ELi8ELi8ELi32ELc84ELc78EKPKDF16_S3_KPDF16_EEvlllT_PT11_llS8_llS6_PT12_llPT13_lli.has_dyn_sized_stack, 0
	.set _ZN12_GLOBAL__N_135rocblas_gemm_batched_general_kernelIDF16_Li16ELi16ELi32ELi32ELi8ELi32ELi8ELi8ELi32ELc84ELc78EKPKDF16_S3_KPDF16_EEvlllT_PT11_llS8_llS6_PT12_llPT13_lli.has_recursion, 0
	.set _ZN12_GLOBAL__N_135rocblas_gemm_batched_general_kernelIDF16_Li16ELi16ELi32ELi32ELi8ELi32ELi8ELi8ELi32ELc84ELc78EKPKDF16_S3_KPDF16_EEvlllT_PT11_llS8_llS6_PT12_llPT13_lli.has_indirect_call, 0
	.section	.AMDGPU.csdata,"",@progbits
; Kernel info:
; codeLenInByte = 1948
; TotalNumSgprs: 42
; NumVgprs: 30
; ScratchSize: 0
; MemoryBound: 0
; FloatMode: 240
; IeeeMode: 1
; LDSByteSize: 1024 bytes/workgroup (compile time only)
; SGPRBlocks: 0
; VGPRBlocks: 3
; NumSGPRsForWavesPerEU: 42
; NumVGPRsForWavesPerEU: 30
; Occupancy: 16
; WaveLimiterHint : 1
; COMPUTE_PGM_RSRC2:SCRATCH_EN: 0
; COMPUTE_PGM_RSRC2:USER_SGPR: 6
; COMPUTE_PGM_RSRC2:TRAP_HANDLER: 0
; COMPUTE_PGM_RSRC2:TGID_X_EN: 1
; COMPUTE_PGM_RSRC2:TGID_Y_EN: 1
; COMPUTE_PGM_RSRC2:TGID_Z_EN: 1
; COMPUTE_PGM_RSRC2:TIDIG_COMP_CNT: 1
	.section	.text._ZN12_GLOBAL__N_135rocblas_gemm_batched_general_kernelIDF16_Li16ELi16ELi32ELi32ELi8ELi32ELi8ELi8ELi32ELc78ELc84EKPKDF16_S3_KPDF16_EEvlllT_PT11_llS8_llS6_PT12_llPT13_lli,"axG",@progbits,_ZN12_GLOBAL__N_135rocblas_gemm_batched_general_kernelIDF16_Li16ELi16ELi32ELi32ELi8ELi32ELi8ELi8ELi32ELc78ELc84EKPKDF16_S3_KPDF16_EEvlllT_PT11_llS8_llS6_PT12_llPT13_lli,comdat
	.globl	_ZN12_GLOBAL__N_135rocblas_gemm_batched_general_kernelIDF16_Li16ELi16ELi32ELi32ELi8ELi32ELi8ELi8ELi32ELc78ELc84EKPKDF16_S3_KPDF16_EEvlllT_PT11_llS8_llS6_PT12_llPT13_lli ; -- Begin function _ZN12_GLOBAL__N_135rocblas_gemm_batched_general_kernelIDF16_Li16ELi16ELi32ELi32ELi8ELi32ELi8ELi8ELi32ELc78ELc84EKPKDF16_S3_KPDF16_EEvlllT_PT11_llS8_llS6_PT12_llPT13_lli
	.p2align	8
	.type	_ZN12_GLOBAL__N_135rocblas_gemm_batched_general_kernelIDF16_Li16ELi16ELi32ELi32ELi8ELi32ELi8ELi8ELi32ELc78ELc84EKPKDF16_S3_KPDF16_EEvlllT_PT11_llS8_llS6_PT12_llPT13_lli,@function
_ZN12_GLOBAL__N_135rocblas_gemm_batched_general_kernelIDF16_Li16ELi16ELi32ELi32ELi8ELi32ELi8ELi8ELi32ELc78ELc84EKPKDF16_S3_KPDF16_EEvlllT_PT11_llS8_llS6_PT12_llPT13_lli: ; @_ZN12_GLOBAL__N_135rocblas_gemm_batched_general_kernelIDF16_Li16ELi16ELi32ELi32ELi8ELi32ELi8ELi8ELi32ELc78ELc84EKPKDF16_S3_KPDF16_EEvlllT_PT11_llS8_llS6_PT12_llPT13_lli
; %bb.0:
	s_clause 0x1
	s_load_dwordx8 s[12:19], s[4:5], 0x58
	s_load_dwordx2 s[34:35], s[4:5], 0x10
	s_mov_b32 s9, 0
	s_load_dwordx4 s[28:31], s[4:5], 0x0
	s_lshl_b64 s[44:45], s[8:9], 3
	s_load_dwordx4 s[8:11], s[4:5], 0x78
	s_mov_b32 s42, s7
	v_mov_b32_e32 v7, 0
	s_waitcnt lgkmcnt(0)
	s_add_u32 s0, s12, s44
	s_addc_u32 s1, s13, s45
	s_add_u32 s2, s18, s44
	s_addc_u32 s3, s19, s45
	s_load_dwordx2 s[12:13], s[0:1], 0x0
	s_load_dwordx2 s[2:3], s[2:3], 0x0
	v_cmp_lt_i64_e64 s0, s[34:35], 1
	s_ashr_i32 s7, s6, 31
	s_ashr_i32 s43, s42, 31
	s_lshl_b64 s[18:19], s[6:7], 5
	s_lshl_b64 s[40:41], s[42:43], 5
	s_and_b32 vcc_lo, exec_lo, s0
	s_cbranch_vccnz .LBB167_7
; %bb.1:
	s_clause 0x1
	s_load_dwordx4 s[36:39], s[4:5], 0x40
	s_load_dwordx8 s[20:27], s[4:5], 0x20
	v_lshlrev_b32_e32 v2, 4, v1
	v_and_b32_e32 v6, 7, v0
	v_mov_b32_e32 v3, s19
	v_lshlrev_b32_e32 v9, 1, v0
	v_add_nc_u32_e32 v4, v2, v0
	v_add_nc_u32_e32 v10, 0x200, v2
	v_lshlrev_b32_e32 v8, 1, v6
	v_lshrrev_b32_e32 v11, 5, v4
	v_and_b32_e32 v13, 31, v4
	v_lshrrev_b32_e32 v12, 3, v4
	v_or_b32_e32 v2, s18, v13
	v_add_co_u32 v4, s0, v12, s40
	s_waitcnt lgkmcnt(0)
	v_mad_u64_u32 v[14:15], null, s36, v6, 0
	v_mad_u64_u32 v[16:17], null, s22, v11, 0
	v_add_co_ci_u32_e64 v5, null, 0, s41, s0
	v_cmp_gt_i64_e64 s0, s[28:29], v[2:3]
	s_add_u32 s26, s26, s44
	v_mov_b32_e32 v2, v15
	v_cmp_gt_i64_e64 s1, s[30:31], v[4:5]
	v_mov_b32_e32 v3, v17
	s_addc_u32 s27, s27, s45
	s_add_u32 s20, s20, s44
	s_load_dwordx2 s[26:27], s[26:27], 0x0
	s_addc_u32 s21, s21, s45
	v_mad_u64_u32 v[4:5], null, s37, v6, v[2:3]
	s_load_dwordx2 s[20:21], s[20:21], 0x0
	s_lshl_b64 s[42:43], s[42:43], 6
	s_lshl_b64 s[38:39], s[38:39], 1
	v_lshlrev_b32_e32 v19, 1, v12
	s_add_u32 s33, s38, s42
	s_addc_u32 s42, s39, s43
	v_mad_u64_u32 v[2:3], null, s23, v11, v[3:4]
	v_mov_b32_e32 v15, v4
	s_lshl_b64 s[38:39], s[6:7], 6
	s_lshl_b64 s[24:25], s[24:25], 1
	;; [unrolled: 1-line block ×3, first 2 shown]
	s_add_u32 s24, s24, s38
	v_lshlrev_b32_e32 v18, 1, v13
	v_mov_b32_e32 v17, v2
	v_lshlrev_b64 v[2:3], 1, v[14:15]
	s_addc_u32 s25, s25, s39
	v_lshl_or_b32 v8, v12, 4, v8
	v_lshl_or_b32 v12, v11, 6, v18
	v_lshlrev_b64 v[4:5], 1, v[16:17]
	v_add_co_u32 v2, vcc_lo, s33, v2
	v_add_co_ci_u32_e64 v3, null, s42, v3, vcc_lo
	v_add_co_u32 v4, vcc_lo, s24, v4
	v_add_co_ci_u32_e64 v5, null, s25, v5, vcc_lo
	;; [unrolled: 2-line block ×4, first 2 shown]
	s_waitcnt lgkmcnt(0)
	v_add_co_u32 v2, vcc_lo, s26, v2
	v_add_co_ci_u32_e64 v3, null, s27, v3, vcc_lo
	v_add_co_u32 v4, vcc_lo, s20, v4
	v_add_nc_u32_e32 v13, 0x200, v8
	v_add_co_ci_u32_e64 v5, null, s21, v5, vcc_lo
	v_mov_b32_e32 v8, 0
	s_lshl_b64 s[20:21], s[22:23], 4
	s_mov_b64 s[22:23], 0
	s_branch .LBB167_3
.LBB167_2:                              ;   in Loop: Header=BB167_3 Depth=1
	s_or_b32 exec_lo, exec_lo, s24
	s_waitcnt vmcnt(0) lgkmcnt(0)
	ds_write_b16 v13, v14
	s_waitcnt lgkmcnt(0)
	s_barrier
	buffer_gl0_inv
	ds_read_u16 v22, v9
	ds_read_u16 v23, v9 offset:64
	ds_read_u16 v24, v9 offset:128
	;; [unrolled: 1-line block ×7, first 2 shown]
	s_add_u32 s22, s22, 8
	s_addc_u32 s23, s23, 0
	v_add_co_u32 v2, vcc_lo, v2, s6
	v_cmp_lt_i64_e64 s24, s[22:23], s[34:35]
	v_add_co_ci_u32_e64 v3, null, s7, v3, vcc_lo
	v_add_co_u32 v4, vcc_lo, v4, s20
	v_add_co_ci_u32_e64 v5, null, s21, v5, vcc_lo
	s_and_b32 vcc_lo, exec_lo, s24
	s_waitcnt lgkmcnt(7)
	ds_read_u16_d16_hi v22, v9 offset:32
	ds_read_b128 v[14:17], v10
	ds_read_b128 v[18:21], v10 offset:256
	s_waitcnt lgkmcnt(9)
	ds_read_u16_d16_hi v23, v9 offset:96
	s_waitcnt lgkmcnt(9)
	ds_read_u16_d16_hi v24, v9 offset:160
	;; [unrolled: 2-line block ×7, first 2 shown]
	s_waitcnt lgkmcnt(0)
	s_barrier
	buffer_gl0_inv
	v_pk_fma_f16 v7, v22, v14, v7 op_sel_hi:[1,0,1]
	v_pk_fma_f16 v8, v22, v18, v8 op_sel_hi:[1,0,1]
	v_pk_fma_f16 v7, v23, v14, v7 op_sel:[0,1,0]
	v_pk_fma_f16 v8, v23, v18, v8 op_sel:[0,1,0]
	v_pk_fma_f16 v7, v24, v15, v7 op_sel_hi:[1,0,1]
	v_pk_fma_f16 v8, v24, v19, v8 op_sel_hi:[1,0,1]
	v_pk_fma_f16 v7, v25, v15, v7 op_sel:[0,1,0]
	v_pk_fma_f16 v8, v25, v19, v8 op_sel:[0,1,0]
	v_pk_fma_f16 v7, v26, v16, v7 op_sel_hi:[1,0,1]
	v_pk_fma_f16 v8, v26, v20, v8 op_sel_hi:[1,0,1]
	v_pk_fma_f16 v7, v27, v16, v7 op_sel:[0,1,0]
	v_pk_fma_f16 v8, v27, v20, v8 op_sel:[0,1,0]
	v_pk_fma_f16 v7, v28, v17, v7 op_sel_hi:[1,0,1]
	v_pk_fma_f16 v8, v28, v21, v8 op_sel_hi:[1,0,1]
	v_pk_fma_f16 v7, v29, v17, v7 op_sel:[0,1,0]
	v_pk_fma_f16 v8, v29, v21, v8 op_sel:[0,1,0]
	s_cbranch_vccz .LBB167_8
.LBB167_3:                              ; =>This Inner Loop Header: Depth=1
	v_add_co_u32 v14, s24, v11, s22
	v_add_co_ci_u32_e64 v15, null, 0, s23, s24
	v_cmp_gt_i64_e32 vcc_lo, s[34:35], v[14:15]
	v_mov_b32_e32 v14, 0
	v_mov_b32_e32 v15, 0
	s_and_b32 s25, s0, vcc_lo
	s_and_saveexec_b32 s24, s25
	s_cbranch_execz .LBB167_5
; %bb.4:                                ;   in Loop: Header=BB167_3 Depth=1
	flat_load_ushort v15, v[4:5]
.LBB167_5:                              ;   in Loop: Header=BB167_3 Depth=1
	s_or_b32 exec_lo, exec_lo, s24
	v_add_co_u32 v16, s24, v6, s22
	v_add_co_ci_u32_e64 v17, null, 0, s23, s24
	s_waitcnt vmcnt(0) lgkmcnt(0)
	ds_write_b16 v12, v15
	v_cmp_gt_i64_e32 vcc_lo, s[34:35], v[16:17]
	s_and_b32 s25, vcc_lo, s1
	s_and_saveexec_b32 s24, s25
	s_cbranch_execz .LBB167_2
; %bb.6:                                ;   in Loop: Header=BB167_3 Depth=1
	flat_load_ushort v14, v[2:3]
	s_branch .LBB167_2
.LBB167_7:
	v_mov_b32_e32 v8, 0
.LBB167_8:
	s_clause 0x1
	s_load_dword s6, s[4:5], 0x50
	s_load_dword s4, s[4:5], 0x18
	v_add_co_u32 v1, s5, s40, v1
	v_add_co_ci_u32_e64 v2, null, s41, 0, s5
	s_lshl_b64 s[0:1], s[10:11], 1
	s_waitcnt lgkmcnt(0)
	s_add_u32 s5, s2, s0
	v_cmp_gt_i64_e64 s0, s[30:31], v[1:2]
	s_addc_u32 s3, s3, s1
	v_cmp_neq_f16_e64 s7, s6, 0
	s_and_b32 vcc_lo, exec_lo, s7
	s_cbranch_vccnz .LBB167_21
; %bb.9:
	s_and_saveexec_b32 s7, s0
	s_cbranch_execz .LBB167_19
; %bb.10:
	v_mul_lo_u32 v5, v2, s8
	v_mul_lo_u32 v6, v1, s9
	v_mad_u64_u32 v[3:4], null, v1, s8, 0
	v_add3_u32 v4, v4, v6, v5
	v_add_co_u32 v5, s1, s18, v0
	v_add_co_ci_u32_e64 v6, null, s19, 0, s1
	v_lshlrev_b64 v[9:10], 1, v[3:4]
	v_cmp_gt_i64_e32 vcc_lo, s[28:29], v[5:6]
	v_lshlrev_b64 v[3:4], 1, v[5:6]
	v_add_co_u32 v9, s1, s5, v9
	v_add_co_ci_u32_e64 v10, null, s3, v10, s1
	s_and_saveexec_b32 s2, vcc_lo
	s_cbranch_execz .LBB167_12
; %bb.11:
	v_add_co_u32 v11, s1, v9, v3
	v_add_co_ci_u32_e64 v12, null, v10, v4, s1
	v_mul_f16_e32 v13, s4, v7
	flat_store_short v[11:12], v13
.LBB167_12:
	s_or_b32 exec_lo, exec_lo, s2
	v_add_co_u32 v5, s1, v5, 16
	v_add_co_ci_u32_e64 v6, null, 0, v6, s1
	v_cmp_gt_i64_e64 s1, s[28:29], v[5:6]
	s_and_saveexec_b32 s10, s1
	s_cbranch_execz .LBB167_14
; %bb.13:
	v_add_co_u32 v5, s2, v9, v3
	v_add_co_ci_u32_e64 v6, null, v10, v4, s2
	v_mul_f16_sdwa v11, s4, v7 dst_sel:DWORD dst_unused:UNUSED_PAD src0_sel:DWORD src1_sel:WORD_1
	flat_store_short v[5:6], v11 offset:32
.LBB167_14:
	s_or_b32 exec_lo, exec_lo, s10
	v_add_co_u32 v5, s2, v1, 16
	v_add_co_ci_u32_e64 v6, null, 0, v2, s2
	v_cmp_gt_i64_e64 s2, s[30:31], v[5:6]
	s_and_b32 exec_lo, exec_lo, s2
	s_cbranch_execz .LBB167_19
; %bb.15:
	s_lshl_b64 s[10:11], s[8:9], 5
	v_add_co_u32 v5, s2, v9, s10
	v_add_co_ci_u32_e64 v6, null, s11, v10, s2
	v_add_co_u32 v3, s2, v5, v3
	v_add_co_ci_u32_e64 v4, null, v6, v4, s2
	s_and_saveexec_b32 s2, vcc_lo
	s_cbranch_execz .LBB167_17
; %bb.16:
	v_mul_f16_e32 v5, s4, v8
	flat_store_short v[3:4], v5
.LBB167_17:
	s_or_b32 exec_lo, exec_lo, s2
	s_and_b32 exec_lo, exec_lo, s1
	s_cbranch_execz .LBB167_19
; %bb.18:
	v_mul_f16_sdwa v5, s4, v8 dst_sel:DWORD dst_unused:UNUSED_PAD src0_sel:DWORD src1_sel:WORD_1
	flat_store_short v[3:4], v5 offset:32
.LBB167_19:
	s_or_b32 exec_lo, exec_lo, s7
	s_cbranch_execz .LBB167_22
.LBB167_20:
	s_endpgm
.LBB167_21:
.LBB167_22:
	s_and_saveexec_b32 s1, s0
	s_cbranch_execz .LBB167_20
; %bb.23:
	v_mul_lo_u32 v5, v2, s14
	v_mul_lo_u32 v6, v1, s15
	v_mad_u64_u32 v[3:4], null, v1, s14, 0
	v_mul_lo_u32 v11, v2, s8
	v_mul_lo_u32 v12, v1, s9
	v_mad_u64_u32 v[9:10], null, v1, s8, 0
	s_lshl_b64 s[0:1], s[16:17], 1
	v_add3_u32 v4, v4, v6, v5
	v_add_co_u32 v5, s2, s18, v0
	v_add_co_ci_u32_e64 v6, null, s19, 0, s2
	v_add3_u32 v10, v10, v12, v11
	v_lshlrev_b64 v[3:4], 1, v[3:4]
	s_add_u32 s0, s12, s0
	s_addc_u32 s1, s13, s1
	v_cmp_gt_i64_e32 vcc_lo, s[28:29], v[5:6]
	v_lshlrev_b64 v[10:11], 1, v[9:10]
	v_add_co_u32 v0, s0, s0, v3
	v_add_co_ci_u32_e64 v9, null, s1, v4, s0
	v_add_co_u32 v10, s0, s5, v10
	v_lshlrev_b64 v[3:4], 1, v[5:6]
	v_add_co_ci_u32_e64 v11, null, s3, v11, s0
	s_and_saveexec_b32 s1, vcc_lo
	s_cbranch_execz .LBB167_25
; %bb.24:
	v_add_co_u32 v12, s0, v0, v3
	v_add_co_ci_u32_e64 v13, null, v9, v4, s0
	flat_load_ushort v12, v[12:13]
	s_waitcnt vmcnt(0) lgkmcnt(0)
	v_mul_f16_e32 v14, s6, v12
	v_add_co_u32 v12, s0, v10, v3
	v_add_co_ci_u32_e64 v13, null, v11, v4, s0
	v_fmac_f16_e32 v14, s4, v7
	flat_store_short v[12:13], v14
.LBB167_25:
	s_or_b32 exec_lo, exec_lo, s1
	v_add_co_u32 v5, s0, v5, 16
	v_add_co_ci_u32_e64 v6, null, 0, v6, s0
	v_cmp_gt_i64_e64 s0, s[28:29], v[5:6]
	s_and_saveexec_b32 s2, s0
	s_cbranch_execz .LBB167_27
; %bb.26:
	v_add_co_u32 v5, s1, v0, v3
	v_add_co_ci_u32_e64 v6, null, v9, v4, s1
	flat_load_ushort v5, v[5:6] offset:32
	v_lshrrev_b32_e32 v6, 16, v7
	s_waitcnt vmcnt(0) lgkmcnt(0)
	v_mul_f16_e32 v7, s6, v5
	v_add_co_u32 v5, s1, v10, v3
	v_fmac_f16_e32 v7, s4, v6
	v_add_co_ci_u32_e64 v6, null, v11, v4, s1
	flat_store_short v[5:6], v7 offset:32
.LBB167_27:
	s_or_b32 exec_lo, exec_lo, s2
	v_add_co_u32 v1, s1, v1, 16
	v_add_co_ci_u32_e64 v2, null, 0, v2, s1
	v_cmp_gt_i64_e64 s1, s[30:31], v[1:2]
	s_and_b32 exec_lo, exec_lo, s1
	s_cbranch_execz .LBB167_20
; %bb.28:
	s_lshl_b64 s[2:3], s[14:15], 5
	v_add_co_u32 v0, s1, v0, s2
	v_add_co_ci_u32_e64 v1, null, s3, v9, s1
	s_lshl_b64 s[2:3], s[8:9], 5
	v_add_co_u32 v2, s1, v10, s2
	v_add_co_ci_u32_e64 v7, null, s3, v11, s1
	v_add_co_u32 v5, s1, v0, v3
	v_add_co_ci_u32_e64 v6, null, v1, v4, s1
	;; [unrolled: 2-line block ×3, first 2 shown]
	s_and_saveexec_b32 s1, vcc_lo
	s_cbranch_execz .LBB167_30
; %bb.29:
	flat_load_ushort v2, v[5:6]
	s_waitcnt vmcnt(0) lgkmcnt(0)
	v_mul_f16_e32 v2, s6, v2
	v_fmac_f16_e32 v2, s4, v8
	flat_store_short v[0:1], v2
.LBB167_30:
	s_or_b32 exec_lo, exec_lo, s1
	s_and_b32 exec_lo, exec_lo, s0
	s_cbranch_execz .LBB167_20
; %bb.31:
	flat_load_ushort v2, v[5:6] offset:32
	v_lshrrev_b32_e32 v3, 16, v8
	s_waitcnt vmcnt(0) lgkmcnt(0)
	v_mul_f16_e32 v2, s6, v2
	v_fmac_f16_e32 v2, s4, v3
	flat_store_short v[0:1], v2 offset:32
	s_endpgm
	.section	.rodata,"a",@progbits
	.p2align	6, 0x0
	.amdhsa_kernel _ZN12_GLOBAL__N_135rocblas_gemm_batched_general_kernelIDF16_Li16ELi16ELi32ELi32ELi8ELi32ELi8ELi8ELi32ELc78ELc84EKPKDF16_S3_KPDF16_EEvlllT_PT11_llS8_llS6_PT12_llPT13_lli
		.amdhsa_group_segment_fixed_size 1024
		.amdhsa_private_segment_fixed_size 0
		.amdhsa_kernarg_size 140
		.amdhsa_user_sgpr_count 6
		.amdhsa_user_sgpr_private_segment_buffer 1
		.amdhsa_user_sgpr_dispatch_ptr 0
		.amdhsa_user_sgpr_queue_ptr 0
		.amdhsa_user_sgpr_kernarg_segment_ptr 1
		.amdhsa_user_sgpr_dispatch_id 0
		.amdhsa_user_sgpr_flat_scratch_init 0
		.amdhsa_user_sgpr_private_segment_size 0
		.amdhsa_wavefront_size32 1
		.amdhsa_uses_dynamic_stack 0
		.amdhsa_system_sgpr_private_segment_wavefront_offset 0
		.amdhsa_system_sgpr_workgroup_id_x 1
		.amdhsa_system_sgpr_workgroup_id_y 1
		.amdhsa_system_sgpr_workgroup_id_z 1
		.amdhsa_system_sgpr_workgroup_info 0
		.amdhsa_system_vgpr_workitem_id 1
		.amdhsa_next_free_vgpr 30
		.amdhsa_next_free_sgpr 46
		.amdhsa_reserve_vcc 1
		.amdhsa_reserve_flat_scratch 0
		.amdhsa_float_round_mode_32 0
		.amdhsa_float_round_mode_16_64 0
		.amdhsa_float_denorm_mode_32 3
		.amdhsa_float_denorm_mode_16_64 3
		.amdhsa_dx10_clamp 1
		.amdhsa_ieee_mode 1
		.amdhsa_fp16_overflow 0
		.amdhsa_workgroup_processor_mode 1
		.amdhsa_memory_ordered 1
		.amdhsa_forward_progress 1
		.amdhsa_shared_vgpr_count 0
		.amdhsa_exception_fp_ieee_invalid_op 0
		.amdhsa_exception_fp_denorm_src 0
		.amdhsa_exception_fp_ieee_div_zero 0
		.amdhsa_exception_fp_ieee_overflow 0
		.amdhsa_exception_fp_ieee_underflow 0
		.amdhsa_exception_fp_ieee_inexact 0
		.amdhsa_exception_int_div_zero 0
	.end_amdhsa_kernel
	.section	.text._ZN12_GLOBAL__N_135rocblas_gemm_batched_general_kernelIDF16_Li16ELi16ELi32ELi32ELi8ELi32ELi8ELi8ELi32ELc78ELc84EKPKDF16_S3_KPDF16_EEvlllT_PT11_llS8_llS6_PT12_llPT13_lli,"axG",@progbits,_ZN12_GLOBAL__N_135rocblas_gemm_batched_general_kernelIDF16_Li16ELi16ELi32ELi32ELi8ELi32ELi8ELi8ELi32ELc78ELc84EKPKDF16_S3_KPDF16_EEvlllT_PT11_llS8_llS6_PT12_llPT13_lli,comdat
.Lfunc_end167:
	.size	_ZN12_GLOBAL__N_135rocblas_gemm_batched_general_kernelIDF16_Li16ELi16ELi32ELi32ELi8ELi32ELi8ELi8ELi32ELc78ELc84EKPKDF16_S3_KPDF16_EEvlllT_PT11_llS8_llS6_PT12_llPT13_lli, .Lfunc_end167-_ZN12_GLOBAL__N_135rocblas_gemm_batched_general_kernelIDF16_Li16ELi16ELi32ELi32ELi8ELi32ELi8ELi8ELi32ELc78ELc84EKPKDF16_S3_KPDF16_EEvlllT_PT11_llS8_llS6_PT12_llPT13_lli
                                        ; -- End function
	.set _ZN12_GLOBAL__N_135rocblas_gemm_batched_general_kernelIDF16_Li16ELi16ELi32ELi32ELi8ELi32ELi8ELi8ELi32ELc78ELc84EKPKDF16_S3_KPDF16_EEvlllT_PT11_llS8_llS6_PT12_llPT13_lli.num_vgpr, 30
	.set _ZN12_GLOBAL__N_135rocblas_gemm_batched_general_kernelIDF16_Li16ELi16ELi32ELi32ELi8ELi32ELi8ELi8ELi32ELc78ELc84EKPKDF16_S3_KPDF16_EEvlllT_PT11_llS8_llS6_PT12_llPT13_lli.num_agpr, 0
	.set _ZN12_GLOBAL__N_135rocblas_gemm_batched_general_kernelIDF16_Li16ELi16ELi32ELi32ELi8ELi32ELi8ELi8ELi32ELc78ELc84EKPKDF16_S3_KPDF16_EEvlllT_PT11_llS8_llS6_PT12_llPT13_lli.numbered_sgpr, 46
	.set _ZN12_GLOBAL__N_135rocblas_gemm_batched_general_kernelIDF16_Li16ELi16ELi32ELi32ELi8ELi32ELi8ELi8ELi32ELc78ELc84EKPKDF16_S3_KPDF16_EEvlllT_PT11_llS8_llS6_PT12_llPT13_lli.num_named_barrier, 0
	.set _ZN12_GLOBAL__N_135rocblas_gemm_batched_general_kernelIDF16_Li16ELi16ELi32ELi32ELi8ELi32ELi8ELi8ELi32ELc78ELc84EKPKDF16_S3_KPDF16_EEvlllT_PT11_llS8_llS6_PT12_llPT13_lli.private_seg_size, 0
	.set _ZN12_GLOBAL__N_135rocblas_gemm_batched_general_kernelIDF16_Li16ELi16ELi32ELi32ELi8ELi32ELi8ELi8ELi32ELc78ELc84EKPKDF16_S3_KPDF16_EEvlllT_PT11_llS8_llS6_PT12_llPT13_lli.uses_vcc, 1
	.set _ZN12_GLOBAL__N_135rocblas_gemm_batched_general_kernelIDF16_Li16ELi16ELi32ELi32ELi8ELi32ELi8ELi8ELi32ELc78ELc84EKPKDF16_S3_KPDF16_EEvlllT_PT11_llS8_llS6_PT12_llPT13_lli.uses_flat_scratch, 0
	.set _ZN12_GLOBAL__N_135rocblas_gemm_batched_general_kernelIDF16_Li16ELi16ELi32ELi32ELi8ELi32ELi8ELi8ELi32ELc78ELc84EKPKDF16_S3_KPDF16_EEvlllT_PT11_llS8_llS6_PT12_llPT13_lli.has_dyn_sized_stack, 0
	.set _ZN12_GLOBAL__N_135rocblas_gemm_batched_general_kernelIDF16_Li16ELi16ELi32ELi32ELi8ELi32ELi8ELi8ELi32ELc78ELc84EKPKDF16_S3_KPDF16_EEvlllT_PT11_llS8_llS6_PT12_llPT13_lli.has_recursion, 0
	.set _ZN12_GLOBAL__N_135rocblas_gemm_batched_general_kernelIDF16_Li16ELi16ELi32ELi32ELi8ELi32ELi8ELi8ELi32ELc78ELc84EKPKDF16_S3_KPDF16_EEvlllT_PT11_llS8_llS6_PT12_llPT13_lli.has_indirect_call, 0
	.section	.AMDGPU.csdata,"",@progbits
; Kernel info:
; codeLenInByte = 1948
; TotalNumSgprs: 48
; NumVgprs: 30
; ScratchSize: 0
; MemoryBound: 0
; FloatMode: 240
; IeeeMode: 1
; LDSByteSize: 1024 bytes/workgroup (compile time only)
; SGPRBlocks: 0
; VGPRBlocks: 3
; NumSGPRsForWavesPerEU: 48
; NumVGPRsForWavesPerEU: 30
; Occupancy: 16
; WaveLimiterHint : 1
; COMPUTE_PGM_RSRC2:SCRATCH_EN: 0
; COMPUTE_PGM_RSRC2:USER_SGPR: 6
; COMPUTE_PGM_RSRC2:TRAP_HANDLER: 0
; COMPUTE_PGM_RSRC2:TGID_X_EN: 1
; COMPUTE_PGM_RSRC2:TGID_Y_EN: 1
; COMPUTE_PGM_RSRC2:TGID_Z_EN: 1
; COMPUTE_PGM_RSRC2:TIDIG_COMP_CNT: 1
	.section	.text._ZN12_GLOBAL__N_135rocblas_gemm_batched_general_kernelIDF16_Li16ELi16ELi32ELi32ELi8ELi32ELi8ELi8ELi32ELc84ELc84EKPKDF16_S3_KPDF16_EEvlllT_PT11_llS8_llS6_PT12_llPT13_lli,"axG",@progbits,_ZN12_GLOBAL__N_135rocblas_gemm_batched_general_kernelIDF16_Li16ELi16ELi32ELi32ELi8ELi32ELi8ELi8ELi32ELc84ELc84EKPKDF16_S3_KPDF16_EEvlllT_PT11_llS8_llS6_PT12_llPT13_lli,comdat
	.globl	_ZN12_GLOBAL__N_135rocblas_gemm_batched_general_kernelIDF16_Li16ELi16ELi32ELi32ELi8ELi32ELi8ELi8ELi32ELc84ELc84EKPKDF16_S3_KPDF16_EEvlllT_PT11_llS8_llS6_PT12_llPT13_lli ; -- Begin function _ZN12_GLOBAL__N_135rocblas_gemm_batched_general_kernelIDF16_Li16ELi16ELi32ELi32ELi8ELi32ELi8ELi8ELi32ELc84ELc84EKPKDF16_S3_KPDF16_EEvlllT_PT11_llS8_llS6_PT12_llPT13_lli
	.p2align	8
	.type	_ZN12_GLOBAL__N_135rocblas_gemm_batched_general_kernelIDF16_Li16ELi16ELi32ELi32ELi8ELi32ELi8ELi8ELi32ELc84ELc84EKPKDF16_S3_KPDF16_EEvlllT_PT11_llS8_llS6_PT12_llPT13_lli,@function
_ZN12_GLOBAL__N_135rocblas_gemm_batched_general_kernelIDF16_Li16ELi16ELi32ELi32ELi8ELi32ELi8ELi8ELi32ELc84ELc84EKPKDF16_S3_KPDF16_EEvlllT_PT11_llS8_llS6_PT12_llPT13_lli: ; @_ZN12_GLOBAL__N_135rocblas_gemm_batched_general_kernelIDF16_Li16ELi16ELi32ELi32ELi8ELi32ELi8ELi8ELi32ELc84ELc84EKPKDF16_S3_KPDF16_EEvlllT_PT11_llS8_llS6_PT12_llPT13_lli
; %bb.0:
	s_clause 0x1
	s_load_dwordx8 s[12:19], s[4:5], 0x58
	s_load_dwordx2 s[34:35], s[4:5], 0x10
	s_mov_b32 s9, 0
	s_load_dwordx4 s[28:31], s[4:5], 0x0
	s_lshl_b64 s[42:43], s[8:9], 3
	s_load_dwordx4 s[8:11], s[4:5], 0x78
	s_mov_b32 s40, s7
	v_mov_b32_e32 v7, 0
	s_waitcnt lgkmcnt(0)
	s_add_u32 s0, s12, s42
	s_addc_u32 s1, s13, s43
	s_add_u32 s2, s18, s42
	s_addc_u32 s3, s19, s43
	s_load_dwordx2 s[12:13], s[0:1], 0x0
	s_load_dwordx2 s[2:3], s[2:3], 0x0
	v_cmp_lt_i64_e64 s0, s[34:35], 1
	s_ashr_i32 s7, s6, 31
	s_ashr_i32 s41, s40, 31
	s_lshl_b64 s[6:7], s[6:7], 5
	s_lshl_b64 s[18:19], s[40:41], 5
	s_and_b32 vcc_lo, exec_lo, s0
	s_cbranch_vccnz .LBB168_7
; %bb.1:
	s_load_dwordx4 s[36:39], s[4:5], 0x40
	v_lshlrev_b32_e32 v2, 4, v1
	v_and_b32_e32 v6, 7, v0
	s_load_dwordx8 s[20:27], s[4:5], 0x20
	v_mov_b32_e32 v3, s7
	v_lshlrev_b32_e32 v9, 1, v0
	v_add_nc_u32_e32 v4, v2, v0
	v_add_nc_u32_e32 v10, 0x200, v2
	v_lshlrev_b32_e32 v8, 1, v6
	v_and_b32_e32 v12, 31, v4
	v_lshrrev_b32_e32 v16, 3, v4
	v_lshrrev_b32_e32 v11, 5, v4
	v_or_b32_e32 v2, s6, v12
	v_add_co_u32 v4, s0, v16, s18
	v_add_co_ci_u32_e64 v5, null, 0, s19, s0
	s_waitcnt lgkmcnt(0)
	v_mad_u64_u32 v[14:15], null, s36, v6, 0
	v_add_co_u32 v17, s0, s6, v12
	v_add_co_ci_u32_e64 v18, null, s7, 0, s0
	v_cmp_gt_i64_e64 s0, s[28:29], v[2:3]
	v_lshlrev_b32_e32 v13, 1, v12
	v_mov_b32_e32 v2, v15
	v_lshl_or_b32 v8, v16, 4, v8
	v_cmp_gt_i64_e64 s1, s[30:31], v[4:5]
	v_mul_lo_u32 v5, s23, v17
	v_lshl_or_b32 v12, v11, 6, v13
	v_mad_u64_u32 v[2:3], null, s37, v6, v[2:3]
	v_add_nc_u32_e32 v13, 0x200, v8
	v_mul_lo_u32 v8, s22, v18
	v_mad_u64_u32 v[3:4], null, s22, v17, 0
	s_add_u32 s26, s26, s42
	s_addc_u32 s27, s27, s43
	s_add_u32 s20, s20, s42
	v_mov_b32_e32 v15, v2
	s_load_dwordx2 s[22:23], s[26:27], 0x0
	s_addc_u32 s21, s21, s43
	v_add3_u32 v4, v4, v8, v5
	s_load_dwordx2 s[20:21], s[20:21], 0x0
	v_lshlrev_b64 v[14:15], 1, v[14:15]
	s_lshl_b64 s[26:27], s[40:41], 6
	s_lshl_b64 s[38:39], s[38:39], 1
	v_lshlrev_b64 v[2:3], 1, v[3:4]
	s_add_u32 s26, s38, s26
	s_addc_u32 s27, s39, s27
	v_add_co_u32 v4, vcc_lo, s26, v14
	v_lshlrev_b32_e32 v8, 1, v16
	s_lshl_b64 s[24:25], s[24:25], 1
	v_add_co_ci_u32_e64 v5, null, s27, v15, vcc_lo
	v_add_co_u32 v2, vcc_lo, v2, s24
	v_lshlrev_b32_e32 v14, 1, v11
	v_add_co_ci_u32_e64 v3, null, s25, v3, vcc_lo
	v_add_co_u32 v4, vcc_lo, v4, v8
	v_add_co_ci_u32_e64 v5, null, 0, v5, vcc_lo
	v_add_co_u32 v8, vcc_lo, v2, v14
	v_add_co_ci_u32_e64 v14, null, 0, v3, vcc_lo
	s_waitcnt lgkmcnt(0)
	v_add_co_u32 v2, vcc_lo, s22, v4
	v_add_co_ci_u32_e64 v3, null, s23, v5, vcc_lo
	v_add_co_u32 v4, vcc_lo, s20, v8
	v_add_co_ci_u32_e64 v5, null, s21, v14, vcc_lo
	v_mov_b32_e32 v8, 0
	s_lshl_b64 s[20:21], s[36:37], 4
	s_mov_b64 s[22:23], 0
	s_branch .LBB168_3
.LBB168_2:                              ;   in Loop: Header=BB168_3 Depth=1
	s_or_b32 exec_lo, exec_lo, s24
	s_waitcnt vmcnt(0) lgkmcnt(0)
	ds_write_b16 v13, v14
	s_waitcnt lgkmcnt(0)
	s_barrier
	buffer_gl0_inv
	ds_read_u16 v22, v9
	ds_read_u16 v23, v9 offset:64
	ds_read_u16 v24, v9 offset:128
	;; [unrolled: 1-line block ×7, first 2 shown]
	s_add_u32 s22, s22, 8
	s_addc_u32 s23, s23, 0
	v_add_co_u32 v2, vcc_lo, v2, s20
	v_cmp_lt_i64_e64 s24, s[22:23], s[34:35]
	v_add_co_ci_u32_e64 v3, null, s21, v3, vcc_lo
	v_add_co_u32 v4, vcc_lo, v4, 16
	v_add_co_ci_u32_e64 v5, null, 0, v5, vcc_lo
	s_and_b32 vcc_lo, exec_lo, s24
	s_waitcnt lgkmcnt(7)
	ds_read_u16_d16_hi v22, v9 offset:32
	ds_read_b128 v[14:17], v10
	ds_read_b128 v[18:21], v10 offset:256
	s_waitcnt lgkmcnt(9)
	ds_read_u16_d16_hi v23, v9 offset:96
	s_waitcnt lgkmcnt(9)
	ds_read_u16_d16_hi v24, v9 offset:160
	;; [unrolled: 2-line block ×7, first 2 shown]
	s_waitcnt lgkmcnt(0)
	s_barrier
	buffer_gl0_inv
	v_pk_fma_f16 v7, v22, v14, v7 op_sel_hi:[1,0,1]
	v_pk_fma_f16 v8, v22, v18, v8 op_sel_hi:[1,0,1]
	v_pk_fma_f16 v7, v23, v14, v7 op_sel:[0,1,0]
	v_pk_fma_f16 v8, v23, v18, v8 op_sel:[0,1,0]
	v_pk_fma_f16 v7, v24, v15, v7 op_sel_hi:[1,0,1]
	v_pk_fma_f16 v8, v24, v19, v8 op_sel_hi:[1,0,1]
	v_pk_fma_f16 v7, v25, v15, v7 op_sel:[0,1,0]
	v_pk_fma_f16 v8, v25, v19, v8 op_sel:[0,1,0]
	;; [unrolled: 4-line block ×4, first 2 shown]
	s_cbranch_vccz .LBB168_8
.LBB168_3:                              ; =>This Inner Loop Header: Depth=1
	v_add_co_u32 v14, s24, v11, s22
	v_add_co_ci_u32_e64 v15, null, 0, s23, s24
	v_cmp_gt_i64_e32 vcc_lo, s[34:35], v[14:15]
	v_mov_b32_e32 v14, 0
	v_mov_b32_e32 v15, 0
	s_and_b32 s25, s0, vcc_lo
	s_and_saveexec_b32 s24, s25
	s_cbranch_execz .LBB168_5
; %bb.4:                                ;   in Loop: Header=BB168_3 Depth=1
	flat_load_ushort v15, v[4:5]
.LBB168_5:                              ;   in Loop: Header=BB168_3 Depth=1
	s_or_b32 exec_lo, exec_lo, s24
	v_add_co_u32 v16, s24, v6, s22
	v_add_co_ci_u32_e64 v17, null, 0, s23, s24
	s_waitcnt vmcnt(0) lgkmcnt(0)
	ds_write_b16 v12, v15
	v_cmp_gt_i64_e32 vcc_lo, s[34:35], v[16:17]
	s_and_b32 s25, vcc_lo, s1
	s_and_saveexec_b32 s24, s25
	s_cbranch_execz .LBB168_2
; %bb.6:                                ;   in Loop: Header=BB168_3 Depth=1
	flat_load_ushort v14, v[2:3]
	s_branch .LBB168_2
.LBB168_7:
	v_mov_b32_e32 v8, 0
.LBB168_8:
	s_clause 0x1
	s_load_dword s20, s[4:5], 0x50
	s_load_dword s4, s[4:5], 0x18
	v_add_co_u32 v1, s5, s18, v1
	v_add_co_ci_u32_e64 v2, null, s19, 0, s5
	s_lshl_b64 s[0:1], s[10:11], 1
	s_waitcnt lgkmcnt(0)
	s_add_u32 s5, s2, s0
	v_cmp_gt_i64_e64 s0, s[30:31], v[1:2]
	s_addc_u32 s3, s3, s1
	v_cmp_neq_f16_e64 s10, s20, 0
	s_and_b32 vcc_lo, exec_lo, s10
	s_cbranch_vccnz .LBB168_21
; %bb.9:
	s_and_saveexec_b32 s10, s0
	s_cbranch_execz .LBB168_19
; %bb.10:
	v_mul_lo_u32 v5, v2, s8
	v_mul_lo_u32 v6, v1, s9
	v_mad_u64_u32 v[3:4], null, v1, s8, 0
	v_add3_u32 v4, v4, v6, v5
	v_add_co_u32 v5, s1, s6, v0
	v_add_co_ci_u32_e64 v6, null, s7, 0, s1
	v_lshlrev_b64 v[9:10], 1, v[3:4]
	v_cmp_gt_i64_e32 vcc_lo, s[28:29], v[5:6]
	v_lshlrev_b64 v[3:4], 1, v[5:6]
	v_add_co_u32 v9, s1, s5, v9
	v_add_co_ci_u32_e64 v10, null, s3, v10, s1
	s_and_saveexec_b32 s2, vcc_lo
	s_cbranch_execz .LBB168_12
; %bb.11:
	v_add_co_u32 v11, s1, v9, v3
	v_add_co_ci_u32_e64 v12, null, v10, v4, s1
	v_mul_f16_e32 v13, s4, v7
	flat_store_short v[11:12], v13
.LBB168_12:
	s_or_b32 exec_lo, exec_lo, s2
	v_add_co_u32 v5, s1, v5, 16
	v_add_co_ci_u32_e64 v6, null, 0, v6, s1
	v_cmp_gt_i64_e64 s1, s[28:29], v[5:6]
	s_and_saveexec_b32 s11, s1
	s_cbranch_execz .LBB168_14
; %bb.13:
	v_add_co_u32 v5, s2, v9, v3
	v_add_co_ci_u32_e64 v6, null, v10, v4, s2
	v_mul_f16_sdwa v11, s4, v7 dst_sel:DWORD dst_unused:UNUSED_PAD src0_sel:DWORD src1_sel:WORD_1
	flat_store_short v[5:6], v11 offset:32
.LBB168_14:
	s_or_b32 exec_lo, exec_lo, s11
	v_add_co_u32 v5, s2, v1, 16
	v_add_co_ci_u32_e64 v6, null, 0, v2, s2
	v_cmp_gt_i64_e64 s2, s[30:31], v[5:6]
	s_and_b32 exec_lo, exec_lo, s2
	s_cbranch_execz .LBB168_19
; %bb.15:
	s_lshl_b64 s[18:19], s[8:9], 5
	v_add_co_u32 v5, s2, v9, s18
	v_add_co_ci_u32_e64 v6, null, s19, v10, s2
	v_add_co_u32 v3, s2, v5, v3
	v_add_co_ci_u32_e64 v4, null, v6, v4, s2
	s_and_saveexec_b32 s2, vcc_lo
	s_cbranch_execz .LBB168_17
; %bb.16:
	v_mul_f16_e32 v5, s4, v8
	flat_store_short v[3:4], v5
.LBB168_17:
	s_or_b32 exec_lo, exec_lo, s2
	s_and_b32 exec_lo, exec_lo, s1
	s_cbranch_execz .LBB168_19
; %bb.18:
	v_mul_f16_sdwa v5, s4, v8 dst_sel:DWORD dst_unused:UNUSED_PAD src0_sel:DWORD src1_sel:WORD_1
	flat_store_short v[3:4], v5 offset:32
.LBB168_19:
	s_or_b32 exec_lo, exec_lo, s10
	s_cbranch_execz .LBB168_22
.LBB168_20:
	s_endpgm
.LBB168_21:
.LBB168_22:
	s_and_saveexec_b32 s1, s0
	s_cbranch_execz .LBB168_20
; %bb.23:
	v_mul_lo_u32 v5, v2, s14
	v_mul_lo_u32 v6, v1, s15
	v_mad_u64_u32 v[3:4], null, v1, s14, 0
	v_mul_lo_u32 v11, v2, s8
	v_mul_lo_u32 v12, v1, s9
	v_mad_u64_u32 v[9:10], null, v1, s8, 0
	s_lshl_b64 s[0:1], s[16:17], 1
	v_add3_u32 v4, v4, v6, v5
	v_add_co_u32 v5, s2, s6, v0
	v_add_co_ci_u32_e64 v6, null, s7, 0, s2
	v_add3_u32 v10, v10, v12, v11
	v_lshlrev_b64 v[3:4], 1, v[3:4]
	s_add_u32 s0, s12, s0
	s_addc_u32 s1, s13, s1
	v_cmp_gt_i64_e32 vcc_lo, s[28:29], v[5:6]
	v_lshlrev_b64 v[10:11], 1, v[9:10]
	v_add_co_u32 v0, s0, s0, v3
	v_add_co_ci_u32_e64 v9, null, s1, v4, s0
	v_add_co_u32 v10, s0, s5, v10
	v_lshlrev_b64 v[3:4], 1, v[5:6]
	v_add_co_ci_u32_e64 v11, null, s3, v11, s0
	s_and_saveexec_b32 s1, vcc_lo
	s_cbranch_execz .LBB168_25
; %bb.24:
	v_add_co_u32 v12, s0, v0, v3
	v_add_co_ci_u32_e64 v13, null, v9, v4, s0
	flat_load_ushort v12, v[12:13]
	s_waitcnt vmcnt(0) lgkmcnt(0)
	v_mul_f16_e32 v14, s20, v12
	v_add_co_u32 v12, s0, v10, v3
	v_add_co_ci_u32_e64 v13, null, v11, v4, s0
	v_fmac_f16_e32 v14, s4, v7
	flat_store_short v[12:13], v14
.LBB168_25:
	s_or_b32 exec_lo, exec_lo, s1
	v_add_co_u32 v5, s0, v5, 16
	v_add_co_ci_u32_e64 v6, null, 0, v6, s0
	v_cmp_gt_i64_e64 s0, s[28:29], v[5:6]
	s_and_saveexec_b32 s2, s0
	s_cbranch_execz .LBB168_27
; %bb.26:
	v_add_co_u32 v5, s1, v0, v3
	v_add_co_ci_u32_e64 v6, null, v9, v4, s1
	flat_load_ushort v5, v[5:6] offset:32
	v_lshrrev_b32_e32 v6, 16, v7
	s_waitcnt vmcnt(0) lgkmcnt(0)
	v_mul_f16_e32 v7, s20, v5
	v_add_co_u32 v5, s1, v10, v3
	v_fmac_f16_e32 v7, s4, v6
	v_add_co_ci_u32_e64 v6, null, v11, v4, s1
	flat_store_short v[5:6], v7 offset:32
.LBB168_27:
	s_or_b32 exec_lo, exec_lo, s2
	v_add_co_u32 v1, s1, v1, 16
	v_add_co_ci_u32_e64 v2, null, 0, v2, s1
	v_cmp_gt_i64_e64 s1, s[30:31], v[1:2]
	s_and_b32 exec_lo, exec_lo, s1
	s_cbranch_execz .LBB168_20
; %bb.28:
	s_lshl_b64 s[2:3], s[14:15], 5
	v_add_co_u32 v0, s1, v0, s2
	v_add_co_ci_u32_e64 v1, null, s3, v9, s1
	s_lshl_b64 s[2:3], s[8:9], 5
	v_add_co_u32 v2, s1, v10, s2
	v_add_co_ci_u32_e64 v7, null, s3, v11, s1
	v_add_co_u32 v5, s1, v0, v3
	v_add_co_ci_u32_e64 v6, null, v1, v4, s1
	;; [unrolled: 2-line block ×3, first 2 shown]
	s_and_saveexec_b32 s1, vcc_lo
	s_cbranch_execz .LBB168_30
; %bb.29:
	flat_load_ushort v2, v[5:6]
	s_waitcnt vmcnt(0) lgkmcnt(0)
	v_mul_f16_e32 v2, s20, v2
	v_fmac_f16_e32 v2, s4, v8
	flat_store_short v[0:1], v2
.LBB168_30:
	s_or_b32 exec_lo, exec_lo, s1
	s_and_b32 exec_lo, exec_lo, s0
	s_cbranch_execz .LBB168_20
; %bb.31:
	flat_load_ushort v2, v[5:6] offset:32
	v_lshrrev_b32_e32 v3, 16, v8
	s_waitcnt vmcnt(0) lgkmcnt(0)
	v_mul_f16_e32 v2, s20, v2
	v_fmac_f16_e32 v2, s4, v3
	flat_store_short v[0:1], v2 offset:32
	s_endpgm
	.section	.rodata,"a",@progbits
	.p2align	6, 0x0
	.amdhsa_kernel _ZN12_GLOBAL__N_135rocblas_gemm_batched_general_kernelIDF16_Li16ELi16ELi32ELi32ELi8ELi32ELi8ELi8ELi32ELc84ELc84EKPKDF16_S3_KPDF16_EEvlllT_PT11_llS8_llS6_PT12_llPT13_lli
		.amdhsa_group_segment_fixed_size 1024
		.amdhsa_private_segment_fixed_size 0
		.amdhsa_kernarg_size 140
		.amdhsa_user_sgpr_count 6
		.amdhsa_user_sgpr_private_segment_buffer 1
		.amdhsa_user_sgpr_dispatch_ptr 0
		.amdhsa_user_sgpr_queue_ptr 0
		.amdhsa_user_sgpr_kernarg_segment_ptr 1
		.amdhsa_user_sgpr_dispatch_id 0
		.amdhsa_user_sgpr_flat_scratch_init 0
		.amdhsa_user_sgpr_private_segment_size 0
		.amdhsa_wavefront_size32 1
		.amdhsa_uses_dynamic_stack 0
		.amdhsa_system_sgpr_private_segment_wavefront_offset 0
		.amdhsa_system_sgpr_workgroup_id_x 1
		.amdhsa_system_sgpr_workgroup_id_y 1
		.amdhsa_system_sgpr_workgroup_id_z 1
		.amdhsa_system_sgpr_workgroup_info 0
		.amdhsa_system_vgpr_workitem_id 1
		.amdhsa_next_free_vgpr 30
		.amdhsa_next_free_sgpr 44
		.amdhsa_reserve_vcc 1
		.amdhsa_reserve_flat_scratch 0
		.amdhsa_float_round_mode_32 0
		.amdhsa_float_round_mode_16_64 0
		.amdhsa_float_denorm_mode_32 3
		.amdhsa_float_denorm_mode_16_64 3
		.amdhsa_dx10_clamp 1
		.amdhsa_ieee_mode 1
		.amdhsa_fp16_overflow 0
		.amdhsa_workgroup_processor_mode 1
		.amdhsa_memory_ordered 1
		.amdhsa_forward_progress 1
		.amdhsa_shared_vgpr_count 0
		.amdhsa_exception_fp_ieee_invalid_op 0
		.amdhsa_exception_fp_denorm_src 0
		.amdhsa_exception_fp_ieee_div_zero 0
		.amdhsa_exception_fp_ieee_overflow 0
		.amdhsa_exception_fp_ieee_underflow 0
		.amdhsa_exception_fp_ieee_inexact 0
		.amdhsa_exception_int_div_zero 0
	.end_amdhsa_kernel
	.section	.text._ZN12_GLOBAL__N_135rocblas_gemm_batched_general_kernelIDF16_Li16ELi16ELi32ELi32ELi8ELi32ELi8ELi8ELi32ELc84ELc84EKPKDF16_S3_KPDF16_EEvlllT_PT11_llS8_llS6_PT12_llPT13_lli,"axG",@progbits,_ZN12_GLOBAL__N_135rocblas_gemm_batched_general_kernelIDF16_Li16ELi16ELi32ELi32ELi8ELi32ELi8ELi8ELi32ELc84ELc84EKPKDF16_S3_KPDF16_EEvlllT_PT11_llS8_llS6_PT12_llPT13_lli,comdat
.Lfunc_end168:
	.size	_ZN12_GLOBAL__N_135rocblas_gemm_batched_general_kernelIDF16_Li16ELi16ELi32ELi32ELi8ELi32ELi8ELi8ELi32ELc84ELc84EKPKDF16_S3_KPDF16_EEvlllT_PT11_llS8_llS6_PT12_llPT13_lli, .Lfunc_end168-_ZN12_GLOBAL__N_135rocblas_gemm_batched_general_kernelIDF16_Li16ELi16ELi32ELi32ELi8ELi32ELi8ELi8ELi32ELc84ELc84EKPKDF16_S3_KPDF16_EEvlllT_PT11_llS8_llS6_PT12_llPT13_lli
                                        ; -- End function
	.set _ZN12_GLOBAL__N_135rocblas_gemm_batched_general_kernelIDF16_Li16ELi16ELi32ELi32ELi8ELi32ELi8ELi8ELi32ELc84ELc84EKPKDF16_S3_KPDF16_EEvlllT_PT11_llS8_llS6_PT12_llPT13_lli.num_vgpr, 30
	.set _ZN12_GLOBAL__N_135rocblas_gemm_batched_general_kernelIDF16_Li16ELi16ELi32ELi32ELi8ELi32ELi8ELi8ELi32ELc84ELc84EKPKDF16_S3_KPDF16_EEvlllT_PT11_llS8_llS6_PT12_llPT13_lli.num_agpr, 0
	.set _ZN12_GLOBAL__N_135rocblas_gemm_batched_general_kernelIDF16_Li16ELi16ELi32ELi32ELi8ELi32ELi8ELi8ELi32ELc84ELc84EKPKDF16_S3_KPDF16_EEvlllT_PT11_llS8_llS6_PT12_llPT13_lli.numbered_sgpr, 44
	.set _ZN12_GLOBAL__N_135rocblas_gemm_batched_general_kernelIDF16_Li16ELi16ELi32ELi32ELi8ELi32ELi8ELi8ELi32ELc84ELc84EKPKDF16_S3_KPDF16_EEvlllT_PT11_llS8_llS6_PT12_llPT13_lli.num_named_barrier, 0
	.set _ZN12_GLOBAL__N_135rocblas_gemm_batched_general_kernelIDF16_Li16ELi16ELi32ELi32ELi8ELi32ELi8ELi8ELi32ELc84ELc84EKPKDF16_S3_KPDF16_EEvlllT_PT11_llS8_llS6_PT12_llPT13_lli.private_seg_size, 0
	.set _ZN12_GLOBAL__N_135rocblas_gemm_batched_general_kernelIDF16_Li16ELi16ELi32ELi32ELi8ELi32ELi8ELi8ELi32ELc84ELc84EKPKDF16_S3_KPDF16_EEvlllT_PT11_llS8_llS6_PT12_llPT13_lli.uses_vcc, 1
	.set _ZN12_GLOBAL__N_135rocblas_gemm_batched_general_kernelIDF16_Li16ELi16ELi32ELi32ELi8ELi32ELi8ELi8ELi32ELc84ELc84EKPKDF16_S3_KPDF16_EEvlllT_PT11_llS8_llS6_PT12_llPT13_lli.uses_flat_scratch, 0
	.set _ZN12_GLOBAL__N_135rocblas_gemm_batched_general_kernelIDF16_Li16ELi16ELi32ELi32ELi8ELi32ELi8ELi8ELi32ELc84ELc84EKPKDF16_S3_KPDF16_EEvlllT_PT11_llS8_llS6_PT12_llPT13_lli.has_dyn_sized_stack, 0
	.set _ZN12_GLOBAL__N_135rocblas_gemm_batched_general_kernelIDF16_Li16ELi16ELi32ELi32ELi8ELi32ELi8ELi8ELi32ELc84ELc84EKPKDF16_S3_KPDF16_EEvlllT_PT11_llS8_llS6_PT12_llPT13_lli.has_recursion, 0
	.set _ZN12_GLOBAL__N_135rocblas_gemm_batched_general_kernelIDF16_Li16ELi16ELi32ELi32ELi8ELi32ELi8ELi8ELi32ELc84ELc84EKPKDF16_S3_KPDF16_EEvlllT_PT11_llS8_llS6_PT12_llPT13_lli.has_indirect_call, 0
	.section	.AMDGPU.csdata,"",@progbits
; Kernel info:
; codeLenInByte = 1956
; TotalNumSgprs: 46
; NumVgprs: 30
; ScratchSize: 0
; MemoryBound: 0
; FloatMode: 240
; IeeeMode: 1
; LDSByteSize: 1024 bytes/workgroup (compile time only)
; SGPRBlocks: 0
; VGPRBlocks: 3
; NumSGPRsForWavesPerEU: 46
; NumVGPRsForWavesPerEU: 30
; Occupancy: 16
; WaveLimiterHint : 1
; COMPUTE_PGM_RSRC2:SCRATCH_EN: 0
; COMPUTE_PGM_RSRC2:USER_SGPR: 6
; COMPUTE_PGM_RSRC2:TRAP_HANDLER: 0
; COMPUTE_PGM_RSRC2:TGID_X_EN: 1
; COMPUTE_PGM_RSRC2:TGID_Y_EN: 1
; COMPUTE_PGM_RSRC2:TGID_Z_EN: 1
; COMPUTE_PGM_RSRC2:TIDIG_COMP_CNT: 1
	.section	.text._ZN12_GLOBAL__N_135rocblas_gemm_batched_general_kernelIDF16_Li16ELi16ELi32ELi32ELi8ELi32ELi8ELi8ELi32ELc67ELc67EKPKDF16_S3_KPDF16_EEvlllT_PT11_llS8_llS6_PT12_llPT13_lli,"axG",@progbits,_ZN12_GLOBAL__N_135rocblas_gemm_batched_general_kernelIDF16_Li16ELi16ELi32ELi32ELi8ELi32ELi8ELi8ELi32ELc67ELc67EKPKDF16_S3_KPDF16_EEvlllT_PT11_llS8_llS6_PT12_llPT13_lli,comdat
	.globl	_ZN12_GLOBAL__N_135rocblas_gemm_batched_general_kernelIDF16_Li16ELi16ELi32ELi32ELi8ELi32ELi8ELi8ELi32ELc67ELc67EKPKDF16_S3_KPDF16_EEvlllT_PT11_llS8_llS6_PT12_llPT13_lli ; -- Begin function _ZN12_GLOBAL__N_135rocblas_gemm_batched_general_kernelIDF16_Li16ELi16ELi32ELi32ELi8ELi32ELi8ELi8ELi32ELc67ELc67EKPKDF16_S3_KPDF16_EEvlllT_PT11_llS8_llS6_PT12_llPT13_lli
	.p2align	8
	.type	_ZN12_GLOBAL__N_135rocblas_gemm_batched_general_kernelIDF16_Li16ELi16ELi32ELi32ELi8ELi32ELi8ELi8ELi32ELc67ELc67EKPKDF16_S3_KPDF16_EEvlllT_PT11_llS8_llS6_PT12_llPT13_lli,@function
_ZN12_GLOBAL__N_135rocblas_gemm_batched_general_kernelIDF16_Li16ELi16ELi32ELi32ELi8ELi32ELi8ELi8ELi32ELc67ELc67EKPKDF16_S3_KPDF16_EEvlllT_PT11_llS8_llS6_PT12_llPT13_lli: ; @_ZN12_GLOBAL__N_135rocblas_gemm_batched_general_kernelIDF16_Li16ELi16ELi32ELi32ELi8ELi32ELi8ELi8ELi32ELc67ELc67EKPKDF16_S3_KPDF16_EEvlllT_PT11_llS8_llS6_PT12_llPT13_lli
; %bb.0:
	s_clause 0x1
	s_load_dwordx8 s[12:19], s[4:5], 0x58
	s_load_dwordx2 s[34:35], s[4:5], 0x10
	s_mov_b32 s9, 0
	s_load_dwordx4 s[28:31], s[4:5], 0x0
	s_lshl_b64 s[42:43], s[8:9], 3
	s_load_dwordx4 s[8:11], s[4:5], 0x78
	s_mov_b32 s40, s7
	v_mov_b32_e32 v7, 0
	s_waitcnt lgkmcnt(0)
	s_add_u32 s0, s12, s42
	s_addc_u32 s1, s13, s43
	s_add_u32 s2, s18, s42
	s_addc_u32 s3, s19, s43
	s_load_dwordx2 s[12:13], s[0:1], 0x0
	s_load_dwordx2 s[2:3], s[2:3], 0x0
	v_cmp_lt_i64_e64 s0, s[34:35], 1
	s_ashr_i32 s7, s6, 31
	s_ashr_i32 s41, s40, 31
	s_lshl_b64 s[6:7], s[6:7], 5
	s_lshl_b64 s[18:19], s[40:41], 5
	s_and_b32 vcc_lo, exec_lo, s0
	s_cbranch_vccnz .LBB169_7
; %bb.1:
	s_load_dwordx4 s[36:39], s[4:5], 0x40
	v_lshlrev_b32_e32 v2, 4, v1
	v_and_b32_e32 v6, 7, v0
	s_load_dwordx8 s[20:27], s[4:5], 0x20
	v_mov_b32_e32 v3, s7
	v_lshlrev_b32_e32 v9, 1, v0
	v_add_nc_u32_e32 v4, v2, v0
	v_add_nc_u32_e32 v10, 0x200, v2
	v_lshlrev_b32_e32 v8, 1, v6
	v_and_b32_e32 v12, 31, v4
	v_lshrrev_b32_e32 v16, 3, v4
	v_lshrrev_b32_e32 v11, 5, v4
	v_or_b32_e32 v2, s6, v12
	v_add_co_u32 v4, s0, v16, s18
	v_add_co_ci_u32_e64 v5, null, 0, s19, s0
	s_waitcnt lgkmcnt(0)
	v_mad_u64_u32 v[14:15], null, s36, v6, 0
	v_add_co_u32 v17, s0, s6, v12
	v_add_co_ci_u32_e64 v18, null, s7, 0, s0
	v_cmp_gt_i64_e64 s0, s[28:29], v[2:3]
	v_lshlrev_b32_e32 v13, 1, v12
	v_mov_b32_e32 v2, v15
	v_lshl_or_b32 v8, v16, 4, v8
	v_cmp_gt_i64_e64 s1, s[30:31], v[4:5]
	v_mul_lo_u32 v5, s23, v17
	v_lshl_or_b32 v12, v11, 6, v13
	v_mad_u64_u32 v[2:3], null, s37, v6, v[2:3]
	v_add_nc_u32_e32 v13, 0x200, v8
	v_mul_lo_u32 v8, s22, v18
	v_mad_u64_u32 v[3:4], null, s22, v17, 0
	s_add_u32 s26, s26, s42
	s_addc_u32 s27, s27, s43
	s_add_u32 s20, s20, s42
	v_mov_b32_e32 v15, v2
	s_load_dwordx2 s[22:23], s[26:27], 0x0
	s_addc_u32 s21, s21, s43
	v_add3_u32 v4, v4, v8, v5
	s_load_dwordx2 s[20:21], s[20:21], 0x0
	v_lshlrev_b64 v[14:15], 1, v[14:15]
	s_lshl_b64 s[26:27], s[40:41], 6
	s_lshl_b64 s[38:39], s[38:39], 1
	v_lshlrev_b64 v[2:3], 1, v[3:4]
	s_add_u32 s26, s38, s26
	s_addc_u32 s27, s39, s27
	v_add_co_u32 v4, vcc_lo, s26, v14
	v_lshlrev_b32_e32 v8, 1, v16
	s_lshl_b64 s[24:25], s[24:25], 1
	v_add_co_ci_u32_e64 v5, null, s27, v15, vcc_lo
	v_add_co_u32 v2, vcc_lo, v2, s24
	v_lshlrev_b32_e32 v14, 1, v11
	v_add_co_ci_u32_e64 v3, null, s25, v3, vcc_lo
	v_add_co_u32 v4, vcc_lo, v4, v8
	v_add_co_ci_u32_e64 v5, null, 0, v5, vcc_lo
	v_add_co_u32 v8, vcc_lo, v2, v14
	v_add_co_ci_u32_e64 v14, null, 0, v3, vcc_lo
	s_waitcnt lgkmcnt(0)
	v_add_co_u32 v2, vcc_lo, s22, v4
	v_add_co_ci_u32_e64 v3, null, s23, v5, vcc_lo
	v_add_co_u32 v4, vcc_lo, s20, v8
	v_add_co_ci_u32_e64 v5, null, s21, v14, vcc_lo
	v_mov_b32_e32 v8, 0
	s_lshl_b64 s[20:21], s[36:37], 4
	s_mov_b64 s[22:23], 0
	s_branch .LBB169_3
.LBB169_2:                              ;   in Loop: Header=BB169_3 Depth=1
	s_or_b32 exec_lo, exec_lo, s24
	s_waitcnt vmcnt(0) lgkmcnt(0)
	ds_write_b16 v13, v14
	s_waitcnt lgkmcnt(0)
	s_barrier
	buffer_gl0_inv
	ds_read_u16 v22, v9
	ds_read_u16 v23, v9 offset:64
	ds_read_u16 v24, v9 offset:128
	;; [unrolled: 1-line block ×7, first 2 shown]
	s_add_u32 s22, s22, 8
	s_addc_u32 s23, s23, 0
	v_add_co_u32 v2, vcc_lo, v2, s20
	v_cmp_lt_i64_e64 s24, s[22:23], s[34:35]
	v_add_co_ci_u32_e64 v3, null, s21, v3, vcc_lo
	v_add_co_u32 v4, vcc_lo, v4, 16
	v_add_co_ci_u32_e64 v5, null, 0, v5, vcc_lo
	s_and_b32 vcc_lo, exec_lo, s24
	s_waitcnt lgkmcnt(7)
	ds_read_u16_d16_hi v22, v9 offset:32
	ds_read_b128 v[14:17], v10
	ds_read_b128 v[18:21], v10 offset:256
	s_waitcnt lgkmcnt(9)
	ds_read_u16_d16_hi v23, v9 offset:96
	s_waitcnt lgkmcnt(9)
	ds_read_u16_d16_hi v24, v9 offset:160
	;; [unrolled: 2-line block ×7, first 2 shown]
	s_waitcnt lgkmcnt(0)
	s_barrier
	buffer_gl0_inv
	v_pk_fma_f16 v7, v22, v14, v7 op_sel_hi:[1,0,1]
	v_pk_fma_f16 v8, v22, v18, v8 op_sel_hi:[1,0,1]
	v_pk_fma_f16 v7, v23, v14, v7 op_sel:[0,1,0]
	v_pk_fma_f16 v8, v23, v18, v8 op_sel:[0,1,0]
	v_pk_fma_f16 v7, v24, v15, v7 op_sel_hi:[1,0,1]
	v_pk_fma_f16 v8, v24, v19, v8 op_sel_hi:[1,0,1]
	v_pk_fma_f16 v7, v25, v15, v7 op_sel:[0,1,0]
	v_pk_fma_f16 v8, v25, v19, v8 op_sel:[0,1,0]
	v_pk_fma_f16 v7, v26, v16, v7 op_sel_hi:[1,0,1]
	v_pk_fma_f16 v8, v26, v20, v8 op_sel_hi:[1,0,1]
	v_pk_fma_f16 v7, v27, v16, v7 op_sel:[0,1,0]
	v_pk_fma_f16 v8, v27, v20, v8 op_sel:[0,1,0]
	v_pk_fma_f16 v7, v28, v17, v7 op_sel_hi:[1,0,1]
	v_pk_fma_f16 v8, v28, v21, v8 op_sel_hi:[1,0,1]
	v_pk_fma_f16 v7, v29, v17, v7 op_sel:[0,1,0]
	v_pk_fma_f16 v8, v29, v21, v8 op_sel:[0,1,0]
	s_cbranch_vccz .LBB169_8
.LBB169_3:                              ; =>This Inner Loop Header: Depth=1
	v_add_co_u32 v14, s24, v11, s22
	v_add_co_ci_u32_e64 v15, null, 0, s23, s24
	v_cmp_gt_i64_e32 vcc_lo, s[34:35], v[14:15]
	v_mov_b32_e32 v14, 0
	v_mov_b32_e32 v15, 0
	s_and_b32 s25, s0, vcc_lo
	s_and_saveexec_b32 s24, s25
	s_cbranch_execz .LBB169_5
; %bb.4:                                ;   in Loop: Header=BB169_3 Depth=1
	flat_load_ushort v15, v[4:5]
.LBB169_5:                              ;   in Loop: Header=BB169_3 Depth=1
	s_or_b32 exec_lo, exec_lo, s24
	v_add_co_u32 v16, s24, v6, s22
	v_add_co_ci_u32_e64 v17, null, 0, s23, s24
	s_waitcnt vmcnt(0) lgkmcnt(0)
	ds_write_b16 v12, v15
	v_cmp_gt_i64_e32 vcc_lo, s[34:35], v[16:17]
	s_and_b32 s25, vcc_lo, s1
	s_and_saveexec_b32 s24, s25
	s_cbranch_execz .LBB169_2
; %bb.6:                                ;   in Loop: Header=BB169_3 Depth=1
	flat_load_ushort v14, v[2:3]
	s_branch .LBB169_2
.LBB169_7:
	v_mov_b32_e32 v8, 0
.LBB169_8:
	s_clause 0x1
	s_load_dword s20, s[4:5], 0x50
	s_load_dword s4, s[4:5], 0x18
	v_add_co_u32 v1, s5, s18, v1
	v_add_co_ci_u32_e64 v2, null, s19, 0, s5
	s_lshl_b64 s[0:1], s[10:11], 1
	s_waitcnt lgkmcnt(0)
	s_add_u32 s5, s2, s0
	v_cmp_gt_i64_e64 s0, s[30:31], v[1:2]
	s_addc_u32 s3, s3, s1
	v_cmp_neq_f16_e64 s10, s20, 0
	s_and_b32 vcc_lo, exec_lo, s10
	s_cbranch_vccnz .LBB169_21
; %bb.9:
	s_and_saveexec_b32 s10, s0
	s_cbranch_execz .LBB169_19
; %bb.10:
	v_mul_lo_u32 v5, v2, s8
	v_mul_lo_u32 v6, v1, s9
	v_mad_u64_u32 v[3:4], null, v1, s8, 0
	v_add3_u32 v4, v4, v6, v5
	v_add_co_u32 v5, s1, s6, v0
	v_add_co_ci_u32_e64 v6, null, s7, 0, s1
	v_lshlrev_b64 v[9:10], 1, v[3:4]
	v_cmp_gt_i64_e32 vcc_lo, s[28:29], v[5:6]
	v_lshlrev_b64 v[3:4], 1, v[5:6]
	v_add_co_u32 v9, s1, s5, v9
	v_add_co_ci_u32_e64 v10, null, s3, v10, s1
	s_and_saveexec_b32 s2, vcc_lo
	s_cbranch_execz .LBB169_12
; %bb.11:
	v_add_co_u32 v11, s1, v9, v3
	v_add_co_ci_u32_e64 v12, null, v10, v4, s1
	v_mul_f16_e32 v13, s4, v7
	flat_store_short v[11:12], v13
.LBB169_12:
	s_or_b32 exec_lo, exec_lo, s2
	v_add_co_u32 v5, s1, v5, 16
	v_add_co_ci_u32_e64 v6, null, 0, v6, s1
	v_cmp_gt_i64_e64 s1, s[28:29], v[5:6]
	s_and_saveexec_b32 s11, s1
	s_cbranch_execz .LBB169_14
; %bb.13:
	v_add_co_u32 v5, s2, v9, v3
	v_add_co_ci_u32_e64 v6, null, v10, v4, s2
	v_mul_f16_sdwa v11, s4, v7 dst_sel:DWORD dst_unused:UNUSED_PAD src0_sel:DWORD src1_sel:WORD_1
	flat_store_short v[5:6], v11 offset:32
.LBB169_14:
	s_or_b32 exec_lo, exec_lo, s11
	v_add_co_u32 v5, s2, v1, 16
	v_add_co_ci_u32_e64 v6, null, 0, v2, s2
	v_cmp_gt_i64_e64 s2, s[30:31], v[5:6]
	s_and_b32 exec_lo, exec_lo, s2
	s_cbranch_execz .LBB169_19
; %bb.15:
	s_lshl_b64 s[18:19], s[8:9], 5
	v_add_co_u32 v5, s2, v9, s18
	v_add_co_ci_u32_e64 v6, null, s19, v10, s2
	v_add_co_u32 v3, s2, v5, v3
	v_add_co_ci_u32_e64 v4, null, v6, v4, s2
	s_and_saveexec_b32 s2, vcc_lo
	s_cbranch_execz .LBB169_17
; %bb.16:
	v_mul_f16_e32 v5, s4, v8
	flat_store_short v[3:4], v5
.LBB169_17:
	s_or_b32 exec_lo, exec_lo, s2
	s_and_b32 exec_lo, exec_lo, s1
	s_cbranch_execz .LBB169_19
; %bb.18:
	v_mul_f16_sdwa v5, s4, v8 dst_sel:DWORD dst_unused:UNUSED_PAD src0_sel:DWORD src1_sel:WORD_1
	flat_store_short v[3:4], v5 offset:32
.LBB169_19:
	s_or_b32 exec_lo, exec_lo, s10
	s_cbranch_execz .LBB169_22
.LBB169_20:
	s_endpgm
.LBB169_21:
.LBB169_22:
	s_and_saveexec_b32 s1, s0
	s_cbranch_execz .LBB169_20
; %bb.23:
	v_mul_lo_u32 v5, v2, s14
	v_mul_lo_u32 v6, v1, s15
	v_mad_u64_u32 v[3:4], null, v1, s14, 0
	v_mul_lo_u32 v11, v2, s8
	v_mul_lo_u32 v12, v1, s9
	v_mad_u64_u32 v[9:10], null, v1, s8, 0
	s_lshl_b64 s[0:1], s[16:17], 1
	v_add3_u32 v4, v4, v6, v5
	v_add_co_u32 v5, s2, s6, v0
	v_add_co_ci_u32_e64 v6, null, s7, 0, s2
	v_add3_u32 v10, v10, v12, v11
	v_lshlrev_b64 v[3:4], 1, v[3:4]
	s_add_u32 s0, s12, s0
	s_addc_u32 s1, s13, s1
	v_cmp_gt_i64_e32 vcc_lo, s[28:29], v[5:6]
	v_lshlrev_b64 v[10:11], 1, v[9:10]
	v_add_co_u32 v0, s0, s0, v3
	v_add_co_ci_u32_e64 v9, null, s1, v4, s0
	v_add_co_u32 v10, s0, s5, v10
	v_lshlrev_b64 v[3:4], 1, v[5:6]
	v_add_co_ci_u32_e64 v11, null, s3, v11, s0
	s_and_saveexec_b32 s1, vcc_lo
	s_cbranch_execz .LBB169_25
; %bb.24:
	v_add_co_u32 v12, s0, v0, v3
	v_add_co_ci_u32_e64 v13, null, v9, v4, s0
	flat_load_ushort v12, v[12:13]
	s_waitcnt vmcnt(0) lgkmcnt(0)
	v_mul_f16_e32 v14, s20, v12
	v_add_co_u32 v12, s0, v10, v3
	v_add_co_ci_u32_e64 v13, null, v11, v4, s0
	v_fmac_f16_e32 v14, s4, v7
	flat_store_short v[12:13], v14
.LBB169_25:
	s_or_b32 exec_lo, exec_lo, s1
	v_add_co_u32 v5, s0, v5, 16
	v_add_co_ci_u32_e64 v6, null, 0, v6, s0
	v_cmp_gt_i64_e64 s0, s[28:29], v[5:6]
	s_and_saveexec_b32 s2, s0
	s_cbranch_execz .LBB169_27
; %bb.26:
	v_add_co_u32 v5, s1, v0, v3
	v_add_co_ci_u32_e64 v6, null, v9, v4, s1
	flat_load_ushort v5, v[5:6] offset:32
	v_lshrrev_b32_e32 v6, 16, v7
	s_waitcnt vmcnt(0) lgkmcnt(0)
	v_mul_f16_e32 v7, s20, v5
	v_add_co_u32 v5, s1, v10, v3
	v_fmac_f16_e32 v7, s4, v6
	v_add_co_ci_u32_e64 v6, null, v11, v4, s1
	flat_store_short v[5:6], v7 offset:32
.LBB169_27:
	s_or_b32 exec_lo, exec_lo, s2
	v_add_co_u32 v1, s1, v1, 16
	v_add_co_ci_u32_e64 v2, null, 0, v2, s1
	v_cmp_gt_i64_e64 s1, s[30:31], v[1:2]
	s_and_b32 exec_lo, exec_lo, s1
	s_cbranch_execz .LBB169_20
; %bb.28:
	s_lshl_b64 s[2:3], s[14:15], 5
	v_add_co_u32 v0, s1, v0, s2
	v_add_co_ci_u32_e64 v1, null, s3, v9, s1
	s_lshl_b64 s[2:3], s[8:9], 5
	v_add_co_u32 v2, s1, v10, s2
	v_add_co_ci_u32_e64 v7, null, s3, v11, s1
	v_add_co_u32 v5, s1, v0, v3
	v_add_co_ci_u32_e64 v6, null, v1, v4, s1
	;; [unrolled: 2-line block ×3, first 2 shown]
	s_and_saveexec_b32 s1, vcc_lo
	s_cbranch_execz .LBB169_30
; %bb.29:
	flat_load_ushort v2, v[5:6]
	s_waitcnt vmcnt(0) lgkmcnt(0)
	v_mul_f16_e32 v2, s20, v2
	v_fmac_f16_e32 v2, s4, v8
	flat_store_short v[0:1], v2
.LBB169_30:
	s_or_b32 exec_lo, exec_lo, s1
	s_and_b32 exec_lo, exec_lo, s0
	s_cbranch_execz .LBB169_20
; %bb.31:
	flat_load_ushort v2, v[5:6] offset:32
	v_lshrrev_b32_e32 v3, 16, v8
	s_waitcnt vmcnt(0) lgkmcnt(0)
	v_mul_f16_e32 v2, s20, v2
	v_fmac_f16_e32 v2, s4, v3
	flat_store_short v[0:1], v2 offset:32
	s_endpgm
	.section	.rodata,"a",@progbits
	.p2align	6, 0x0
	.amdhsa_kernel _ZN12_GLOBAL__N_135rocblas_gemm_batched_general_kernelIDF16_Li16ELi16ELi32ELi32ELi8ELi32ELi8ELi8ELi32ELc67ELc67EKPKDF16_S3_KPDF16_EEvlllT_PT11_llS8_llS6_PT12_llPT13_lli
		.amdhsa_group_segment_fixed_size 1024
		.amdhsa_private_segment_fixed_size 0
		.amdhsa_kernarg_size 140
		.amdhsa_user_sgpr_count 6
		.amdhsa_user_sgpr_private_segment_buffer 1
		.amdhsa_user_sgpr_dispatch_ptr 0
		.amdhsa_user_sgpr_queue_ptr 0
		.amdhsa_user_sgpr_kernarg_segment_ptr 1
		.amdhsa_user_sgpr_dispatch_id 0
		.amdhsa_user_sgpr_flat_scratch_init 0
		.amdhsa_user_sgpr_private_segment_size 0
		.amdhsa_wavefront_size32 1
		.amdhsa_uses_dynamic_stack 0
		.amdhsa_system_sgpr_private_segment_wavefront_offset 0
		.amdhsa_system_sgpr_workgroup_id_x 1
		.amdhsa_system_sgpr_workgroup_id_y 1
		.amdhsa_system_sgpr_workgroup_id_z 1
		.amdhsa_system_sgpr_workgroup_info 0
		.amdhsa_system_vgpr_workitem_id 1
		.amdhsa_next_free_vgpr 30
		.amdhsa_next_free_sgpr 44
		.amdhsa_reserve_vcc 1
		.amdhsa_reserve_flat_scratch 0
		.amdhsa_float_round_mode_32 0
		.amdhsa_float_round_mode_16_64 0
		.amdhsa_float_denorm_mode_32 3
		.amdhsa_float_denorm_mode_16_64 3
		.amdhsa_dx10_clamp 1
		.amdhsa_ieee_mode 1
		.amdhsa_fp16_overflow 0
		.amdhsa_workgroup_processor_mode 1
		.amdhsa_memory_ordered 1
		.amdhsa_forward_progress 1
		.amdhsa_shared_vgpr_count 0
		.amdhsa_exception_fp_ieee_invalid_op 0
		.amdhsa_exception_fp_denorm_src 0
		.amdhsa_exception_fp_ieee_div_zero 0
		.amdhsa_exception_fp_ieee_overflow 0
		.amdhsa_exception_fp_ieee_underflow 0
		.amdhsa_exception_fp_ieee_inexact 0
		.amdhsa_exception_int_div_zero 0
	.end_amdhsa_kernel
	.section	.text._ZN12_GLOBAL__N_135rocblas_gemm_batched_general_kernelIDF16_Li16ELi16ELi32ELi32ELi8ELi32ELi8ELi8ELi32ELc67ELc67EKPKDF16_S3_KPDF16_EEvlllT_PT11_llS8_llS6_PT12_llPT13_lli,"axG",@progbits,_ZN12_GLOBAL__N_135rocblas_gemm_batched_general_kernelIDF16_Li16ELi16ELi32ELi32ELi8ELi32ELi8ELi8ELi32ELc67ELc67EKPKDF16_S3_KPDF16_EEvlllT_PT11_llS8_llS6_PT12_llPT13_lli,comdat
.Lfunc_end169:
	.size	_ZN12_GLOBAL__N_135rocblas_gemm_batched_general_kernelIDF16_Li16ELi16ELi32ELi32ELi8ELi32ELi8ELi8ELi32ELc67ELc67EKPKDF16_S3_KPDF16_EEvlllT_PT11_llS8_llS6_PT12_llPT13_lli, .Lfunc_end169-_ZN12_GLOBAL__N_135rocblas_gemm_batched_general_kernelIDF16_Li16ELi16ELi32ELi32ELi8ELi32ELi8ELi8ELi32ELc67ELc67EKPKDF16_S3_KPDF16_EEvlllT_PT11_llS8_llS6_PT12_llPT13_lli
                                        ; -- End function
	.set _ZN12_GLOBAL__N_135rocblas_gemm_batched_general_kernelIDF16_Li16ELi16ELi32ELi32ELi8ELi32ELi8ELi8ELi32ELc67ELc67EKPKDF16_S3_KPDF16_EEvlllT_PT11_llS8_llS6_PT12_llPT13_lli.num_vgpr, 30
	.set _ZN12_GLOBAL__N_135rocblas_gemm_batched_general_kernelIDF16_Li16ELi16ELi32ELi32ELi8ELi32ELi8ELi8ELi32ELc67ELc67EKPKDF16_S3_KPDF16_EEvlllT_PT11_llS8_llS6_PT12_llPT13_lli.num_agpr, 0
	.set _ZN12_GLOBAL__N_135rocblas_gemm_batched_general_kernelIDF16_Li16ELi16ELi32ELi32ELi8ELi32ELi8ELi8ELi32ELc67ELc67EKPKDF16_S3_KPDF16_EEvlllT_PT11_llS8_llS6_PT12_llPT13_lli.numbered_sgpr, 44
	.set _ZN12_GLOBAL__N_135rocblas_gemm_batched_general_kernelIDF16_Li16ELi16ELi32ELi32ELi8ELi32ELi8ELi8ELi32ELc67ELc67EKPKDF16_S3_KPDF16_EEvlllT_PT11_llS8_llS6_PT12_llPT13_lli.num_named_barrier, 0
	.set _ZN12_GLOBAL__N_135rocblas_gemm_batched_general_kernelIDF16_Li16ELi16ELi32ELi32ELi8ELi32ELi8ELi8ELi32ELc67ELc67EKPKDF16_S3_KPDF16_EEvlllT_PT11_llS8_llS6_PT12_llPT13_lli.private_seg_size, 0
	.set _ZN12_GLOBAL__N_135rocblas_gemm_batched_general_kernelIDF16_Li16ELi16ELi32ELi32ELi8ELi32ELi8ELi8ELi32ELc67ELc67EKPKDF16_S3_KPDF16_EEvlllT_PT11_llS8_llS6_PT12_llPT13_lli.uses_vcc, 1
	.set _ZN12_GLOBAL__N_135rocblas_gemm_batched_general_kernelIDF16_Li16ELi16ELi32ELi32ELi8ELi32ELi8ELi8ELi32ELc67ELc67EKPKDF16_S3_KPDF16_EEvlllT_PT11_llS8_llS6_PT12_llPT13_lli.uses_flat_scratch, 0
	.set _ZN12_GLOBAL__N_135rocblas_gemm_batched_general_kernelIDF16_Li16ELi16ELi32ELi32ELi8ELi32ELi8ELi8ELi32ELc67ELc67EKPKDF16_S3_KPDF16_EEvlllT_PT11_llS8_llS6_PT12_llPT13_lli.has_dyn_sized_stack, 0
	.set _ZN12_GLOBAL__N_135rocblas_gemm_batched_general_kernelIDF16_Li16ELi16ELi32ELi32ELi8ELi32ELi8ELi8ELi32ELc67ELc67EKPKDF16_S3_KPDF16_EEvlllT_PT11_llS8_llS6_PT12_llPT13_lli.has_recursion, 0
	.set _ZN12_GLOBAL__N_135rocblas_gemm_batched_general_kernelIDF16_Li16ELi16ELi32ELi32ELi8ELi32ELi8ELi8ELi32ELc67ELc67EKPKDF16_S3_KPDF16_EEvlllT_PT11_llS8_llS6_PT12_llPT13_lli.has_indirect_call, 0
	.section	.AMDGPU.csdata,"",@progbits
; Kernel info:
; codeLenInByte = 1956
; TotalNumSgprs: 46
; NumVgprs: 30
; ScratchSize: 0
; MemoryBound: 0
; FloatMode: 240
; IeeeMode: 1
; LDSByteSize: 1024 bytes/workgroup (compile time only)
; SGPRBlocks: 0
; VGPRBlocks: 3
; NumSGPRsForWavesPerEU: 46
; NumVGPRsForWavesPerEU: 30
; Occupancy: 16
; WaveLimiterHint : 1
; COMPUTE_PGM_RSRC2:SCRATCH_EN: 0
; COMPUTE_PGM_RSRC2:USER_SGPR: 6
; COMPUTE_PGM_RSRC2:TRAP_HANDLER: 0
; COMPUTE_PGM_RSRC2:TGID_X_EN: 1
; COMPUTE_PGM_RSRC2:TGID_Y_EN: 1
; COMPUTE_PGM_RSRC2:TGID_Z_EN: 1
; COMPUTE_PGM_RSRC2:TIDIG_COMP_CNT: 1
	.section	.text._ZN12_GLOBAL__N_135rocblas_gemm_batched_general_kernelIDF16_Li16ELi16ELi32ELi32ELi8ELi32ELi8ELi8ELi32ELc67ELc78EKPKDF16_S3_KPDF16_EEvlllT_PT11_llS8_llS6_PT12_llPT13_lli,"axG",@progbits,_ZN12_GLOBAL__N_135rocblas_gemm_batched_general_kernelIDF16_Li16ELi16ELi32ELi32ELi8ELi32ELi8ELi8ELi32ELc67ELc78EKPKDF16_S3_KPDF16_EEvlllT_PT11_llS8_llS6_PT12_llPT13_lli,comdat
	.globl	_ZN12_GLOBAL__N_135rocblas_gemm_batched_general_kernelIDF16_Li16ELi16ELi32ELi32ELi8ELi32ELi8ELi8ELi32ELc67ELc78EKPKDF16_S3_KPDF16_EEvlllT_PT11_llS8_llS6_PT12_llPT13_lli ; -- Begin function _ZN12_GLOBAL__N_135rocblas_gemm_batched_general_kernelIDF16_Li16ELi16ELi32ELi32ELi8ELi32ELi8ELi8ELi32ELc67ELc78EKPKDF16_S3_KPDF16_EEvlllT_PT11_llS8_llS6_PT12_llPT13_lli
	.p2align	8
	.type	_ZN12_GLOBAL__N_135rocblas_gemm_batched_general_kernelIDF16_Li16ELi16ELi32ELi32ELi8ELi32ELi8ELi8ELi32ELc67ELc78EKPKDF16_S3_KPDF16_EEvlllT_PT11_llS8_llS6_PT12_llPT13_lli,@function
_ZN12_GLOBAL__N_135rocblas_gemm_batched_general_kernelIDF16_Li16ELi16ELi32ELi32ELi8ELi32ELi8ELi8ELi32ELc67ELc78EKPKDF16_S3_KPDF16_EEvlllT_PT11_llS8_llS6_PT12_llPT13_lli: ; @_ZN12_GLOBAL__N_135rocblas_gemm_batched_general_kernelIDF16_Li16ELi16ELi32ELi32ELi8ELi32ELi8ELi8ELi32ELc67ELc78EKPKDF16_S3_KPDF16_EEvlllT_PT11_llS8_llS6_PT12_llPT13_lli
; %bb.0:
	s_clause 0x1
	s_load_dwordx8 s[12:19], s[4:5], 0x58
	s_load_dwordx2 s[34:35], s[4:5], 0x10
	s_mov_b32 s9, 0
	s_load_dwordx4 s[28:31], s[4:5], 0x0
	s_lshl_b64 s[38:39], s[8:9], 3
	s_load_dwordx4 s[8:11], s[4:5], 0x78
	s_mov_b32 s0, s7
	v_mov_b32_e32 v7, 0
	s_waitcnt lgkmcnt(0)
	s_add_u32 s2, s12, s38
	s_addc_u32 s3, s13, s39
	s_add_u32 s18, s18, s38
	s_addc_u32 s19, s19, s39
	s_load_dwordx2 s[12:13], s[2:3], 0x0
	s_load_dwordx2 s[18:19], s[18:19], 0x0
	v_cmp_lt_i64_e64 s2, s[34:35], 1
	s_ashr_i32 s7, s6, 31
	s_ashr_i32 s1, s0, 31
	s_lshl_b64 s[6:7], s[6:7], 5
	s_lshl_b64 s[36:37], s[0:1], 5
	s_and_b32 vcc_lo, exec_lo, s2
	s_cbranch_vccnz .LBB170_7
; %bb.1:
	v_lshlrev_b32_e32 v8, 4, v1
	s_clause 0x1
	s_load_dwordx4 s[0:3], s[4:5], 0x40
	s_load_dwordx8 s[20:27], s[4:5], 0x20
	v_mov_b32_e32 v3, s7
	v_and_b32_e32 v6, 7, v0
	v_add_nc_u32_e32 v2, v8, v0
	v_lshlrev_b32_e32 v16, 1, v6
	v_lshrrev_b32_e32 v10, 3, v2
	v_and_b32_e32 v11, 31, v2
	v_lshrrev_b32_e32 v9, 5, v2
	v_add_co_u32 v4, s33, v10, s36
	v_add_co_ci_u32_e64 v5, null, 0, s37, s33
	v_or_b32_e32 v2, s6, v11
	v_lshlrev_b32_e32 v17, 1, v11
	s_waitcnt lgkmcnt(0)
	v_mul_lo_u32 v18, s1, v4
	v_add_co_u32 v11, s1, s6, v11
	v_add_co_ci_u32_e64 v14, null, s7, 0, s1
	v_mul_lo_u32 v19, s0, v5
	v_mad_u64_u32 v[12:13], null, s0, v4, 0
	v_mul_lo_u32 v20, s23, v11
	v_mul_lo_u32 v21, s22, v14
	v_mad_u64_u32 v[14:15], null, s22, v11, 0
	s_add_u32 s26, s26, s38
	s_addc_u32 s27, s27, s39
	v_add3_u32 v13, v13, v19, v18
	s_add_u32 s20, s20, s38
	s_load_dwordx2 s[26:27], s[26:27], 0x0
	s_addc_u32 s21, s21, s39
	v_add3_u32 v15, v15, v21, v20
	s_load_dwordx2 s[20:21], s[20:21], 0x0
	v_cmp_gt_i64_e64 s0, s[28:29], v[2:3]
	v_lshlrev_b64 v[2:3], 1, v[12:13]
	v_cmp_gt_i64_e64 s1, s[30:31], v[4:5]
	s_lshl_b64 s[2:3], s[2:3], 1
	v_lshlrev_b64 v[4:5], 1, v[14:15]
	v_add_nc_u32_e32 v13, 0x200, v8
	v_lshlrev_b32_e32 v8, 1, v9
	v_add_co_u32 v2, vcc_lo, v2, s2
	v_add_co_ci_u32_e64 v3, null, s3, v3, vcc_lo
	s_lshl_b64 s[2:3], s[24:25], 1
	v_lshl_or_b32 v11, v10, 4, v16
	v_add_co_u32 v4, vcc_lo, v4, s2
	v_add_co_ci_u32_e64 v5, null, s3, v5, vcc_lo
	v_add_co_u32 v2, vcc_lo, v2, v16
	v_add_co_ci_u32_e64 v3, null, 0, v3, vcc_lo
	;; [unrolled: 2-line block ×3, first 2 shown]
	s_waitcnt lgkmcnt(0)
	v_add_co_u32 v2, vcc_lo, s26, v2
	v_add_co_ci_u32_e64 v3, null, s27, v3, vcc_lo
	v_add_co_u32 v4, vcc_lo, s20, v4
	v_lshl_or_b32 v10, v9, 6, v17
	v_add_nc_u32_e32 v11, 0x200, v11
	v_lshlrev_b32_e32 v12, 1, v0
	v_add_co_ci_u32_e64 v5, null, s21, v5, vcc_lo
	v_mov_b32_e32 v8, 0
	s_mov_b64 s[2:3], 0
	s_branch .LBB170_3
.LBB170_2:                              ;   in Loop: Header=BB170_3 Depth=1
	s_or_b32 exec_lo, exec_lo, s20
	s_waitcnt vmcnt(0) lgkmcnt(0)
	ds_write_b16 v11, v14
	s_waitcnt lgkmcnt(0)
	s_barrier
	buffer_gl0_inv
	ds_read_u16 v22, v12
	ds_read_u16 v23, v12 offset:64
	ds_read_u16 v24, v12 offset:128
	;; [unrolled: 1-line block ×7, first 2 shown]
	s_add_u32 s2, s2, 8
	s_addc_u32 s3, s3, 0
	v_add_co_u32 v2, vcc_lo, v2, 16
	v_cmp_lt_i64_e64 s20, s[2:3], s[34:35]
	v_add_co_ci_u32_e64 v3, null, 0, v3, vcc_lo
	v_add_co_u32 v4, vcc_lo, v4, 16
	v_add_co_ci_u32_e64 v5, null, 0, v5, vcc_lo
	s_and_b32 vcc_lo, exec_lo, s20
	s_waitcnt lgkmcnt(7)
	ds_read_u16_d16_hi v22, v12 offset:32
	ds_read_b128 v[14:17], v13
	ds_read_b128 v[18:21], v13 offset:256
	s_waitcnt lgkmcnt(9)
	ds_read_u16_d16_hi v23, v12 offset:96
	s_waitcnt lgkmcnt(9)
	ds_read_u16_d16_hi v24, v12 offset:160
	s_waitcnt lgkmcnt(9)
	ds_read_u16_d16_hi v25, v12 offset:224
	s_waitcnt lgkmcnt(9)
	ds_read_u16_d16_hi v26, v12 offset:288
	s_waitcnt lgkmcnt(9)
	ds_read_u16_d16_hi v27, v12 offset:352
	s_waitcnt lgkmcnt(9)
	ds_read_u16_d16_hi v28, v12 offset:416
	s_waitcnt lgkmcnt(9)
	ds_read_u16_d16_hi v29, v12 offset:480
	s_waitcnt lgkmcnt(0)
	s_barrier
	buffer_gl0_inv
	v_pk_fma_f16 v7, v22, v14, v7 op_sel_hi:[1,0,1]
	v_pk_fma_f16 v8, v22, v18, v8 op_sel_hi:[1,0,1]
	v_pk_fma_f16 v7, v23, v14, v7 op_sel:[0,1,0]
	v_pk_fma_f16 v8, v23, v18, v8 op_sel:[0,1,0]
	v_pk_fma_f16 v7, v24, v15, v7 op_sel_hi:[1,0,1]
	v_pk_fma_f16 v8, v24, v19, v8 op_sel_hi:[1,0,1]
	v_pk_fma_f16 v7, v25, v15, v7 op_sel:[0,1,0]
	v_pk_fma_f16 v8, v25, v19, v8 op_sel:[0,1,0]
	;; [unrolled: 4-line block ×4, first 2 shown]
	s_cbranch_vccz .LBB170_8
.LBB170_3:                              ; =>This Inner Loop Header: Depth=1
	v_add_co_u32 v14, s20, v9, s2
	v_add_co_ci_u32_e64 v15, null, 0, s3, s20
	v_cmp_gt_i64_e32 vcc_lo, s[34:35], v[14:15]
	v_mov_b32_e32 v14, 0
	v_mov_b32_e32 v15, 0
	s_and_b32 s21, s0, vcc_lo
	s_and_saveexec_b32 s20, s21
	s_cbranch_execz .LBB170_5
; %bb.4:                                ;   in Loop: Header=BB170_3 Depth=1
	flat_load_ushort v15, v[4:5]
.LBB170_5:                              ;   in Loop: Header=BB170_3 Depth=1
	s_or_b32 exec_lo, exec_lo, s20
	v_add_co_u32 v16, s20, v6, s2
	v_add_co_ci_u32_e64 v17, null, 0, s3, s20
	s_waitcnt vmcnt(0) lgkmcnt(0)
	ds_write_b16 v10, v15
	v_cmp_gt_i64_e32 vcc_lo, s[34:35], v[16:17]
	s_and_b32 s21, vcc_lo, s1
	s_and_saveexec_b32 s20, s21
	s_cbranch_execz .LBB170_2
; %bb.6:                                ;   in Loop: Header=BB170_3 Depth=1
	flat_load_ushort v14, v[2:3]
	s_branch .LBB170_2
.LBB170_7:
	v_mov_b32_e32 v8, 0
.LBB170_8:
	s_clause 0x1
	s_load_dword s20, s[4:5], 0x50
	s_load_dword s3, s[4:5], 0x18
	v_add_co_u32 v1, s2, s36, v1
	v_add_co_ci_u32_e64 v2, null, s37, 0, s2
	s_lshl_b64 s[0:1], s[10:11], 1
	s_waitcnt lgkmcnt(0)
	s_add_u32 s4, s18, s0
	v_cmp_gt_i64_e64 s0, s[30:31], v[1:2]
	s_addc_u32 s5, s19, s1
	v_cmp_neq_f16_e64 s2, s20, 0
	s_and_b32 vcc_lo, exec_lo, s2
	s_cbranch_vccnz .LBB170_21
; %bb.9:
	s_and_saveexec_b32 s10, s0
	s_cbranch_execz .LBB170_19
; %bb.10:
	v_mul_lo_u32 v5, v2, s8
	v_mul_lo_u32 v6, v1, s9
	v_mad_u64_u32 v[3:4], null, v1, s8, 0
	v_add3_u32 v4, v4, v6, v5
	v_add_co_u32 v5, s1, s6, v0
	v_add_co_ci_u32_e64 v6, null, s7, 0, s1
	v_lshlrev_b64 v[9:10], 1, v[3:4]
	v_cmp_gt_i64_e32 vcc_lo, s[28:29], v[5:6]
	v_lshlrev_b64 v[3:4], 1, v[5:6]
	v_add_co_u32 v9, s1, s4, v9
	v_add_co_ci_u32_e64 v10, null, s5, v10, s1
	s_and_saveexec_b32 s2, vcc_lo
	s_cbranch_execz .LBB170_12
; %bb.11:
	v_add_co_u32 v11, s1, v9, v3
	v_add_co_ci_u32_e64 v12, null, v10, v4, s1
	v_mul_f16_e32 v13, s3, v7
	flat_store_short v[11:12], v13
.LBB170_12:
	s_or_b32 exec_lo, exec_lo, s2
	v_add_co_u32 v5, s1, v5, 16
	v_add_co_ci_u32_e64 v6, null, 0, v6, s1
	v_cmp_gt_i64_e64 s1, s[28:29], v[5:6]
	s_and_saveexec_b32 s11, s1
	s_cbranch_execz .LBB170_14
; %bb.13:
	v_add_co_u32 v5, s2, v9, v3
	v_add_co_ci_u32_e64 v6, null, v10, v4, s2
	v_mul_f16_sdwa v11, s3, v7 dst_sel:DWORD dst_unused:UNUSED_PAD src0_sel:DWORD src1_sel:WORD_1
	flat_store_short v[5:6], v11 offset:32
.LBB170_14:
	s_or_b32 exec_lo, exec_lo, s11
	v_add_co_u32 v5, s2, v1, 16
	v_add_co_ci_u32_e64 v6, null, 0, v2, s2
	v_cmp_gt_i64_e64 s2, s[30:31], v[5:6]
	s_and_b32 exec_lo, exec_lo, s2
	s_cbranch_execz .LBB170_19
; %bb.15:
	s_lshl_b64 s[18:19], s[8:9], 5
	v_add_co_u32 v5, s2, v9, s18
	v_add_co_ci_u32_e64 v6, null, s19, v10, s2
	v_add_co_u32 v3, s2, v5, v3
	v_add_co_ci_u32_e64 v4, null, v6, v4, s2
	s_and_saveexec_b32 s2, vcc_lo
	s_cbranch_execz .LBB170_17
; %bb.16:
	v_mul_f16_e32 v5, s3, v8
	flat_store_short v[3:4], v5
.LBB170_17:
	s_or_b32 exec_lo, exec_lo, s2
	s_and_b32 exec_lo, exec_lo, s1
	s_cbranch_execz .LBB170_19
; %bb.18:
	v_mul_f16_sdwa v5, s3, v8 dst_sel:DWORD dst_unused:UNUSED_PAD src0_sel:DWORD src1_sel:WORD_1
	flat_store_short v[3:4], v5 offset:32
.LBB170_19:
	s_or_b32 exec_lo, exec_lo, s10
	s_cbranch_execz .LBB170_22
.LBB170_20:
	s_endpgm
.LBB170_21:
.LBB170_22:
	s_and_saveexec_b32 s1, s0
	s_cbranch_execz .LBB170_20
; %bb.23:
	v_mul_lo_u32 v5, v2, s14
	v_mul_lo_u32 v6, v1, s15
	v_mad_u64_u32 v[3:4], null, v1, s14, 0
	v_mul_lo_u32 v11, v2, s8
	v_mul_lo_u32 v12, v1, s9
	v_mad_u64_u32 v[9:10], null, v1, s8, 0
	s_lshl_b64 s[0:1], s[16:17], 1
	v_add3_u32 v4, v4, v6, v5
	v_add_co_u32 v5, s2, s6, v0
	v_add_co_ci_u32_e64 v6, null, s7, 0, s2
	v_add3_u32 v10, v10, v12, v11
	v_lshlrev_b64 v[3:4], 1, v[3:4]
	s_add_u32 s0, s12, s0
	s_addc_u32 s1, s13, s1
	v_cmp_gt_i64_e32 vcc_lo, s[28:29], v[5:6]
	v_lshlrev_b64 v[10:11], 1, v[9:10]
	v_add_co_u32 v0, s0, s0, v3
	v_add_co_ci_u32_e64 v9, null, s1, v4, s0
	v_add_co_u32 v10, s0, s4, v10
	v_lshlrev_b64 v[3:4], 1, v[5:6]
	v_add_co_ci_u32_e64 v11, null, s5, v11, s0
	s_and_saveexec_b32 s1, vcc_lo
	s_cbranch_execz .LBB170_25
; %bb.24:
	v_add_co_u32 v12, s0, v0, v3
	v_add_co_ci_u32_e64 v13, null, v9, v4, s0
	flat_load_ushort v12, v[12:13]
	s_waitcnt vmcnt(0) lgkmcnt(0)
	v_mul_f16_e32 v14, s20, v12
	v_add_co_u32 v12, s0, v10, v3
	v_add_co_ci_u32_e64 v13, null, v11, v4, s0
	v_fmac_f16_e32 v14, s3, v7
	flat_store_short v[12:13], v14
.LBB170_25:
	s_or_b32 exec_lo, exec_lo, s1
	v_add_co_u32 v5, s0, v5, 16
	v_add_co_ci_u32_e64 v6, null, 0, v6, s0
	v_cmp_gt_i64_e64 s0, s[28:29], v[5:6]
	s_and_saveexec_b32 s2, s0
	s_cbranch_execz .LBB170_27
; %bb.26:
	v_add_co_u32 v5, s1, v0, v3
	v_add_co_ci_u32_e64 v6, null, v9, v4, s1
	flat_load_ushort v5, v[5:6] offset:32
	v_lshrrev_b32_e32 v6, 16, v7
	s_waitcnt vmcnt(0) lgkmcnt(0)
	v_mul_f16_e32 v7, s20, v5
	v_add_co_u32 v5, s1, v10, v3
	v_fmac_f16_e32 v7, s3, v6
	v_add_co_ci_u32_e64 v6, null, v11, v4, s1
	flat_store_short v[5:6], v7 offset:32
.LBB170_27:
	s_or_b32 exec_lo, exec_lo, s2
	v_add_co_u32 v1, s1, v1, 16
	v_add_co_ci_u32_e64 v2, null, 0, v2, s1
	v_cmp_gt_i64_e64 s1, s[30:31], v[1:2]
	s_and_b32 exec_lo, exec_lo, s1
	s_cbranch_execz .LBB170_20
; %bb.28:
	s_lshl_b64 s[4:5], s[14:15], 5
	v_add_co_u32 v0, s1, v0, s4
	v_add_co_ci_u32_e64 v1, null, s5, v9, s1
	s_lshl_b64 s[4:5], s[8:9], 5
	v_add_co_u32 v2, s1, v10, s4
	v_add_co_ci_u32_e64 v7, null, s5, v11, s1
	v_add_co_u32 v5, s1, v0, v3
	v_add_co_ci_u32_e64 v6, null, v1, v4, s1
	;; [unrolled: 2-line block ×3, first 2 shown]
	s_and_saveexec_b32 s1, vcc_lo
	s_cbranch_execz .LBB170_30
; %bb.29:
	flat_load_ushort v2, v[5:6]
	s_waitcnt vmcnt(0) lgkmcnt(0)
	v_mul_f16_e32 v2, s20, v2
	v_fmac_f16_e32 v2, s3, v8
	flat_store_short v[0:1], v2
.LBB170_30:
	s_or_b32 exec_lo, exec_lo, s1
	s_and_b32 exec_lo, exec_lo, s0
	s_cbranch_execz .LBB170_20
; %bb.31:
	flat_load_ushort v2, v[5:6] offset:32
	v_lshrrev_b32_e32 v3, 16, v8
	s_waitcnt vmcnt(0) lgkmcnt(0)
	v_mul_f16_e32 v2, s20, v2
	v_fmac_f16_e32 v2, s3, v3
	flat_store_short v[0:1], v2 offset:32
	s_endpgm
	.section	.rodata,"a",@progbits
	.p2align	6, 0x0
	.amdhsa_kernel _ZN12_GLOBAL__N_135rocblas_gemm_batched_general_kernelIDF16_Li16ELi16ELi32ELi32ELi8ELi32ELi8ELi8ELi32ELc67ELc78EKPKDF16_S3_KPDF16_EEvlllT_PT11_llS8_llS6_PT12_llPT13_lli
		.amdhsa_group_segment_fixed_size 1024
		.amdhsa_private_segment_fixed_size 0
		.amdhsa_kernarg_size 140
		.amdhsa_user_sgpr_count 6
		.amdhsa_user_sgpr_private_segment_buffer 1
		.amdhsa_user_sgpr_dispatch_ptr 0
		.amdhsa_user_sgpr_queue_ptr 0
		.amdhsa_user_sgpr_kernarg_segment_ptr 1
		.amdhsa_user_sgpr_dispatch_id 0
		.amdhsa_user_sgpr_flat_scratch_init 0
		.amdhsa_user_sgpr_private_segment_size 0
		.amdhsa_wavefront_size32 1
		.amdhsa_uses_dynamic_stack 0
		.amdhsa_system_sgpr_private_segment_wavefront_offset 0
		.amdhsa_system_sgpr_workgroup_id_x 1
		.amdhsa_system_sgpr_workgroup_id_y 1
		.amdhsa_system_sgpr_workgroup_id_z 1
		.amdhsa_system_sgpr_workgroup_info 0
		.amdhsa_system_vgpr_workitem_id 1
		.amdhsa_next_free_vgpr 30
		.amdhsa_next_free_sgpr 40
		.amdhsa_reserve_vcc 1
		.amdhsa_reserve_flat_scratch 0
		.amdhsa_float_round_mode_32 0
		.amdhsa_float_round_mode_16_64 0
		.amdhsa_float_denorm_mode_32 3
		.amdhsa_float_denorm_mode_16_64 3
		.amdhsa_dx10_clamp 1
		.amdhsa_ieee_mode 1
		.amdhsa_fp16_overflow 0
		.amdhsa_workgroup_processor_mode 1
		.amdhsa_memory_ordered 1
		.amdhsa_forward_progress 1
		.amdhsa_shared_vgpr_count 0
		.amdhsa_exception_fp_ieee_invalid_op 0
		.amdhsa_exception_fp_denorm_src 0
		.amdhsa_exception_fp_ieee_div_zero 0
		.amdhsa_exception_fp_ieee_overflow 0
		.amdhsa_exception_fp_ieee_underflow 0
		.amdhsa_exception_fp_ieee_inexact 0
		.amdhsa_exception_int_div_zero 0
	.end_amdhsa_kernel
	.section	.text._ZN12_GLOBAL__N_135rocblas_gemm_batched_general_kernelIDF16_Li16ELi16ELi32ELi32ELi8ELi32ELi8ELi8ELi32ELc67ELc78EKPKDF16_S3_KPDF16_EEvlllT_PT11_llS8_llS6_PT12_llPT13_lli,"axG",@progbits,_ZN12_GLOBAL__N_135rocblas_gemm_batched_general_kernelIDF16_Li16ELi16ELi32ELi32ELi8ELi32ELi8ELi8ELi32ELc67ELc78EKPKDF16_S3_KPDF16_EEvlllT_PT11_llS8_llS6_PT12_llPT13_lli,comdat
.Lfunc_end170:
	.size	_ZN12_GLOBAL__N_135rocblas_gemm_batched_general_kernelIDF16_Li16ELi16ELi32ELi32ELi8ELi32ELi8ELi8ELi32ELc67ELc78EKPKDF16_S3_KPDF16_EEvlllT_PT11_llS8_llS6_PT12_llPT13_lli, .Lfunc_end170-_ZN12_GLOBAL__N_135rocblas_gemm_batched_general_kernelIDF16_Li16ELi16ELi32ELi32ELi8ELi32ELi8ELi8ELi32ELc67ELc78EKPKDF16_S3_KPDF16_EEvlllT_PT11_llS8_llS6_PT12_llPT13_lli
                                        ; -- End function
	.set _ZN12_GLOBAL__N_135rocblas_gemm_batched_general_kernelIDF16_Li16ELi16ELi32ELi32ELi8ELi32ELi8ELi8ELi32ELc67ELc78EKPKDF16_S3_KPDF16_EEvlllT_PT11_llS8_llS6_PT12_llPT13_lli.num_vgpr, 30
	.set _ZN12_GLOBAL__N_135rocblas_gemm_batched_general_kernelIDF16_Li16ELi16ELi32ELi32ELi8ELi32ELi8ELi8ELi32ELc67ELc78EKPKDF16_S3_KPDF16_EEvlllT_PT11_llS8_llS6_PT12_llPT13_lli.num_agpr, 0
	.set _ZN12_GLOBAL__N_135rocblas_gemm_batched_general_kernelIDF16_Li16ELi16ELi32ELi32ELi8ELi32ELi8ELi8ELi32ELc67ELc78EKPKDF16_S3_KPDF16_EEvlllT_PT11_llS8_llS6_PT12_llPT13_lli.numbered_sgpr, 40
	.set _ZN12_GLOBAL__N_135rocblas_gemm_batched_general_kernelIDF16_Li16ELi16ELi32ELi32ELi8ELi32ELi8ELi8ELi32ELc67ELc78EKPKDF16_S3_KPDF16_EEvlllT_PT11_llS8_llS6_PT12_llPT13_lli.num_named_barrier, 0
	.set _ZN12_GLOBAL__N_135rocblas_gemm_batched_general_kernelIDF16_Li16ELi16ELi32ELi32ELi8ELi32ELi8ELi8ELi32ELc67ELc78EKPKDF16_S3_KPDF16_EEvlllT_PT11_llS8_llS6_PT12_llPT13_lli.private_seg_size, 0
	.set _ZN12_GLOBAL__N_135rocblas_gemm_batched_general_kernelIDF16_Li16ELi16ELi32ELi32ELi8ELi32ELi8ELi8ELi32ELc67ELc78EKPKDF16_S3_KPDF16_EEvlllT_PT11_llS8_llS6_PT12_llPT13_lli.uses_vcc, 1
	.set _ZN12_GLOBAL__N_135rocblas_gemm_batched_general_kernelIDF16_Li16ELi16ELi32ELi32ELi8ELi32ELi8ELi8ELi32ELc67ELc78EKPKDF16_S3_KPDF16_EEvlllT_PT11_llS8_llS6_PT12_llPT13_lli.uses_flat_scratch, 0
	.set _ZN12_GLOBAL__N_135rocblas_gemm_batched_general_kernelIDF16_Li16ELi16ELi32ELi32ELi8ELi32ELi8ELi8ELi32ELc67ELc78EKPKDF16_S3_KPDF16_EEvlllT_PT11_llS8_llS6_PT12_llPT13_lli.has_dyn_sized_stack, 0
	.set _ZN12_GLOBAL__N_135rocblas_gemm_batched_general_kernelIDF16_Li16ELi16ELi32ELi32ELi8ELi32ELi8ELi8ELi32ELc67ELc78EKPKDF16_S3_KPDF16_EEvlllT_PT11_llS8_llS6_PT12_llPT13_lli.has_recursion, 0
	.set _ZN12_GLOBAL__N_135rocblas_gemm_batched_general_kernelIDF16_Li16ELi16ELi32ELi32ELi8ELi32ELi8ELi8ELi32ELc67ELc78EKPKDF16_S3_KPDF16_EEvlllT_PT11_llS8_llS6_PT12_llPT13_lli.has_indirect_call, 0
	.section	.AMDGPU.csdata,"",@progbits
; Kernel info:
; codeLenInByte = 1948
; TotalNumSgprs: 42
; NumVgprs: 30
; ScratchSize: 0
; MemoryBound: 0
; FloatMode: 240
; IeeeMode: 1
; LDSByteSize: 1024 bytes/workgroup (compile time only)
; SGPRBlocks: 0
; VGPRBlocks: 3
; NumSGPRsForWavesPerEU: 42
; NumVGPRsForWavesPerEU: 30
; Occupancy: 16
; WaveLimiterHint : 1
; COMPUTE_PGM_RSRC2:SCRATCH_EN: 0
; COMPUTE_PGM_RSRC2:USER_SGPR: 6
; COMPUTE_PGM_RSRC2:TRAP_HANDLER: 0
; COMPUTE_PGM_RSRC2:TGID_X_EN: 1
; COMPUTE_PGM_RSRC2:TGID_Y_EN: 1
; COMPUTE_PGM_RSRC2:TGID_Z_EN: 1
; COMPUTE_PGM_RSRC2:TIDIG_COMP_CNT: 1
	.section	.text._ZN12_GLOBAL__N_135rocblas_gemm_batched_general_kernelIDF16_Li16ELi16ELi32ELi32ELi8ELi32ELi8ELi8ELi32ELc67ELc84EKPKDF16_S3_KPDF16_EEvlllT_PT11_llS8_llS6_PT12_llPT13_lli,"axG",@progbits,_ZN12_GLOBAL__N_135rocblas_gemm_batched_general_kernelIDF16_Li16ELi16ELi32ELi32ELi8ELi32ELi8ELi8ELi32ELc67ELc84EKPKDF16_S3_KPDF16_EEvlllT_PT11_llS8_llS6_PT12_llPT13_lli,comdat
	.globl	_ZN12_GLOBAL__N_135rocblas_gemm_batched_general_kernelIDF16_Li16ELi16ELi32ELi32ELi8ELi32ELi8ELi8ELi32ELc67ELc84EKPKDF16_S3_KPDF16_EEvlllT_PT11_llS8_llS6_PT12_llPT13_lli ; -- Begin function _ZN12_GLOBAL__N_135rocblas_gemm_batched_general_kernelIDF16_Li16ELi16ELi32ELi32ELi8ELi32ELi8ELi8ELi32ELc67ELc84EKPKDF16_S3_KPDF16_EEvlllT_PT11_llS8_llS6_PT12_llPT13_lli
	.p2align	8
	.type	_ZN12_GLOBAL__N_135rocblas_gemm_batched_general_kernelIDF16_Li16ELi16ELi32ELi32ELi8ELi32ELi8ELi8ELi32ELc67ELc84EKPKDF16_S3_KPDF16_EEvlllT_PT11_llS8_llS6_PT12_llPT13_lli,@function
_ZN12_GLOBAL__N_135rocblas_gemm_batched_general_kernelIDF16_Li16ELi16ELi32ELi32ELi8ELi32ELi8ELi8ELi32ELc67ELc84EKPKDF16_S3_KPDF16_EEvlllT_PT11_llS8_llS6_PT12_llPT13_lli: ; @_ZN12_GLOBAL__N_135rocblas_gemm_batched_general_kernelIDF16_Li16ELi16ELi32ELi32ELi8ELi32ELi8ELi8ELi32ELc67ELc84EKPKDF16_S3_KPDF16_EEvlllT_PT11_llS8_llS6_PT12_llPT13_lli
; %bb.0:
	s_clause 0x1
	s_load_dwordx8 s[12:19], s[4:5], 0x58
	s_load_dwordx2 s[34:35], s[4:5], 0x10
	s_mov_b32 s9, 0
	s_load_dwordx4 s[28:31], s[4:5], 0x0
	s_lshl_b64 s[42:43], s[8:9], 3
	s_load_dwordx4 s[8:11], s[4:5], 0x78
	s_mov_b32 s40, s7
	v_mov_b32_e32 v7, 0
	s_waitcnt lgkmcnt(0)
	s_add_u32 s0, s12, s42
	s_addc_u32 s1, s13, s43
	s_add_u32 s2, s18, s42
	s_addc_u32 s3, s19, s43
	s_load_dwordx2 s[12:13], s[0:1], 0x0
	s_load_dwordx2 s[2:3], s[2:3], 0x0
	v_cmp_lt_i64_e64 s0, s[34:35], 1
	s_ashr_i32 s7, s6, 31
	s_ashr_i32 s41, s40, 31
	s_lshl_b64 s[6:7], s[6:7], 5
	s_lshl_b64 s[18:19], s[40:41], 5
	s_and_b32 vcc_lo, exec_lo, s0
	s_cbranch_vccnz .LBB171_7
; %bb.1:
	s_load_dwordx4 s[36:39], s[4:5], 0x40
	v_lshlrev_b32_e32 v2, 4, v1
	v_and_b32_e32 v6, 7, v0
	s_load_dwordx8 s[20:27], s[4:5], 0x20
	v_mov_b32_e32 v3, s7
	v_lshlrev_b32_e32 v9, 1, v0
	v_add_nc_u32_e32 v4, v2, v0
	v_add_nc_u32_e32 v10, 0x200, v2
	v_lshlrev_b32_e32 v8, 1, v6
	v_and_b32_e32 v12, 31, v4
	v_lshrrev_b32_e32 v16, 3, v4
	v_lshrrev_b32_e32 v11, 5, v4
	v_or_b32_e32 v2, s6, v12
	v_add_co_u32 v4, s0, v16, s18
	v_add_co_ci_u32_e64 v5, null, 0, s19, s0
	s_waitcnt lgkmcnt(0)
	v_mad_u64_u32 v[14:15], null, s36, v6, 0
	v_add_co_u32 v17, s0, s6, v12
	v_add_co_ci_u32_e64 v18, null, s7, 0, s0
	v_cmp_gt_i64_e64 s0, s[28:29], v[2:3]
	v_lshlrev_b32_e32 v13, 1, v12
	v_mov_b32_e32 v2, v15
	v_lshl_or_b32 v8, v16, 4, v8
	v_cmp_gt_i64_e64 s1, s[30:31], v[4:5]
	v_mul_lo_u32 v5, s23, v17
	v_lshl_or_b32 v12, v11, 6, v13
	v_mad_u64_u32 v[2:3], null, s37, v6, v[2:3]
	v_add_nc_u32_e32 v13, 0x200, v8
	v_mul_lo_u32 v8, s22, v18
	v_mad_u64_u32 v[3:4], null, s22, v17, 0
	s_add_u32 s26, s26, s42
	s_addc_u32 s27, s27, s43
	s_add_u32 s20, s20, s42
	v_mov_b32_e32 v15, v2
	s_load_dwordx2 s[22:23], s[26:27], 0x0
	s_addc_u32 s21, s21, s43
	v_add3_u32 v4, v4, v8, v5
	s_load_dwordx2 s[20:21], s[20:21], 0x0
	v_lshlrev_b64 v[14:15], 1, v[14:15]
	s_lshl_b64 s[26:27], s[40:41], 6
	s_lshl_b64 s[38:39], s[38:39], 1
	v_lshlrev_b64 v[2:3], 1, v[3:4]
	s_add_u32 s26, s38, s26
	s_addc_u32 s27, s39, s27
	v_add_co_u32 v4, vcc_lo, s26, v14
	v_lshlrev_b32_e32 v8, 1, v16
	s_lshl_b64 s[24:25], s[24:25], 1
	v_add_co_ci_u32_e64 v5, null, s27, v15, vcc_lo
	v_add_co_u32 v2, vcc_lo, v2, s24
	v_lshlrev_b32_e32 v14, 1, v11
	v_add_co_ci_u32_e64 v3, null, s25, v3, vcc_lo
	v_add_co_u32 v4, vcc_lo, v4, v8
	v_add_co_ci_u32_e64 v5, null, 0, v5, vcc_lo
	v_add_co_u32 v8, vcc_lo, v2, v14
	v_add_co_ci_u32_e64 v14, null, 0, v3, vcc_lo
	s_waitcnt lgkmcnt(0)
	v_add_co_u32 v2, vcc_lo, s22, v4
	v_add_co_ci_u32_e64 v3, null, s23, v5, vcc_lo
	v_add_co_u32 v4, vcc_lo, s20, v8
	v_add_co_ci_u32_e64 v5, null, s21, v14, vcc_lo
	v_mov_b32_e32 v8, 0
	s_lshl_b64 s[20:21], s[36:37], 4
	s_mov_b64 s[22:23], 0
	s_branch .LBB171_3
.LBB171_2:                              ;   in Loop: Header=BB171_3 Depth=1
	s_or_b32 exec_lo, exec_lo, s24
	s_waitcnt vmcnt(0) lgkmcnt(0)
	ds_write_b16 v13, v14
	s_waitcnt lgkmcnt(0)
	s_barrier
	buffer_gl0_inv
	ds_read_u16 v22, v9
	ds_read_u16 v23, v9 offset:64
	ds_read_u16 v24, v9 offset:128
	;; [unrolled: 1-line block ×7, first 2 shown]
	s_add_u32 s22, s22, 8
	s_addc_u32 s23, s23, 0
	v_add_co_u32 v2, vcc_lo, v2, s20
	v_cmp_lt_i64_e64 s24, s[22:23], s[34:35]
	v_add_co_ci_u32_e64 v3, null, s21, v3, vcc_lo
	v_add_co_u32 v4, vcc_lo, v4, 16
	v_add_co_ci_u32_e64 v5, null, 0, v5, vcc_lo
	s_and_b32 vcc_lo, exec_lo, s24
	s_waitcnt lgkmcnt(7)
	ds_read_u16_d16_hi v22, v9 offset:32
	ds_read_b128 v[14:17], v10
	ds_read_b128 v[18:21], v10 offset:256
	s_waitcnt lgkmcnt(9)
	ds_read_u16_d16_hi v23, v9 offset:96
	s_waitcnt lgkmcnt(9)
	ds_read_u16_d16_hi v24, v9 offset:160
	;; [unrolled: 2-line block ×7, first 2 shown]
	s_waitcnt lgkmcnt(0)
	s_barrier
	buffer_gl0_inv
	v_pk_fma_f16 v7, v22, v14, v7 op_sel_hi:[1,0,1]
	v_pk_fma_f16 v8, v22, v18, v8 op_sel_hi:[1,0,1]
	v_pk_fma_f16 v7, v23, v14, v7 op_sel:[0,1,0]
	v_pk_fma_f16 v8, v23, v18, v8 op_sel:[0,1,0]
	v_pk_fma_f16 v7, v24, v15, v7 op_sel_hi:[1,0,1]
	v_pk_fma_f16 v8, v24, v19, v8 op_sel_hi:[1,0,1]
	v_pk_fma_f16 v7, v25, v15, v7 op_sel:[0,1,0]
	v_pk_fma_f16 v8, v25, v19, v8 op_sel:[0,1,0]
	;; [unrolled: 4-line block ×4, first 2 shown]
	s_cbranch_vccz .LBB171_8
.LBB171_3:                              ; =>This Inner Loop Header: Depth=1
	v_add_co_u32 v14, s24, v11, s22
	v_add_co_ci_u32_e64 v15, null, 0, s23, s24
	v_cmp_gt_i64_e32 vcc_lo, s[34:35], v[14:15]
	v_mov_b32_e32 v14, 0
	v_mov_b32_e32 v15, 0
	s_and_b32 s25, s0, vcc_lo
	s_and_saveexec_b32 s24, s25
	s_cbranch_execz .LBB171_5
; %bb.4:                                ;   in Loop: Header=BB171_3 Depth=1
	flat_load_ushort v15, v[4:5]
.LBB171_5:                              ;   in Loop: Header=BB171_3 Depth=1
	s_or_b32 exec_lo, exec_lo, s24
	v_add_co_u32 v16, s24, v6, s22
	v_add_co_ci_u32_e64 v17, null, 0, s23, s24
	s_waitcnt vmcnt(0) lgkmcnt(0)
	ds_write_b16 v12, v15
	v_cmp_gt_i64_e32 vcc_lo, s[34:35], v[16:17]
	s_and_b32 s25, vcc_lo, s1
	s_and_saveexec_b32 s24, s25
	s_cbranch_execz .LBB171_2
; %bb.6:                                ;   in Loop: Header=BB171_3 Depth=1
	flat_load_ushort v14, v[2:3]
	s_branch .LBB171_2
.LBB171_7:
	v_mov_b32_e32 v8, 0
.LBB171_8:
	s_clause 0x1
	s_load_dword s20, s[4:5], 0x50
	s_load_dword s4, s[4:5], 0x18
	v_add_co_u32 v1, s5, s18, v1
	v_add_co_ci_u32_e64 v2, null, s19, 0, s5
	s_lshl_b64 s[0:1], s[10:11], 1
	s_waitcnt lgkmcnt(0)
	s_add_u32 s5, s2, s0
	v_cmp_gt_i64_e64 s0, s[30:31], v[1:2]
	s_addc_u32 s3, s3, s1
	v_cmp_neq_f16_e64 s10, s20, 0
	s_and_b32 vcc_lo, exec_lo, s10
	s_cbranch_vccnz .LBB171_21
; %bb.9:
	s_and_saveexec_b32 s10, s0
	s_cbranch_execz .LBB171_19
; %bb.10:
	v_mul_lo_u32 v5, v2, s8
	v_mul_lo_u32 v6, v1, s9
	v_mad_u64_u32 v[3:4], null, v1, s8, 0
	v_add3_u32 v4, v4, v6, v5
	v_add_co_u32 v5, s1, s6, v0
	v_add_co_ci_u32_e64 v6, null, s7, 0, s1
	v_lshlrev_b64 v[9:10], 1, v[3:4]
	v_cmp_gt_i64_e32 vcc_lo, s[28:29], v[5:6]
	v_lshlrev_b64 v[3:4], 1, v[5:6]
	v_add_co_u32 v9, s1, s5, v9
	v_add_co_ci_u32_e64 v10, null, s3, v10, s1
	s_and_saveexec_b32 s2, vcc_lo
	s_cbranch_execz .LBB171_12
; %bb.11:
	v_add_co_u32 v11, s1, v9, v3
	v_add_co_ci_u32_e64 v12, null, v10, v4, s1
	v_mul_f16_e32 v13, s4, v7
	flat_store_short v[11:12], v13
.LBB171_12:
	s_or_b32 exec_lo, exec_lo, s2
	v_add_co_u32 v5, s1, v5, 16
	v_add_co_ci_u32_e64 v6, null, 0, v6, s1
	v_cmp_gt_i64_e64 s1, s[28:29], v[5:6]
	s_and_saveexec_b32 s11, s1
	s_cbranch_execz .LBB171_14
; %bb.13:
	v_add_co_u32 v5, s2, v9, v3
	v_add_co_ci_u32_e64 v6, null, v10, v4, s2
	v_mul_f16_sdwa v11, s4, v7 dst_sel:DWORD dst_unused:UNUSED_PAD src0_sel:DWORD src1_sel:WORD_1
	flat_store_short v[5:6], v11 offset:32
.LBB171_14:
	s_or_b32 exec_lo, exec_lo, s11
	v_add_co_u32 v5, s2, v1, 16
	v_add_co_ci_u32_e64 v6, null, 0, v2, s2
	v_cmp_gt_i64_e64 s2, s[30:31], v[5:6]
	s_and_b32 exec_lo, exec_lo, s2
	s_cbranch_execz .LBB171_19
; %bb.15:
	s_lshl_b64 s[18:19], s[8:9], 5
	v_add_co_u32 v5, s2, v9, s18
	v_add_co_ci_u32_e64 v6, null, s19, v10, s2
	v_add_co_u32 v3, s2, v5, v3
	v_add_co_ci_u32_e64 v4, null, v6, v4, s2
	s_and_saveexec_b32 s2, vcc_lo
	s_cbranch_execz .LBB171_17
; %bb.16:
	v_mul_f16_e32 v5, s4, v8
	flat_store_short v[3:4], v5
.LBB171_17:
	s_or_b32 exec_lo, exec_lo, s2
	s_and_b32 exec_lo, exec_lo, s1
	s_cbranch_execz .LBB171_19
; %bb.18:
	v_mul_f16_sdwa v5, s4, v8 dst_sel:DWORD dst_unused:UNUSED_PAD src0_sel:DWORD src1_sel:WORD_1
	flat_store_short v[3:4], v5 offset:32
.LBB171_19:
	s_or_b32 exec_lo, exec_lo, s10
	s_cbranch_execz .LBB171_22
.LBB171_20:
	s_endpgm
.LBB171_21:
.LBB171_22:
	s_and_saveexec_b32 s1, s0
	s_cbranch_execz .LBB171_20
; %bb.23:
	v_mul_lo_u32 v5, v2, s14
	v_mul_lo_u32 v6, v1, s15
	v_mad_u64_u32 v[3:4], null, v1, s14, 0
	v_mul_lo_u32 v11, v2, s8
	v_mul_lo_u32 v12, v1, s9
	v_mad_u64_u32 v[9:10], null, v1, s8, 0
	s_lshl_b64 s[0:1], s[16:17], 1
	v_add3_u32 v4, v4, v6, v5
	v_add_co_u32 v5, s2, s6, v0
	v_add_co_ci_u32_e64 v6, null, s7, 0, s2
	v_add3_u32 v10, v10, v12, v11
	v_lshlrev_b64 v[3:4], 1, v[3:4]
	s_add_u32 s0, s12, s0
	s_addc_u32 s1, s13, s1
	v_cmp_gt_i64_e32 vcc_lo, s[28:29], v[5:6]
	v_lshlrev_b64 v[10:11], 1, v[9:10]
	v_add_co_u32 v0, s0, s0, v3
	v_add_co_ci_u32_e64 v9, null, s1, v4, s0
	v_add_co_u32 v10, s0, s5, v10
	v_lshlrev_b64 v[3:4], 1, v[5:6]
	v_add_co_ci_u32_e64 v11, null, s3, v11, s0
	s_and_saveexec_b32 s1, vcc_lo
	s_cbranch_execz .LBB171_25
; %bb.24:
	v_add_co_u32 v12, s0, v0, v3
	v_add_co_ci_u32_e64 v13, null, v9, v4, s0
	flat_load_ushort v12, v[12:13]
	s_waitcnt vmcnt(0) lgkmcnt(0)
	v_mul_f16_e32 v14, s20, v12
	v_add_co_u32 v12, s0, v10, v3
	v_add_co_ci_u32_e64 v13, null, v11, v4, s0
	v_fmac_f16_e32 v14, s4, v7
	flat_store_short v[12:13], v14
.LBB171_25:
	s_or_b32 exec_lo, exec_lo, s1
	v_add_co_u32 v5, s0, v5, 16
	v_add_co_ci_u32_e64 v6, null, 0, v6, s0
	v_cmp_gt_i64_e64 s0, s[28:29], v[5:6]
	s_and_saveexec_b32 s2, s0
	s_cbranch_execz .LBB171_27
; %bb.26:
	v_add_co_u32 v5, s1, v0, v3
	v_add_co_ci_u32_e64 v6, null, v9, v4, s1
	flat_load_ushort v5, v[5:6] offset:32
	v_lshrrev_b32_e32 v6, 16, v7
	s_waitcnt vmcnt(0) lgkmcnt(0)
	v_mul_f16_e32 v7, s20, v5
	v_add_co_u32 v5, s1, v10, v3
	v_fmac_f16_e32 v7, s4, v6
	v_add_co_ci_u32_e64 v6, null, v11, v4, s1
	flat_store_short v[5:6], v7 offset:32
.LBB171_27:
	s_or_b32 exec_lo, exec_lo, s2
	v_add_co_u32 v1, s1, v1, 16
	v_add_co_ci_u32_e64 v2, null, 0, v2, s1
	v_cmp_gt_i64_e64 s1, s[30:31], v[1:2]
	s_and_b32 exec_lo, exec_lo, s1
	s_cbranch_execz .LBB171_20
; %bb.28:
	s_lshl_b64 s[2:3], s[14:15], 5
	v_add_co_u32 v0, s1, v0, s2
	v_add_co_ci_u32_e64 v1, null, s3, v9, s1
	s_lshl_b64 s[2:3], s[8:9], 5
	v_add_co_u32 v2, s1, v10, s2
	v_add_co_ci_u32_e64 v7, null, s3, v11, s1
	v_add_co_u32 v5, s1, v0, v3
	v_add_co_ci_u32_e64 v6, null, v1, v4, s1
	;; [unrolled: 2-line block ×3, first 2 shown]
	s_and_saveexec_b32 s1, vcc_lo
	s_cbranch_execz .LBB171_30
; %bb.29:
	flat_load_ushort v2, v[5:6]
	s_waitcnt vmcnt(0) lgkmcnt(0)
	v_mul_f16_e32 v2, s20, v2
	v_fmac_f16_e32 v2, s4, v8
	flat_store_short v[0:1], v2
.LBB171_30:
	s_or_b32 exec_lo, exec_lo, s1
	s_and_b32 exec_lo, exec_lo, s0
	s_cbranch_execz .LBB171_20
; %bb.31:
	flat_load_ushort v2, v[5:6] offset:32
	v_lshrrev_b32_e32 v3, 16, v8
	s_waitcnt vmcnt(0) lgkmcnt(0)
	v_mul_f16_e32 v2, s20, v2
	v_fmac_f16_e32 v2, s4, v3
	flat_store_short v[0:1], v2 offset:32
	s_endpgm
	.section	.rodata,"a",@progbits
	.p2align	6, 0x0
	.amdhsa_kernel _ZN12_GLOBAL__N_135rocblas_gemm_batched_general_kernelIDF16_Li16ELi16ELi32ELi32ELi8ELi32ELi8ELi8ELi32ELc67ELc84EKPKDF16_S3_KPDF16_EEvlllT_PT11_llS8_llS6_PT12_llPT13_lli
		.amdhsa_group_segment_fixed_size 1024
		.amdhsa_private_segment_fixed_size 0
		.amdhsa_kernarg_size 140
		.amdhsa_user_sgpr_count 6
		.amdhsa_user_sgpr_private_segment_buffer 1
		.amdhsa_user_sgpr_dispatch_ptr 0
		.amdhsa_user_sgpr_queue_ptr 0
		.amdhsa_user_sgpr_kernarg_segment_ptr 1
		.amdhsa_user_sgpr_dispatch_id 0
		.amdhsa_user_sgpr_flat_scratch_init 0
		.amdhsa_user_sgpr_private_segment_size 0
		.amdhsa_wavefront_size32 1
		.amdhsa_uses_dynamic_stack 0
		.amdhsa_system_sgpr_private_segment_wavefront_offset 0
		.amdhsa_system_sgpr_workgroup_id_x 1
		.amdhsa_system_sgpr_workgroup_id_y 1
		.amdhsa_system_sgpr_workgroup_id_z 1
		.amdhsa_system_sgpr_workgroup_info 0
		.amdhsa_system_vgpr_workitem_id 1
		.amdhsa_next_free_vgpr 30
		.amdhsa_next_free_sgpr 44
		.amdhsa_reserve_vcc 1
		.amdhsa_reserve_flat_scratch 0
		.amdhsa_float_round_mode_32 0
		.amdhsa_float_round_mode_16_64 0
		.amdhsa_float_denorm_mode_32 3
		.amdhsa_float_denorm_mode_16_64 3
		.amdhsa_dx10_clamp 1
		.amdhsa_ieee_mode 1
		.amdhsa_fp16_overflow 0
		.amdhsa_workgroup_processor_mode 1
		.amdhsa_memory_ordered 1
		.amdhsa_forward_progress 1
		.amdhsa_shared_vgpr_count 0
		.amdhsa_exception_fp_ieee_invalid_op 0
		.amdhsa_exception_fp_denorm_src 0
		.amdhsa_exception_fp_ieee_div_zero 0
		.amdhsa_exception_fp_ieee_overflow 0
		.amdhsa_exception_fp_ieee_underflow 0
		.amdhsa_exception_fp_ieee_inexact 0
		.amdhsa_exception_int_div_zero 0
	.end_amdhsa_kernel
	.section	.text._ZN12_GLOBAL__N_135rocblas_gemm_batched_general_kernelIDF16_Li16ELi16ELi32ELi32ELi8ELi32ELi8ELi8ELi32ELc67ELc84EKPKDF16_S3_KPDF16_EEvlllT_PT11_llS8_llS6_PT12_llPT13_lli,"axG",@progbits,_ZN12_GLOBAL__N_135rocblas_gemm_batched_general_kernelIDF16_Li16ELi16ELi32ELi32ELi8ELi32ELi8ELi8ELi32ELc67ELc84EKPKDF16_S3_KPDF16_EEvlllT_PT11_llS8_llS6_PT12_llPT13_lli,comdat
.Lfunc_end171:
	.size	_ZN12_GLOBAL__N_135rocblas_gemm_batched_general_kernelIDF16_Li16ELi16ELi32ELi32ELi8ELi32ELi8ELi8ELi32ELc67ELc84EKPKDF16_S3_KPDF16_EEvlllT_PT11_llS8_llS6_PT12_llPT13_lli, .Lfunc_end171-_ZN12_GLOBAL__N_135rocblas_gemm_batched_general_kernelIDF16_Li16ELi16ELi32ELi32ELi8ELi32ELi8ELi8ELi32ELc67ELc84EKPKDF16_S3_KPDF16_EEvlllT_PT11_llS8_llS6_PT12_llPT13_lli
                                        ; -- End function
	.set _ZN12_GLOBAL__N_135rocblas_gemm_batched_general_kernelIDF16_Li16ELi16ELi32ELi32ELi8ELi32ELi8ELi8ELi32ELc67ELc84EKPKDF16_S3_KPDF16_EEvlllT_PT11_llS8_llS6_PT12_llPT13_lli.num_vgpr, 30
	.set _ZN12_GLOBAL__N_135rocblas_gemm_batched_general_kernelIDF16_Li16ELi16ELi32ELi32ELi8ELi32ELi8ELi8ELi32ELc67ELc84EKPKDF16_S3_KPDF16_EEvlllT_PT11_llS8_llS6_PT12_llPT13_lli.num_agpr, 0
	.set _ZN12_GLOBAL__N_135rocblas_gemm_batched_general_kernelIDF16_Li16ELi16ELi32ELi32ELi8ELi32ELi8ELi8ELi32ELc67ELc84EKPKDF16_S3_KPDF16_EEvlllT_PT11_llS8_llS6_PT12_llPT13_lli.numbered_sgpr, 44
	.set _ZN12_GLOBAL__N_135rocblas_gemm_batched_general_kernelIDF16_Li16ELi16ELi32ELi32ELi8ELi32ELi8ELi8ELi32ELc67ELc84EKPKDF16_S3_KPDF16_EEvlllT_PT11_llS8_llS6_PT12_llPT13_lli.num_named_barrier, 0
	.set _ZN12_GLOBAL__N_135rocblas_gemm_batched_general_kernelIDF16_Li16ELi16ELi32ELi32ELi8ELi32ELi8ELi8ELi32ELc67ELc84EKPKDF16_S3_KPDF16_EEvlllT_PT11_llS8_llS6_PT12_llPT13_lli.private_seg_size, 0
	.set _ZN12_GLOBAL__N_135rocblas_gemm_batched_general_kernelIDF16_Li16ELi16ELi32ELi32ELi8ELi32ELi8ELi8ELi32ELc67ELc84EKPKDF16_S3_KPDF16_EEvlllT_PT11_llS8_llS6_PT12_llPT13_lli.uses_vcc, 1
	.set _ZN12_GLOBAL__N_135rocblas_gemm_batched_general_kernelIDF16_Li16ELi16ELi32ELi32ELi8ELi32ELi8ELi8ELi32ELc67ELc84EKPKDF16_S3_KPDF16_EEvlllT_PT11_llS8_llS6_PT12_llPT13_lli.uses_flat_scratch, 0
	.set _ZN12_GLOBAL__N_135rocblas_gemm_batched_general_kernelIDF16_Li16ELi16ELi32ELi32ELi8ELi32ELi8ELi8ELi32ELc67ELc84EKPKDF16_S3_KPDF16_EEvlllT_PT11_llS8_llS6_PT12_llPT13_lli.has_dyn_sized_stack, 0
	.set _ZN12_GLOBAL__N_135rocblas_gemm_batched_general_kernelIDF16_Li16ELi16ELi32ELi32ELi8ELi32ELi8ELi8ELi32ELc67ELc84EKPKDF16_S3_KPDF16_EEvlllT_PT11_llS8_llS6_PT12_llPT13_lli.has_recursion, 0
	.set _ZN12_GLOBAL__N_135rocblas_gemm_batched_general_kernelIDF16_Li16ELi16ELi32ELi32ELi8ELi32ELi8ELi8ELi32ELc67ELc84EKPKDF16_S3_KPDF16_EEvlllT_PT11_llS8_llS6_PT12_llPT13_lli.has_indirect_call, 0
	.section	.AMDGPU.csdata,"",@progbits
; Kernel info:
; codeLenInByte = 1956
; TotalNumSgprs: 46
; NumVgprs: 30
; ScratchSize: 0
; MemoryBound: 0
; FloatMode: 240
; IeeeMode: 1
; LDSByteSize: 1024 bytes/workgroup (compile time only)
; SGPRBlocks: 0
; VGPRBlocks: 3
; NumSGPRsForWavesPerEU: 46
; NumVGPRsForWavesPerEU: 30
; Occupancy: 16
; WaveLimiterHint : 1
; COMPUTE_PGM_RSRC2:SCRATCH_EN: 0
; COMPUTE_PGM_RSRC2:USER_SGPR: 6
; COMPUTE_PGM_RSRC2:TRAP_HANDLER: 0
; COMPUTE_PGM_RSRC2:TGID_X_EN: 1
; COMPUTE_PGM_RSRC2:TGID_Y_EN: 1
; COMPUTE_PGM_RSRC2:TGID_Z_EN: 1
; COMPUTE_PGM_RSRC2:TIDIG_COMP_CNT: 1
	.section	.text._ZN12_GLOBAL__N_135rocblas_gemm_batched_general_kernelIDF16_Li16ELi16ELi32ELi32ELi8ELi32ELi8ELi8ELi32ELc78ELc67EKPKDF16_S3_KPDF16_EEvlllT_PT11_llS8_llS6_PT12_llPT13_lli,"axG",@progbits,_ZN12_GLOBAL__N_135rocblas_gemm_batched_general_kernelIDF16_Li16ELi16ELi32ELi32ELi8ELi32ELi8ELi8ELi32ELc78ELc67EKPKDF16_S3_KPDF16_EEvlllT_PT11_llS8_llS6_PT12_llPT13_lli,comdat
	.globl	_ZN12_GLOBAL__N_135rocblas_gemm_batched_general_kernelIDF16_Li16ELi16ELi32ELi32ELi8ELi32ELi8ELi8ELi32ELc78ELc67EKPKDF16_S3_KPDF16_EEvlllT_PT11_llS8_llS6_PT12_llPT13_lli ; -- Begin function _ZN12_GLOBAL__N_135rocblas_gemm_batched_general_kernelIDF16_Li16ELi16ELi32ELi32ELi8ELi32ELi8ELi8ELi32ELc78ELc67EKPKDF16_S3_KPDF16_EEvlllT_PT11_llS8_llS6_PT12_llPT13_lli
	.p2align	8
	.type	_ZN12_GLOBAL__N_135rocblas_gemm_batched_general_kernelIDF16_Li16ELi16ELi32ELi32ELi8ELi32ELi8ELi8ELi32ELc78ELc67EKPKDF16_S3_KPDF16_EEvlllT_PT11_llS8_llS6_PT12_llPT13_lli,@function
_ZN12_GLOBAL__N_135rocblas_gemm_batched_general_kernelIDF16_Li16ELi16ELi32ELi32ELi8ELi32ELi8ELi8ELi32ELc78ELc67EKPKDF16_S3_KPDF16_EEvlllT_PT11_llS8_llS6_PT12_llPT13_lli: ; @_ZN12_GLOBAL__N_135rocblas_gemm_batched_general_kernelIDF16_Li16ELi16ELi32ELi32ELi8ELi32ELi8ELi8ELi32ELc78ELc67EKPKDF16_S3_KPDF16_EEvlllT_PT11_llS8_llS6_PT12_llPT13_lli
; %bb.0:
	s_clause 0x1
	s_load_dwordx8 s[12:19], s[4:5], 0x58
	s_load_dwordx2 s[34:35], s[4:5], 0x10
	s_mov_b32 s9, 0
	s_load_dwordx4 s[28:31], s[4:5], 0x0
	s_lshl_b64 s[44:45], s[8:9], 3
	s_load_dwordx4 s[8:11], s[4:5], 0x78
	s_mov_b32 s42, s7
	v_mov_b32_e32 v7, 0
	s_waitcnt lgkmcnt(0)
	s_add_u32 s0, s12, s44
	s_addc_u32 s1, s13, s45
	s_add_u32 s2, s18, s44
	s_addc_u32 s3, s19, s45
	s_load_dwordx2 s[12:13], s[0:1], 0x0
	s_load_dwordx2 s[2:3], s[2:3], 0x0
	v_cmp_lt_i64_e64 s0, s[34:35], 1
	s_ashr_i32 s7, s6, 31
	s_ashr_i32 s43, s42, 31
	s_lshl_b64 s[18:19], s[6:7], 5
	s_lshl_b64 s[40:41], s[42:43], 5
	s_and_b32 vcc_lo, exec_lo, s0
	s_cbranch_vccnz .LBB172_7
; %bb.1:
	s_clause 0x1
	s_load_dwordx4 s[36:39], s[4:5], 0x40
	s_load_dwordx8 s[20:27], s[4:5], 0x20
	v_lshlrev_b32_e32 v2, 4, v1
	v_and_b32_e32 v6, 7, v0
	v_mov_b32_e32 v3, s19
	v_lshlrev_b32_e32 v9, 1, v0
	v_add_nc_u32_e32 v4, v2, v0
	v_add_nc_u32_e32 v10, 0x200, v2
	v_lshlrev_b32_e32 v8, 1, v6
	v_lshrrev_b32_e32 v11, 5, v4
	v_and_b32_e32 v13, 31, v4
	v_lshrrev_b32_e32 v12, 3, v4
	v_or_b32_e32 v2, s18, v13
	v_add_co_u32 v4, s0, v12, s40
	s_waitcnt lgkmcnt(0)
	v_mad_u64_u32 v[14:15], null, s36, v6, 0
	v_mad_u64_u32 v[16:17], null, s22, v11, 0
	v_add_co_ci_u32_e64 v5, null, 0, s41, s0
	v_cmp_gt_i64_e64 s0, s[28:29], v[2:3]
	s_add_u32 s26, s26, s44
	v_mov_b32_e32 v2, v15
	v_cmp_gt_i64_e64 s1, s[30:31], v[4:5]
	v_mov_b32_e32 v3, v17
	s_addc_u32 s27, s27, s45
	s_add_u32 s20, s20, s44
	s_load_dwordx2 s[26:27], s[26:27], 0x0
	s_addc_u32 s21, s21, s45
	v_mad_u64_u32 v[4:5], null, s37, v6, v[2:3]
	s_load_dwordx2 s[20:21], s[20:21], 0x0
	s_lshl_b64 s[42:43], s[42:43], 6
	s_lshl_b64 s[38:39], s[38:39], 1
	v_lshlrev_b32_e32 v19, 1, v12
	s_add_u32 s33, s38, s42
	s_addc_u32 s42, s39, s43
	v_mad_u64_u32 v[2:3], null, s23, v11, v[3:4]
	v_mov_b32_e32 v15, v4
	s_lshl_b64 s[38:39], s[6:7], 6
	s_lshl_b64 s[24:25], s[24:25], 1
	;; [unrolled: 1-line block ×3, first 2 shown]
	s_add_u32 s24, s24, s38
	v_lshlrev_b32_e32 v18, 1, v13
	v_mov_b32_e32 v17, v2
	v_lshlrev_b64 v[2:3], 1, v[14:15]
	s_addc_u32 s25, s25, s39
	v_lshl_or_b32 v8, v12, 4, v8
	v_lshl_or_b32 v12, v11, 6, v18
	v_lshlrev_b64 v[4:5], 1, v[16:17]
	v_add_co_u32 v2, vcc_lo, s33, v2
	v_add_co_ci_u32_e64 v3, null, s42, v3, vcc_lo
	v_add_co_u32 v4, vcc_lo, s24, v4
	v_add_co_ci_u32_e64 v5, null, s25, v5, vcc_lo
	;; [unrolled: 2-line block ×4, first 2 shown]
	s_waitcnt lgkmcnt(0)
	v_add_co_u32 v2, vcc_lo, s26, v2
	v_add_co_ci_u32_e64 v3, null, s27, v3, vcc_lo
	v_add_co_u32 v4, vcc_lo, s20, v4
	v_add_nc_u32_e32 v13, 0x200, v8
	v_add_co_ci_u32_e64 v5, null, s21, v5, vcc_lo
	v_mov_b32_e32 v8, 0
	s_lshl_b64 s[20:21], s[22:23], 4
	s_mov_b64 s[22:23], 0
	s_branch .LBB172_3
.LBB172_2:                              ;   in Loop: Header=BB172_3 Depth=1
	s_or_b32 exec_lo, exec_lo, s24
	s_waitcnt vmcnt(0) lgkmcnt(0)
	ds_write_b16 v13, v14
	s_waitcnt lgkmcnt(0)
	s_barrier
	buffer_gl0_inv
	ds_read_u16 v22, v9
	ds_read_u16 v23, v9 offset:64
	ds_read_u16 v24, v9 offset:128
	;; [unrolled: 1-line block ×7, first 2 shown]
	s_add_u32 s22, s22, 8
	s_addc_u32 s23, s23, 0
	v_add_co_u32 v2, vcc_lo, v2, s6
	v_cmp_lt_i64_e64 s24, s[22:23], s[34:35]
	v_add_co_ci_u32_e64 v3, null, s7, v3, vcc_lo
	v_add_co_u32 v4, vcc_lo, v4, s20
	v_add_co_ci_u32_e64 v5, null, s21, v5, vcc_lo
	s_and_b32 vcc_lo, exec_lo, s24
	s_waitcnt lgkmcnt(7)
	ds_read_u16_d16_hi v22, v9 offset:32
	ds_read_b128 v[14:17], v10
	ds_read_b128 v[18:21], v10 offset:256
	s_waitcnt lgkmcnt(9)
	ds_read_u16_d16_hi v23, v9 offset:96
	s_waitcnt lgkmcnt(9)
	ds_read_u16_d16_hi v24, v9 offset:160
	;; [unrolled: 2-line block ×7, first 2 shown]
	s_waitcnt lgkmcnt(0)
	s_barrier
	buffer_gl0_inv
	v_pk_fma_f16 v7, v22, v14, v7 op_sel_hi:[1,0,1]
	v_pk_fma_f16 v8, v22, v18, v8 op_sel_hi:[1,0,1]
	v_pk_fma_f16 v7, v23, v14, v7 op_sel:[0,1,0]
	v_pk_fma_f16 v8, v23, v18, v8 op_sel:[0,1,0]
	v_pk_fma_f16 v7, v24, v15, v7 op_sel_hi:[1,0,1]
	v_pk_fma_f16 v8, v24, v19, v8 op_sel_hi:[1,0,1]
	v_pk_fma_f16 v7, v25, v15, v7 op_sel:[0,1,0]
	v_pk_fma_f16 v8, v25, v19, v8 op_sel:[0,1,0]
	;; [unrolled: 4-line block ×4, first 2 shown]
	s_cbranch_vccz .LBB172_8
.LBB172_3:                              ; =>This Inner Loop Header: Depth=1
	v_add_co_u32 v14, s24, v11, s22
	v_add_co_ci_u32_e64 v15, null, 0, s23, s24
	v_cmp_gt_i64_e32 vcc_lo, s[34:35], v[14:15]
	v_mov_b32_e32 v14, 0
	v_mov_b32_e32 v15, 0
	s_and_b32 s25, s0, vcc_lo
	s_and_saveexec_b32 s24, s25
	s_cbranch_execz .LBB172_5
; %bb.4:                                ;   in Loop: Header=BB172_3 Depth=1
	flat_load_ushort v15, v[4:5]
.LBB172_5:                              ;   in Loop: Header=BB172_3 Depth=1
	s_or_b32 exec_lo, exec_lo, s24
	v_add_co_u32 v16, s24, v6, s22
	v_add_co_ci_u32_e64 v17, null, 0, s23, s24
	s_waitcnt vmcnt(0) lgkmcnt(0)
	ds_write_b16 v12, v15
	v_cmp_gt_i64_e32 vcc_lo, s[34:35], v[16:17]
	s_and_b32 s25, vcc_lo, s1
	s_and_saveexec_b32 s24, s25
	s_cbranch_execz .LBB172_2
; %bb.6:                                ;   in Loop: Header=BB172_3 Depth=1
	flat_load_ushort v14, v[2:3]
	s_branch .LBB172_2
.LBB172_7:
	v_mov_b32_e32 v8, 0
.LBB172_8:
	s_clause 0x1
	s_load_dword s6, s[4:5], 0x50
	s_load_dword s4, s[4:5], 0x18
	v_add_co_u32 v1, s5, s40, v1
	v_add_co_ci_u32_e64 v2, null, s41, 0, s5
	s_lshl_b64 s[0:1], s[10:11], 1
	s_waitcnt lgkmcnt(0)
	s_add_u32 s5, s2, s0
	v_cmp_gt_i64_e64 s0, s[30:31], v[1:2]
	s_addc_u32 s3, s3, s1
	v_cmp_neq_f16_e64 s7, s6, 0
	s_and_b32 vcc_lo, exec_lo, s7
	s_cbranch_vccnz .LBB172_21
; %bb.9:
	s_and_saveexec_b32 s7, s0
	s_cbranch_execz .LBB172_19
; %bb.10:
	v_mul_lo_u32 v5, v2, s8
	v_mul_lo_u32 v6, v1, s9
	v_mad_u64_u32 v[3:4], null, v1, s8, 0
	v_add3_u32 v4, v4, v6, v5
	v_add_co_u32 v5, s1, s18, v0
	v_add_co_ci_u32_e64 v6, null, s19, 0, s1
	v_lshlrev_b64 v[9:10], 1, v[3:4]
	v_cmp_gt_i64_e32 vcc_lo, s[28:29], v[5:6]
	v_lshlrev_b64 v[3:4], 1, v[5:6]
	v_add_co_u32 v9, s1, s5, v9
	v_add_co_ci_u32_e64 v10, null, s3, v10, s1
	s_and_saveexec_b32 s2, vcc_lo
	s_cbranch_execz .LBB172_12
; %bb.11:
	v_add_co_u32 v11, s1, v9, v3
	v_add_co_ci_u32_e64 v12, null, v10, v4, s1
	v_mul_f16_e32 v13, s4, v7
	flat_store_short v[11:12], v13
.LBB172_12:
	s_or_b32 exec_lo, exec_lo, s2
	v_add_co_u32 v5, s1, v5, 16
	v_add_co_ci_u32_e64 v6, null, 0, v6, s1
	v_cmp_gt_i64_e64 s1, s[28:29], v[5:6]
	s_and_saveexec_b32 s10, s1
	s_cbranch_execz .LBB172_14
; %bb.13:
	v_add_co_u32 v5, s2, v9, v3
	v_add_co_ci_u32_e64 v6, null, v10, v4, s2
	v_mul_f16_sdwa v11, s4, v7 dst_sel:DWORD dst_unused:UNUSED_PAD src0_sel:DWORD src1_sel:WORD_1
	flat_store_short v[5:6], v11 offset:32
.LBB172_14:
	s_or_b32 exec_lo, exec_lo, s10
	v_add_co_u32 v5, s2, v1, 16
	v_add_co_ci_u32_e64 v6, null, 0, v2, s2
	v_cmp_gt_i64_e64 s2, s[30:31], v[5:6]
	s_and_b32 exec_lo, exec_lo, s2
	s_cbranch_execz .LBB172_19
; %bb.15:
	s_lshl_b64 s[10:11], s[8:9], 5
	v_add_co_u32 v5, s2, v9, s10
	v_add_co_ci_u32_e64 v6, null, s11, v10, s2
	v_add_co_u32 v3, s2, v5, v3
	v_add_co_ci_u32_e64 v4, null, v6, v4, s2
	s_and_saveexec_b32 s2, vcc_lo
	s_cbranch_execz .LBB172_17
; %bb.16:
	v_mul_f16_e32 v5, s4, v8
	flat_store_short v[3:4], v5
.LBB172_17:
	s_or_b32 exec_lo, exec_lo, s2
	s_and_b32 exec_lo, exec_lo, s1
	s_cbranch_execz .LBB172_19
; %bb.18:
	v_mul_f16_sdwa v5, s4, v8 dst_sel:DWORD dst_unused:UNUSED_PAD src0_sel:DWORD src1_sel:WORD_1
	flat_store_short v[3:4], v5 offset:32
.LBB172_19:
	s_or_b32 exec_lo, exec_lo, s7
	s_cbranch_execz .LBB172_22
.LBB172_20:
	s_endpgm
.LBB172_21:
.LBB172_22:
	s_and_saveexec_b32 s1, s0
	s_cbranch_execz .LBB172_20
; %bb.23:
	v_mul_lo_u32 v5, v2, s14
	v_mul_lo_u32 v6, v1, s15
	v_mad_u64_u32 v[3:4], null, v1, s14, 0
	v_mul_lo_u32 v11, v2, s8
	v_mul_lo_u32 v12, v1, s9
	v_mad_u64_u32 v[9:10], null, v1, s8, 0
	s_lshl_b64 s[0:1], s[16:17], 1
	v_add3_u32 v4, v4, v6, v5
	v_add_co_u32 v5, s2, s18, v0
	v_add_co_ci_u32_e64 v6, null, s19, 0, s2
	v_add3_u32 v10, v10, v12, v11
	v_lshlrev_b64 v[3:4], 1, v[3:4]
	s_add_u32 s0, s12, s0
	s_addc_u32 s1, s13, s1
	v_cmp_gt_i64_e32 vcc_lo, s[28:29], v[5:6]
	v_lshlrev_b64 v[10:11], 1, v[9:10]
	v_add_co_u32 v0, s0, s0, v3
	v_add_co_ci_u32_e64 v9, null, s1, v4, s0
	v_add_co_u32 v10, s0, s5, v10
	v_lshlrev_b64 v[3:4], 1, v[5:6]
	v_add_co_ci_u32_e64 v11, null, s3, v11, s0
	s_and_saveexec_b32 s1, vcc_lo
	s_cbranch_execz .LBB172_25
; %bb.24:
	v_add_co_u32 v12, s0, v0, v3
	v_add_co_ci_u32_e64 v13, null, v9, v4, s0
	flat_load_ushort v12, v[12:13]
	s_waitcnt vmcnt(0) lgkmcnt(0)
	v_mul_f16_e32 v14, s6, v12
	v_add_co_u32 v12, s0, v10, v3
	v_add_co_ci_u32_e64 v13, null, v11, v4, s0
	v_fmac_f16_e32 v14, s4, v7
	flat_store_short v[12:13], v14
.LBB172_25:
	s_or_b32 exec_lo, exec_lo, s1
	v_add_co_u32 v5, s0, v5, 16
	v_add_co_ci_u32_e64 v6, null, 0, v6, s0
	v_cmp_gt_i64_e64 s0, s[28:29], v[5:6]
	s_and_saveexec_b32 s2, s0
	s_cbranch_execz .LBB172_27
; %bb.26:
	v_add_co_u32 v5, s1, v0, v3
	v_add_co_ci_u32_e64 v6, null, v9, v4, s1
	flat_load_ushort v5, v[5:6] offset:32
	v_lshrrev_b32_e32 v6, 16, v7
	s_waitcnt vmcnt(0) lgkmcnt(0)
	v_mul_f16_e32 v7, s6, v5
	v_add_co_u32 v5, s1, v10, v3
	v_fmac_f16_e32 v7, s4, v6
	v_add_co_ci_u32_e64 v6, null, v11, v4, s1
	flat_store_short v[5:6], v7 offset:32
.LBB172_27:
	s_or_b32 exec_lo, exec_lo, s2
	v_add_co_u32 v1, s1, v1, 16
	v_add_co_ci_u32_e64 v2, null, 0, v2, s1
	v_cmp_gt_i64_e64 s1, s[30:31], v[1:2]
	s_and_b32 exec_lo, exec_lo, s1
	s_cbranch_execz .LBB172_20
; %bb.28:
	s_lshl_b64 s[2:3], s[14:15], 5
	v_add_co_u32 v0, s1, v0, s2
	v_add_co_ci_u32_e64 v1, null, s3, v9, s1
	s_lshl_b64 s[2:3], s[8:9], 5
	v_add_co_u32 v2, s1, v10, s2
	v_add_co_ci_u32_e64 v7, null, s3, v11, s1
	v_add_co_u32 v5, s1, v0, v3
	v_add_co_ci_u32_e64 v6, null, v1, v4, s1
	;; [unrolled: 2-line block ×3, first 2 shown]
	s_and_saveexec_b32 s1, vcc_lo
	s_cbranch_execz .LBB172_30
; %bb.29:
	flat_load_ushort v2, v[5:6]
	s_waitcnt vmcnt(0) lgkmcnt(0)
	v_mul_f16_e32 v2, s6, v2
	v_fmac_f16_e32 v2, s4, v8
	flat_store_short v[0:1], v2
.LBB172_30:
	s_or_b32 exec_lo, exec_lo, s1
	s_and_b32 exec_lo, exec_lo, s0
	s_cbranch_execz .LBB172_20
; %bb.31:
	flat_load_ushort v2, v[5:6] offset:32
	v_lshrrev_b32_e32 v3, 16, v8
	s_waitcnt vmcnt(0) lgkmcnt(0)
	v_mul_f16_e32 v2, s6, v2
	v_fmac_f16_e32 v2, s4, v3
	flat_store_short v[0:1], v2 offset:32
	s_endpgm
	.section	.rodata,"a",@progbits
	.p2align	6, 0x0
	.amdhsa_kernel _ZN12_GLOBAL__N_135rocblas_gemm_batched_general_kernelIDF16_Li16ELi16ELi32ELi32ELi8ELi32ELi8ELi8ELi32ELc78ELc67EKPKDF16_S3_KPDF16_EEvlllT_PT11_llS8_llS6_PT12_llPT13_lli
		.amdhsa_group_segment_fixed_size 1024
		.amdhsa_private_segment_fixed_size 0
		.amdhsa_kernarg_size 140
		.amdhsa_user_sgpr_count 6
		.amdhsa_user_sgpr_private_segment_buffer 1
		.amdhsa_user_sgpr_dispatch_ptr 0
		.amdhsa_user_sgpr_queue_ptr 0
		.amdhsa_user_sgpr_kernarg_segment_ptr 1
		.amdhsa_user_sgpr_dispatch_id 0
		.amdhsa_user_sgpr_flat_scratch_init 0
		.amdhsa_user_sgpr_private_segment_size 0
		.amdhsa_wavefront_size32 1
		.amdhsa_uses_dynamic_stack 0
		.amdhsa_system_sgpr_private_segment_wavefront_offset 0
		.amdhsa_system_sgpr_workgroup_id_x 1
		.amdhsa_system_sgpr_workgroup_id_y 1
		.amdhsa_system_sgpr_workgroup_id_z 1
		.amdhsa_system_sgpr_workgroup_info 0
		.amdhsa_system_vgpr_workitem_id 1
		.amdhsa_next_free_vgpr 30
		.amdhsa_next_free_sgpr 46
		.amdhsa_reserve_vcc 1
		.amdhsa_reserve_flat_scratch 0
		.amdhsa_float_round_mode_32 0
		.amdhsa_float_round_mode_16_64 0
		.amdhsa_float_denorm_mode_32 3
		.amdhsa_float_denorm_mode_16_64 3
		.amdhsa_dx10_clamp 1
		.amdhsa_ieee_mode 1
		.amdhsa_fp16_overflow 0
		.amdhsa_workgroup_processor_mode 1
		.amdhsa_memory_ordered 1
		.amdhsa_forward_progress 1
		.amdhsa_shared_vgpr_count 0
		.amdhsa_exception_fp_ieee_invalid_op 0
		.amdhsa_exception_fp_denorm_src 0
		.amdhsa_exception_fp_ieee_div_zero 0
		.amdhsa_exception_fp_ieee_overflow 0
		.amdhsa_exception_fp_ieee_underflow 0
		.amdhsa_exception_fp_ieee_inexact 0
		.amdhsa_exception_int_div_zero 0
	.end_amdhsa_kernel
	.section	.text._ZN12_GLOBAL__N_135rocblas_gemm_batched_general_kernelIDF16_Li16ELi16ELi32ELi32ELi8ELi32ELi8ELi8ELi32ELc78ELc67EKPKDF16_S3_KPDF16_EEvlllT_PT11_llS8_llS6_PT12_llPT13_lli,"axG",@progbits,_ZN12_GLOBAL__N_135rocblas_gemm_batched_general_kernelIDF16_Li16ELi16ELi32ELi32ELi8ELi32ELi8ELi8ELi32ELc78ELc67EKPKDF16_S3_KPDF16_EEvlllT_PT11_llS8_llS6_PT12_llPT13_lli,comdat
.Lfunc_end172:
	.size	_ZN12_GLOBAL__N_135rocblas_gemm_batched_general_kernelIDF16_Li16ELi16ELi32ELi32ELi8ELi32ELi8ELi8ELi32ELc78ELc67EKPKDF16_S3_KPDF16_EEvlllT_PT11_llS8_llS6_PT12_llPT13_lli, .Lfunc_end172-_ZN12_GLOBAL__N_135rocblas_gemm_batched_general_kernelIDF16_Li16ELi16ELi32ELi32ELi8ELi32ELi8ELi8ELi32ELc78ELc67EKPKDF16_S3_KPDF16_EEvlllT_PT11_llS8_llS6_PT12_llPT13_lli
                                        ; -- End function
	.set _ZN12_GLOBAL__N_135rocblas_gemm_batched_general_kernelIDF16_Li16ELi16ELi32ELi32ELi8ELi32ELi8ELi8ELi32ELc78ELc67EKPKDF16_S3_KPDF16_EEvlllT_PT11_llS8_llS6_PT12_llPT13_lli.num_vgpr, 30
	.set _ZN12_GLOBAL__N_135rocblas_gemm_batched_general_kernelIDF16_Li16ELi16ELi32ELi32ELi8ELi32ELi8ELi8ELi32ELc78ELc67EKPKDF16_S3_KPDF16_EEvlllT_PT11_llS8_llS6_PT12_llPT13_lli.num_agpr, 0
	.set _ZN12_GLOBAL__N_135rocblas_gemm_batched_general_kernelIDF16_Li16ELi16ELi32ELi32ELi8ELi32ELi8ELi8ELi32ELc78ELc67EKPKDF16_S3_KPDF16_EEvlllT_PT11_llS8_llS6_PT12_llPT13_lli.numbered_sgpr, 46
	.set _ZN12_GLOBAL__N_135rocblas_gemm_batched_general_kernelIDF16_Li16ELi16ELi32ELi32ELi8ELi32ELi8ELi8ELi32ELc78ELc67EKPKDF16_S3_KPDF16_EEvlllT_PT11_llS8_llS6_PT12_llPT13_lli.num_named_barrier, 0
	.set _ZN12_GLOBAL__N_135rocblas_gemm_batched_general_kernelIDF16_Li16ELi16ELi32ELi32ELi8ELi32ELi8ELi8ELi32ELc78ELc67EKPKDF16_S3_KPDF16_EEvlllT_PT11_llS8_llS6_PT12_llPT13_lli.private_seg_size, 0
	.set _ZN12_GLOBAL__N_135rocblas_gemm_batched_general_kernelIDF16_Li16ELi16ELi32ELi32ELi8ELi32ELi8ELi8ELi32ELc78ELc67EKPKDF16_S3_KPDF16_EEvlllT_PT11_llS8_llS6_PT12_llPT13_lli.uses_vcc, 1
	.set _ZN12_GLOBAL__N_135rocblas_gemm_batched_general_kernelIDF16_Li16ELi16ELi32ELi32ELi8ELi32ELi8ELi8ELi32ELc78ELc67EKPKDF16_S3_KPDF16_EEvlllT_PT11_llS8_llS6_PT12_llPT13_lli.uses_flat_scratch, 0
	.set _ZN12_GLOBAL__N_135rocblas_gemm_batched_general_kernelIDF16_Li16ELi16ELi32ELi32ELi8ELi32ELi8ELi8ELi32ELc78ELc67EKPKDF16_S3_KPDF16_EEvlllT_PT11_llS8_llS6_PT12_llPT13_lli.has_dyn_sized_stack, 0
	.set _ZN12_GLOBAL__N_135rocblas_gemm_batched_general_kernelIDF16_Li16ELi16ELi32ELi32ELi8ELi32ELi8ELi8ELi32ELc78ELc67EKPKDF16_S3_KPDF16_EEvlllT_PT11_llS8_llS6_PT12_llPT13_lli.has_recursion, 0
	.set _ZN12_GLOBAL__N_135rocblas_gemm_batched_general_kernelIDF16_Li16ELi16ELi32ELi32ELi8ELi32ELi8ELi8ELi32ELc78ELc67EKPKDF16_S3_KPDF16_EEvlllT_PT11_llS8_llS6_PT12_llPT13_lli.has_indirect_call, 0
	.section	.AMDGPU.csdata,"",@progbits
; Kernel info:
; codeLenInByte = 1948
; TotalNumSgprs: 48
; NumVgprs: 30
; ScratchSize: 0
; MemoryBound: 0
; FloatMode: 240
; IeeeMode: 1
; LDSByteSize: 1024 bytes/workgroup (compile time only)
; SGPRBlocks: 0
; VGPRBlocks: 3
; NumSGPRsForWavesPerEU: 48
; NumVGPRsForWavesPerEU: 30
; Occupancy: 16
; WaveLimiterHint : 1
; COMPUTE_PGM_RSRC2:SCRATCH_EN: 0
; COMPUTE_PGM_RSRC2:USER_SGPR: 6
; COMPUTE_PGM_RSRC2:TRAP_HANDLER: 0
; COMPUTE_PGM_RSRC2:TGID_X_EN: 1
; COMPUTE_PGM_RSRC2:TGID_Y_EN: 1
; COMPUTE_PGM_RSRC2:TGID_Z_EN: 1
; COMPUTE_PGM_RSRC2:TIDIG_COMP_CNT: 1
	.section	.text._ZN12_GLOBAL__N_135rocblas_gemm_batched_general_kernelIDF16_Li16ELi16ELi32ELi32ELi8ELi32ELi8ELi8ELi32ELc84ELc67EKPKDF16_S3_KPDF16_EEvlllT_PT11_llS8_llS6_PT12_llPT13_lli,"axG",@progbits,_ZN12_GLOBAL__N_135rocblas_gemm_batched_general_kernelIDF16_Li16ELi16ELi32ELi32ELi8ELi32ELi8ELi8ELi32ELc84ELc67EKPKDF16_S3_KPDF16_EEvlllT_PT11_llS8_llS6_PT12_llPT13_lli,comdat
	.globl	_ZN12_GLOBAL__N_135rocblas_gemm_batched_general_kernelIDF16_Li16ELi16ELi32ELi32ELi8ELi32ELi8ELi8ELi32ELc84ELc67EKPKDF16_S3_KPDF16_EEvlllT_PT11_llS8_llS6_PT12_llPT13_lli ; -- Begin function _ZN12_GLOBAL__N_135rocblas_gemm_batched_general_kernelIDF16_Li16ELi16ELi32ELi32ELi8ELi32ELi8ELi8ELi32ELc84ELc67EKPKDF16_S3_KPDF16_EEvlllT_PT11_llS8_llS6_PT12_llPT13_lli
	.p2align	8
	.type	_ZN12_GLOBAL__N_135rocblas_gemm_batched_general_kernelIDF16_Li16ELi16ELi32ELi32ELi8ELi32ELi8ELi8ELi32ELc84ELc67EKPKDF16_S3_KPDF16_EEvlllT_PT11_llS8_llS6_PT12_llPT13_lli,@function
_ZN12_GLOBAL__N_135rocblas_gemm_batched_general_kernelIDF16_Li16ELi16ELi32ELi32ELi8ELi32ELi8ELi8ELi32ELc84ELc67EKPKDF16_S3_KPDF16_EEvlllT_PT11_llS8_llS6_PT12_llPT13_lli: ; @_ZN12_GLOBAL__N_135rocblas_gemm_batched_general_kernelIDF16_Li16ELi16ELi32ELi32ELi8ELi32ELi8ELi8ELi32ELc84ELc67EKPKDF16_S3_KPDF16_EEvlllT_PT11_llS8_llS6_PT12_llPT13_lli
; %bb.0:
	s_clause 0x1
	s_load_dwordx8 s[12:19], s[4:5], 0x58
	s_load_dwordx2 s[34:35], s[4:5], 0x10
	s_mov_b32 s9, 0
	s_load_dwordx4 s[28:31], s[4:5], 0x0
	s_lshl_b64 s[42:43], s[8:9], 3
	s_load_dwordx4 s[8:11], s[4:5], 0x78
	s_mov_b32 s40, s7
	v_mov_b32_e32 v7, 0
	s_waitcnt lgkmcnt(0)
	s_add_u32 s0, s12, s42
	s_addc_u32 s1, s13, s43
	s_add_u32 s2, s18, s42
	s_addc_u32 s3, s19, s43
	s_load_dwordx2 s[12:13], s[0:1], 0x0
	s_load_dwordx2 s[2:3], s[2:3], 0x0
	v_cmp_lt_i64_e64 s0, s[34:35], 1
	s_ashr_i32 s7, s6, 31
	s_ashr_i32 s41, s40, 31
	s_lshl_b64 s[6:7], s[6:7], 5
	s_lshl_b64 s[18:19], s[40:41], 5
	s_and_b32 vcc_lo, exec_lo, s0
	s_cbranch_vccnz .LBB173_7
; %bb.1:
	s_load_dwordx4 s[36:39], s[4:5], 0x40
	v_lshlrev_b32_e32 v2, 4, v1
	v_and_b32_e32 v6, 7, v0
	s_load_dwordx8 s[20:27], s[4:5], 0x20
	v_mov_b32_e32 v3, s7
	v_lshlrev_b32_e32 v9, 1, v0
	v_add_nc_u32_e32 v4, v2, v0
	v_add_nc_u32_e32 v10, 0x200, v2
	v_lshlrev_b32_e32 v8, 1, v6
	v_and_b32_e32 v12, 31, v4
	v_lshrrev_b32_e32 v16, 3, v4
	v_lshrrev_b32_e32 v11, 5, v4
	v_or_b32_e32 v2, s6, v12
	v_add_co_u32 v4, s0, v16, s18
	v_add_co_ci_u32_e64 v5, null, 0, s19, s0
	s_waitcnt lgkmcnt(0)
	v_mad_u64_u32 v[14:15], null, s36, v6, 0
	v_add_co_u32 v17, s0, s6, v12
	v_add_co_ci_u32_e64 v18, null, s7, 0, s0
	v_cmp_gt_i64_e64 s0, s[28:29], v[2:3]
	v_lshlrev_b32_e32 v13, 1, v12
	v_mov_b32_e32 v2, v15
	v_lshl_or_b32 v8, v16, 4, v8
	v_cmp_gt_i64_e64 s1, s[30:31], v[4:5]
	v_mul_lo_u32 v5, s23, v17
	v_lshl_or_b32 v12, v11, 6, v13
	v_mad_u64_u32 v[2:3], null, s37, v6, v[2:3]
	v_add_nc_u32_e32 v13, 0x200, v8
	v_mul_lo_u32 v8, s22, v18
	v_mad_u64_u32 v[3:4], null, s22, v17, 0
	s_add_u32 s26, s26, s42
	s_addc_u32 s27, s27, s43
	s_add_u32 s20, s20, s42
	v_mov_b32_e32 v15, v2
	s_load_dwordx2 s[22:23], s[26:27], 0x0
	s_addc_u32 s21, s21, s43
	v_add3_u32 v4, v4, v8, v5
	s_load_dwordx2 s[20:21], s[20:21], 0x0
	v_lshlrev_b64 v[14:15], 1, v[14:15]
	s_lshl_b64 s[26:27], s[40:41], 6
	s_lshl_b64 s[38:39], s[38:39], 1
	v_lshlrev_b64 v[2:3], 1, v[3:4]
	s_add_u32 s26, s38, s26
	s_addc_u32 s27, s39, s27
	v_add_co_u32 v4, vcc_lo, s26, v14
	v_lshlrev_b32_e32 v8, 1, v16
	s_lshl_b64 s[24:25], s[24:25], 1
	v_add_co_ci_u32_e64 v5, null, s27, v15, vcc_lo
	v_add_co_u32 v2, vcc_lo, v2, s24
	v_lshlrev_b32_e32 v14, 1, v11
	v_add_co_ci_u32_e64 v3, null, s25, v3, vcc_lo
	v_add_co_u32 v4, vcc_lo, v4, v8
	v_add_co_ci_u32_e64 v5, null, 0, v5, vcc_lo
	v_add_co_u32 v8, vcc_lo, v2, v14
	v_add_co_ci_u32_e64 v14, null, 0, v3, vcc_lo
	s_waitcnt lgkmcnt(0)
	v_add_co_u32 v2, vcc_lo, s22, v4
	v_add_co_ci_u32_e64 v3, null, s23, v5, vcc_lo
	v_add_co_u32 v4, vcc_lo, s20, v8
	v_add_co_ci_u32_e64 v5, null, s21, v14, vcc_lo
	v_mov_b32_e32 v8, 0
	s_lshl_b64 s[20:21], s[36:37], 4
	s_mov_b64 s[22:23], 0
	s_branch .LBB173_3
.LBB173_2:                              ;   in Loop: Header=BB173_3 Depth=1
	s_or_b32 exec_lo, exec_lo, s24
	s_waitcnt vmcnt(0) lgkmcnt(0)
	ds_write_b16 v13, v14
	s_waitcnt lgkmcnt(0)
	s_barrier
	buffer_gl0_inv
	ds_read_u16 v22, v9
	ds_read_u16 v23, v9 offset:64
	ds_read_u16 v24, v9 offset:128
	ds_read_u16 v25, v9 offset:192
	ds_read_u16 v26, v9 offset:256
	ds_read_u16 v27, v9 offset:320
	ds_read_u16 v28, v9 offset:384
	ds_read_u16 v29, v9 offset:448
	s_add_u32 s22, s22, 8
	s_addc_u32 s23, s23, 0
	v_add_co_u32 v2, vcc_lo, v2, s20
	v_cmp_lt_i64_e64 s24, s[22:23], s[34:35]
	v_add_co_ci_u32_e64 v3, null, s21, v3, vcc_lo
	v_add_co_u32 v4, vcc_lo, v4, 16
	v_add_co_ci_u32_e64 v5, null, 0, v5, vcc_lo
	s_and_b32 vcc_lo, exec_lo, s24
	s_waitcnt lgkmcnt(7)
	ds_read_u16_d16_hi v22, v9 offset:32
	ds_read_b128 v[14:17], v10
	ds_read_b128 v[18:21], v10 offset:256
	s_waitcnt lgkmcnt(9)
	ds_read_u16_d16_hi v23, v9 offset:96
	s_waitcnt lgkmcnt(9)
	ds_read_u16_d16_hi v24, v9 offset:160
	;; [unrolled: 2-line block ×7, first 2 shown]
	s_waitcnt lgkmcnt(0)
	s_barrier
	buffer_gl0_inv
	v_pk_fma_f16 v7, v22, v14, v7 op_sel_hi:[1,0,1]
	v_pk_fma_f16 v8, v22, v18, v8 op_sel_hi:[1,0,1]
	v_pk_fma_f16 v7, v23, v14, v7 op_sel:[0,1,0]
	v_pk_fma_f16 v8, v23, v18, v8 op_sel:[0,1,0]
	v_pk_fma_f16 v7, v24, v15, v7 op_sel_hi:[1,0,1]
	v_pk_fma_f16 v8, v24, v19, v8 op_sel_hi:[1,0,1]
	v_pk_fma_f16 v7, v25, v15, v7 op_sel:[0,1,0]
	v_pk_fma_f16 v8, v25, v19, v8 op_sel:[0,1,0]
	;; [unrolled: 4-line block ×4, first 2 shown]
	s_cbranch_vccz .LBB173_8
.LBB173_3:                              ; =>This Inner Loop Header: Depth=1
	v_add_co_u32 v14, s24, v11, s22
	v_add_co_ci_u32_e64 v15, null, 0, s23, s24
	v_cmp_gt_i64_e32 vcc_lo, s[34:35], v[14:15]
	v_mov_b32_e32 v14, 0
	v_mov_b32_e32 v15, 0
	s_and_b32 s25, s0, vcc_lo
	s_and_saveexec_b32 s24, s25
	s_cbranch_execz .LBB173_5
; %bb.4:                                ;   in Loop: Header=BB173_3 Depth=1
	flat_load_ushort v15, v[4:5]
.LBB173_5:                              ;   in Loop: Header=BB173_3 Depth=1
	s_or_b32 exec_lo, exec_lo, s24
	v_add_co_u32 v16, s24, v6, s22
	v_add_co_ci_u32_e64 v17, null, 0, s23, s24
	s_waitcnt vmcnt(0) lgkmcnt(0)
	ds_write_b16 v12, v15
	v_cmp_gt_i64_e32 vcc_lo, s[34:35], v[16:17]
	s_and_b32 s25, vcc_lo, s1
	s_and_saveexec_b32 s24, s25
	s_cbranch_execz .LBB173_2
; %bb.6:                                ;   in Loop: Header=BB173_3 Depth=1
	flat_load_ushort v14, v[2:3]
	s_branch .LBB173_2
.LBB173_7:
	v_mov_b32_e32 v8, 0
.LBB173_8:
	s_clause 0x1
	s_load_dword s20, s[4:5], 0x50
	s_load_dword s4, s[4:5], 0x18
	v_add_co_u32 v1, s5, s18, v1
	v_add_co_ci_u32_e64 v2, null, s19, 0, s5
	s_lshl_b64 s[0:1], s[10:11], 1
	s_waitcnt lgkmcnt(0)
	s_add_u32 s5, s2, s0
	v_cmp_gt_i64_e64 s0, s[30:31], v[1:2]
	s_addc_u32 s3, s3, s1
	v_cmp_neq_f16_e64 s10, s20, 0
	s_and_b32 vcc_lo, exec_lo, s10
	s_cbranch_vccnz .LBB173_21
; %bb.9:
	s_and_saveexec_b32 s10, s0
	s_cbranch_execz .LBB173_19
; %bb.10:
	v_mul_lo_u32 v5, v2, s8
	v_mul_lo_u32 v6, v1, s9
	v_mad_u64_u32 v[3:4], null, v1, s8, 0
	v_add3_u32 v4, v4, v6, v5
	v_add_co_u32 v5, s1, s6, v0
	v_add_co_ci_u32_e64 v6, null, s7, 0, s1
	v_lshlrev_b64 v[9:10], 1, v[3:4]
	v_cmp_gt_i64_e32 vcc_lo, s[28:29], v[5:6]
	v_lshlrev_b64 v[3:4], 1, v[5:6]
	v_add_co_u32 v9, s1, s5, v9
	v_add_co_ci_u32_e64 v10, null, s3, v10, s1
	s_and_saveexec_b32 s2, vcc_lo
	s_cbranch_execz .LBB173_12
; %bb.11:
	v_add_co_u32 v11, s1, v9, v3
	v_add_co_ci_u32_e64 v12, null, v10, v4, s1
	v_mul_f16_e32 v13, s4, v7
	flat_store_short v[11:12], v13
.LBB173_12:
	s_or_b32 exec_lo, exec_lo, s2
	v_add_co_u32 v5, s1, v5, 16
	v_add_co_ci_u32_e64 v6, null, 0, v6, s1
	v_cmp_gt_i64_e64 s1, s[28:29], v[5:6]
	s_and_saveexec_b32 s11, s1
	s_cbranch_execz .LBB173_14
; %bb.13:
	v_add_co_u32 v5, s2, v9, v3
	v_add_co_ci_u32_e64 v6, null, v10, v4, s2
	v_mul_f16_sdwa v11, s4, v7 dst_sel:DWORD dst_unused:UNUSED_PAD src0_sel:DWORD src1_sel:WORD_1
	flat_store_short v[5:6], v11 offset:32
.LBB173_14:
	s_or_b32 exec_lo, exec_lo, s11
	v_add_co_u32 v5, s2, v1, 16
	v_add_co_ci_u32_e64 v6, null, 0, v2, s2
	v_cmp_gt_i64_e64 s2, s[30:31], v[5:6]
	s_and_b32 exec_lo, exec_lo, s2
	s_cbranch_execz .LBB173_19
; %bb.15:
	s_lshl_b64 s[18:19], s[8:9], 5
	v_add_co_u32 v5, s2, v9, s18
	v_add_co_ci_u32_e64 v6, null, s19, v10, s2
	v_add_co_u32 v3, s2, v5, v3
	v_add_co_ci_u32_e64 v4, null, v6, v4, s2
	s_and_saveexec_b32 s2, vcc_lo
	s_cbranch_execz .LBB173_17
; %bb.16:
	v_mul_f16_e32 v5, s4, v8
	flat_store_short v[3:4], v5
.LBB173_17:
	s_or_b32 exec_lo, exec_lo, s2
	s_and_b32 exec_lo, exec_lo, s1
	s_cbranch_execz .LBB173_19
; %bb.18:
	v_mul_f16_sdwa v5, s4, v8 dst_sel:DWORD dst_unused:UNUSED_PAD src0_sel:DWORD src1_sel:WORD_1
	flat_store_short v[3:4], v5 offset:32
.LBB173_19:
	s_or_b32 exec_lo, exec_lo, s10
	s_cbranch_execz .LBB173_22
.LBB173_20:
	s_endpgm
.LBB173_21:
.LBB173_22:
	s_and_saveexec_b32 s1, s0
	s_cbranch_execz .LBB173_20
; %bb.23:
	v_mul_lo_u32 v5, v2, s14
	v_mul_lo_u32 v6, v1, s15
	v_mad_u64_u32 v[3:4], null, v1, s14, 0
	v_mul_lo_u32 v11, v2, s8
	v_mul_lo_u32 v12, v1, s9
	v_mad_u64_u32 v[9:10], null, v1, s8, 0
	s_lshl_b64 s[0:1], s[16:17], 1
	v_add3_u32 v4, v4, v6, v5
	v_add_co_u32 v5, s2, s6, v0
	v_add_co_ci_u32_e64 v6, null, s7, 0, s2
	v_add3_u32 v10, v10, v12, v11
	v_lshlrev_b64 v[3:4], 1, v[3:4]
	s_add_u32 s0, s12, s0
	s_addc_u32 s1, s13, s1
	v_cmp_gt_i64_e32 vcc_lo, s[28:29], v[5:6]
	v_lshlrev_b64 v[10:11], 1, v[9:10]
	v_add_co_u32 v0, s0, s0, v3
	v_add_co_ci_u32_e64 v9, null, s1, v4, s0
	v_add_co_u32 v10, s0, s5, v10
	v_lshlrev_b64 v[3:4], 1, v[5:6]
	v_add_co_ci_u32_e64 v11, null, s3, v11, s0
	s_and_saveexec_b32 s1, vcc_lo
	s_cbranch_execz .LBB173_25
; %bb.24:
	v_add_co_u32 v12, s0, v0, v3
	v_add_co_ci_u32_e64 v13, null, v9, v4, s0
	flat_load_ushort v12, v[12:13]
	s_waitcnt vmcnt(0) lgkmcnt(0)
	v_mul_f16_e32 v14, s20, v12
	v_add_co_u32 v12, s0, v10, v3
	v_add_co_ci_u32_e64 v13, null, v11, v4, s0
	v_fmac_f16_e32 v14, s4, v7
	flat_store_short v[12:13], v14
.LBB173_25:
	s_or_b32 exec_lo, exec_lo, s1
	v_add_co_u32 v5, s0, v5, 16
	v_add_co_ci_u32_e64 v6, null, 0, v6, s0
	v_cmp_gt_i64_e64 s0, s[28:29], v[5:6]
	s_and_saveexec_b32 s2, s0
	s_cbranch_execz .LBB173_27
; %bb.26:
	v_add_co_u32 v5, s1, v0, v3
	v_add_co_ci_u32_e64 v6, null, v9, v4, s1
	flat_load_ushort v5, v[5:6] offset:32
	v_lshrrev_b32_e32 v6, 16, v7
	s_waitcnt vmcnt(0) lgkmcnt(0)
	v_mul_f16_e32 v7, s20, v5
	v_add_co_u32 v5, s1, v10, v3
	v_fmac_f16_e32 v7, s4, v6
	v_add_co_ci_u32_e64 v6, null, v11, v4, s1
	flat_store_short v[5:6], v7 offset:32
.LBB173_27:
	s_or_b32 exec_lo, exec_lo, s2
	v_add_co_u32 v1, s1, v1, 16
	v_add_co_ci_u32_e64 v2, null, 0, v2, s1
	v_cmp_gt_i64_e64 s1, s[30:31], v[1:2]
	s_and_b32 exec_lo, exec_lo, s1
	s_cbranch_execz .LBB173_20
; %bb.28:
	s_lshl_b64 s[2:3], s[14:15], 5
	v_add_co_u32 v0, s1, v0, s2
	v_add_co_ci_u32_e64 v1, null, s3, v9, s1
	s_lshl_b64 s[2:3], s[8:9], 5
	v_add_co_u32 v2, s1, v10, s2
	v_add_co_ci_u32_e64 v7, null, s3, v11, s1
	v_add_co_u32 v5, s1, v0, v3
	v_add_co_ci_u32_e64 v6, null, v1, v4, s1
	;; [unrolled: 2-line block ×3, first 2 shown]
	s_and_saveexec_b32 s1, vcc_lo
	s_cbranch_execz .LBB173_30
; %bb.29:
	flat_load_ushort v2, v[5:6]
	s_waitcnt vmcnt(0) lgkmcnt(0)
	v_mul_f16_e32 v2, s20, v2
	v_fmac_f16_e32 v2, s4, v8
	flat_store_short v[0:1], v2
.LBB173_30:
	s_or_b32 exec_lo, exec_lo, s1
	s_and_b32 exec_lo, exec_lo, s0
	s_cbranch_execz .LBB173_20
; %bb.31:
	flat_load_ushort v2, v[5:6] offset:32
	v_lshrrev_b32_e32 v3, 16, v8
	s_waitcnt vmcnt(0) lgkmcnt(0)
	v_mul_f16_e32 v2, s20, v2
	v_fmac_f16_e32 v2, s4, v3
	flat_store_short v[0:1], v2 offset:32
	s_endpgm
	.section	.rodata,"a",@progbits
	.p2align	6, 0x0
	.amdhsa_kernel _ZN12_GLOBAL__N_135rocblas_gemm_batched_general_kernelIDF16_Li16ELi16ELi32ELi32ELi8ELi32ELi8ELi8ELi32ELc84ELc67EKPKDF16_S3_KPDF16_EEvlllT_PT11_llS8_llS6_PT12_llPT13_lli
		.amdhsa_group_segment_fixed_size 1024
		.amdhsa_private_segment_fixed_size 0
		.amdhsa_kernarg_size 140
		.amdhsa_user_sgpr_count 6
		.amdhsa_user_sgpr_private_segment_buffer 1
		.amdhsa_user_sgpr_dispatch_ptr 0
		.amdhsa_user_sgpr_queue_ptr 0
		.amdhsa_user_sgpr_kernarg_segment_ptr 1
		.amdhsa_user_sgpr_dispatch_id 0
		.amdhsa_user_sgpr_flat_scratch_init 0
		.amdhsa_user_sgpr_private_segment_size 0
		.amdhsa_wavefront_size32 1
		.amdhsa_uses_dynamic_stack 0
		.amdhsa_system_sgpr_private_segment_wavefront_offset 0
		.amdhsa_system_sgpr_workgroup_id_x 1
		.amdhsa_system_sgpr_workgroup_id_y 1
		.amdhsa_system_sgpr_workgroup_id_z 1
		.amdhsa_system_sgpr_workgroup_info 0
		.amdhsa_system_vgpr_workitem_id 1
		.amdhsa_next_free_vgpr 30
		.amdhsa_next_free_sgpr 44
		.amdhsa_reserve_vcc 1
		.amdhsa_reserve_flat_scratch 0
		.amdhsa_float_round_mode_32 0
		.amdhsa_float_round_mode_16_64 0
		.amdhsa_float_denorm_mode_32 3
		.amdhsa_float_denorm_mode_16_64 3
		.amdhsa_dx10_clamp 1
		.amdhsa_ieee_mode 1
		.amdhsa_fp16_overflow 0
		.amdhsa_workgroup_processor_mode 1
		.amdhsa_memory_ordered 1
		.amdhsa_forward_progress 1
		.amdhsa_shared_vgpr_count 0
		.amdhsa_exception_fp_ieee_invalid_op 0
		.amdhsa_exception_fp_denorm_src 0
		.amdhsa_exception_fp_ieee_div_zero 0
		.amdhsa_exception_fp_ieee_overflow 0
		.amdhsa_exception_fp_ieee_underflow 0
		.amdhsa_exception_fp_ieee_inexact 0
		.amdhsa_exception_int_div_zero 0
	.end_amdhsa_kernel
	.section	.text._ZN12_GLOBAL__N_135rocblas_gemm_batched_general_kernelIDF16_Li16ELi16ELi32ELi32ELi8ELi32ELi8ELi8ELi32ELc84ELc67EKPKDF16_S3_KPDF16_EEvlllT_PT11_llS8_llS6_PT12_llPT13_lli,"axG",@progbits,_ZN12_GLOBAL__N_135rocblas_gemm_batched_general_kernelIDF16_Li16ELi16ELi32ELi32ELi8ELi32ELi8ELi8ELi32ELc84ELc67EKPKDF16_S3_KPDF16_EEvlllT_PT11_llS8_llS6_PT12_llPT13_lli,comdat
.Lfunc_end173:
	.size	_ZN12_GLOBAL__N_135rocblas_gemm_batched_general_kernelIDF16_Li16ELi16ELi32ELi32ELi8ELi32ELi8ELi8ELi32ELc84ELc67EKPKDF16_S3_KPDF16_EEvlllT_PT11_llS8_llS6_PT12_llPT13_lli, .Lfunc_end173-_ZN12_GLOBAL__N_135rocblas_gemm_batched_general_kernelIDF16_Li16ELi16ELi32ELi32ELi8ELi32ELi8ELi8ELi32ELc84ELc67EKPKDF16_S3_KPDF16_EEvlllT_PT11_llS8_llS6_PT12_llPT13_lli
                                        ; -- End function
	.set _ZN12_GLOBAL__N_135rocblas_gemm_batched_general_kernelIDF16_Li16ELi16ELi32ELi32ELi8ELi32ELi8ELi8ELi32ELc84ELc67EKPKDF16_S3_KPDF16_EEvlllT_PT11_llS8_llS6_PT12_llPT13_lli.num_vgpr, 30
	.set _ZN12_GLOBAL__N_135rocblas_gemm_batched_general_kernelIDF16_Li16ELi16ELi32ELi32ELi8ELi32ELi8ELi8ELi32ELc84ELc67EKPKDF16_S3_KPDF16_EEvlllT_PT11_llS8_llS6_PT12_llPT13_lli.num_agpr, 0
	.set _ZN12_GLOBAL__N_135rocblas_gemm_batched_general_kernelIDF16_Li16ELi16ELi32ELi32ELi8ELi32ELi8ELi8ELi32ELc84ELc67EKPKDF16_S3_KPDF16_EEvlllT_PT11_llS8_llS6_PT12_llPT13_lli.numbered_sgpr, 44
	.set _ZN12_GLOBAL__N_135rocblas_gemm_batched_general_kernelIDF16_Li16ELi16ELi32ELi32ELi8ELi32ELi8ELi8ELi32ELc84ELc67EKPKDF16_S3_KPDF16_EEvlllT_PT11_llS8_llS6_PT12_llPT13_lli.num_named_barrier, 0
	.set _ZN12_GLOBAL__N_135rocblas_gemm_batched_general_kernelIDF16_Li16ELi16ELi32ELi32ELi8ELi32ELi8ELi8ELi32ELc84ELc67EKPKDF16_S3_KPDF16_EEvlllT_PT11_llS8_llS6_PT12_llPT13_lli.private_seg_size, 0
	.set _ZN12_GLOBAL__N_135rocblas_gemm_batched_general_kernelIDF16_Li16ELi16ELi32ELi32ELi8ELi32ELi8ELi8ELi32ELc84ELc67EKPKDF16_S3_KPDF16_EEvlllT_PT11_llS8_llS6_PT12_llPT13_lli.uses_vcc, 1
	.set _ZN12_GLOBAL__N_135rocblas_gemm_batched_general_kernelIDF16_Li16ELi16ELi32ELi32ELi8ELi32ELi8ELi8ELi32ELc84ELc67EKPKDF16_S3_KPDF16_EEvlllT_PT11_llS8_llS6_PT12_llPT13_lli.uses_flat_scratch, 0
	.set _ZN12_GLOBAL__N_135rocblas_gemm_batched_general_kernelIDF16_Li16ELi16ELi32ELi32ELi8ELi32ELi8ELi8ELi32ELc84ELc67EKPKDF16_S3_KPDF16_EEvlllT_PT11_llS8_llS6_PT12_llPT13_lli.has_dyn_sized_stack, 0
	.set _ZN12_GLOBAL__N_135rocblas_gemm_batched_general_kernelIDF16_Li16ELi16ELi32ELi32ELi8ELi32ELi8ELi8ELi32ELc84ELc67EKPKDF16_S3_KPDF16_EEvlllT_PT11_llS8_llS6_PT12_llPT13_lli.has_recursion, 0
	.set _ZN12_GLOBAL__N_135rocblas_gemm_batched_general_kernelIDF16_Li16ELi16ELi32ELi32ELi8ELi32ELi8ELi8ELi32ELc84ELc67EKPKDF16_S3_KPDF16_EEvlllT_PT11_llS8_llS6_PT12_llPT13_lli.has_indirect_call, 0
	.section	.AMDGPU.csdata,"",@progbits
; Kernel info:
; codeLenInByte = 1956
; TotalNumSgprs: 46
; NumVgprs: 30
; ScratchSize: 0
; MemoryBound: 0
; FloatMode: 240
; IeeeMode: 1
; LDSByteSize: 1024 bytes/workgroup (compile time only)
; SGPRBlocks: 0
; VGPRBlocks: 3
; NumSGPRsForWavesPerEU: 46
; NumVGPRsForWavesPerEU: 30
; Occupancy: 16
; WaveLimiterHint : 1
; COMPUTE_PGM_RSRC2:SCRATCH_EN: 0
; COMPUTE_PGM_RSRC2:USER_SGPR: 6
; COMPUTE_PGM_RSRC2:TRAP_HANDLER: 0
; COMPUTE_PGM_RSRC2:TGID_X_EN: 1
; COMPUTE_PGM_RSRC2:TGID_Y_EN: 1
; COMPUTE_PGM_RSRC2:TGID_Z_EN: 1
; COMPUTE_PGM_RSRC2:TIDIG_COMP_CNT: 1
	.section	.text._ZN12_GLOBAL__N_125rocblas_gemm_scale_kernelILi32ELi32EfPKPfEEviiT1_T2_llli,"axG",@progbits,_ZN12_GLOBAL__N_125rocblas_gemm_scale_kernelILi32ELi32EfPKPfEEviiT1_T2_llli,comdat
	.globl	_ZN12_GLOBAL__N_125rocblas_gemm_scale_kernelILi32ELi32EfPKPfEEviiT1_T2_llli ; -- Begin function _ZN12_GLOBAL__N_125rocblas_gemm_scale_kernelILi32ELi32EfPKPfEEviiT1_T2_llli
	.p2align	8
	.type	_ZN12_GLOBAL__N_125rocblas_gemm_scale_kernelILi32ELi32EfPKPfEEviiT1_T2_llli,@function
_ZN12_GLOBAL__N_125rocblas_gemm_scale_kernelILi32ELi32EfPKPfEEviiT1_T2_llli: ; @_ZN12_GLOBAL__N_125rocblas_gemm_scale_kernelILi32ELi32EfPKPfEEviiT1_T2_llli
; %bb.0:
	s_load_dwordx4 s[0:3], s[4:5], 0x0
	v_lshl_add_u32 v0, s6, 5, v0
	v_lshl_add_u32 v1, s7, 5, v1
	s_waitcnt lgkmcnt(0)
	v_cmp_gt_u32_e32 vcc_lo, s0, v0
	v_cmp_gt_u32_e64 s0, s1, v1
	s_and_b32 s0, vcc_lo, s0
	s_and_saveexec_b32 s1, s0
	s_cbranch_execz .LBB174_4
; %bb.1:
	s_clause 0x1
	s_load_dwordx2 s[0:1], s[4:5], 0x20
	s_load_dwordx4 s[4:7], s[4:5], 0x10
	s_mov_b32 s9, 0
	v_cmp_eq_f32_e64 s3, s2, 0
	s_lshl_b64 s[8:9], s[8:9], 3
	s_waitcnt lgkmcnt(0)
	v_mad_u64_u32 v[2:3], null, s0, v1, 0
	s_add_u32 s4, s4, s8
	s_addc_u32 s5, s5, s9
	s_load_dwordx2 s[4:5], s[4:5], 0x0
	v_mad_u64_u32 v[3:4], null, s1, v1, v[3:4]
	v_mov_b32_e32 v1, 0
	s_lshl_b64 s[0:1], s[6:7], 2
	v_lshlrev_b64 v[4:5], 2, v[2:3]
	v_lshlrev_b64 v[2:3], 2, v[0:1]
	s_waitcnt lgkmcnt(0)
	s_add_u32 s0, s4, s0
	s_addc_u32 s1, s5, s1
	s_and_b32 vcc_lo, exec_lo, s3
	s_cbranch_vccnz .LBB174_3
; %bb.2:
	v_add_co_u32 v0, vcc_lo, s0, v4
	v_add_co_ci_u32_e64 v1, null, s1, v5, vcc_lo
	v_add_co_u32 v0, vcc_lo, v0, v2
	v_add_co_ci_u32_e64 v1, null, v1, v3, vcc_lo
	flat_load_dword v0, v[0:1]
	s_waitcnt vmcnt(0) lgkmcnt(0)
	v_mul_f32_e32 v1, s2, v0
.LBB174_3:
	v_add_co_u32 v0, vcc_lo, s0, v4
	v_add_co_ci_u32_e64 v4, null, s1, v5, vcc_lo
	v_add_co_u32 v2, vcc_lo, v0, v2
	v_add_co_ci_u32_e64 v3, null, v4, v3, vcc_lo
	flat_store_dword v[2:3], v1
.LBB174_4:
	s_endpgm
	.section	.rodata,"a",@progbits
	.p2align	6, 0x0
	.amdhsa_kernel _ZN12_GLOBAL__N_125rocblas_gemm_scale_kernelILi32ELi32EfPKPfEEviiT1_T2_llli
		.amdhsa_group_segment_fixed_size 0
		.amdhsa_private_segment_fixed_size 0
		.amdhsa_kernarg_size 52
		.amdhsa_user_sgpr_count 6
		.amdhsa_user_sgpr_private_segment_buffer 1
		.amdhsa_user_sgpr_dispatch_ptr 0
		.amdhsa_user_sgpr_queue_ptr 0
		.amdhsa_user_sgpr_kernarg_segment_ptr 1
		.amdhsa_user_sgpr_dispatch_id 0
		.amdhsa_user_sgpr_flat_scratch_init 0
		.amdhsa_user_sgpr_private_segment_size 0
		.amdhsa_wavefront_size32 1
		.amdhsa_uses_dynamic_stack 0
		.amdhsa_system_sgpr_private_segment_wavefront_offset 0
		.amdhsa_system_sgpr_workgroup_id_x 1
		.amdhsa_system_sgpr_workgroup_id_y 1
		.amdhsa_system_sgpr_workgroup_id_z 1
		.amdhsa_system_sgpr_workgroup_info 0
		.amdhsa_system_vgpr_workitem_id 1
		.amdhsa_next_free_vgpr 6
		.amdhsa_next_free_sgpr 10
		.amdhsa_reserve_vcc 1
		.amdhsa_reserve_flat_scratch 0
		.amdhsa_float_round_mode_32 0
		.amdhsa_float_round_mode_16_64 0
		.amdhsa_float_denorm_mode_32 3
		.amdhsa_float_denorm_mode_16_64 3
		.amdhsa_dx10_clamp 1
		.amdhsa_ieee_mode 1
		.amdhsa_fp16_overflow 0
		.amdhsa_workgroup_processor_mode 1
		.amdhsa_memory_ordered 1
		.amdhsa_forward_progress 1
		.amdhsa_shared_vgpr_count 0
		.amdhsa_exception_fp_ieee_invalid_op 0
		.amdhsa_exception_fp_denorm_src 0
		.amdhsa_exception_fp_ieee_div_zero 0
		.amdhsa_exception_fp_ieee_overflow 0
		.amdhsa_exception_fp_ieee_underflow 0
		.amdhsa_exception_fp_ieee_inexact 0
		.amdhsa_exception_int_div_zero 0
	.end_amdhsa_kernel
	.section	.text._ZN12_GLOBAL__N_125rocblas_gemm_scale_kernelILi32ELi32EfPKPfEEviiT1_T2_llli,"axG",@progbits,_ZN12_GLOBAL__N_125rocblas_gemm_scale_kernelILi32ELi32EfPKPfEEviiT1_T2_llli,comdat
.Lfunc_end174:
	.size	_ZN12_GLOBAL__N_125rocblas_gemm_scale_kernelILi32ELi32EfPKPfEEviiT1_T2_llli, .Lfunc_end174-_ZN12_GLOBAL__N_125rocblas_gemm_scale_kernelILi32ELi32EfPKPfEEviiT1_T2_llli
                                        ; -- End function
	.set _ZN12_GLOBAL__N_125rocblas_gemm_scale_kernelILi32ELi32EfPKPfEEviiT1_T2_llli.num_vgpr, 6
	.set _ZN12_GLOBAL__N_125rocblas_gemm_scale_kernelILi32ELi32EfPKPfEEviiT1_T2_llli.num_agpr, 0
	.set _ZN12_GLOBAL__N_125rocblas_gemm_scale_kernelILi32ELi32EfPKPfEEviiT1_T2_llli.numbered_sgpr, 10
	.set _ZN12_GLOBAL__N_125rocblas_gemm_scale_kernelILi32ELi32EfPKPfEEviiT1_T2_llli.num_named_barrier, 0
	.set _ZN12_GLOBAL__N_125rocblas_gemm_scale_kernelILi32ELi32EfPKPfEEviiT1_T2_llli.private_seg_size, 0
	.set _ZN12_GLOBAL__N_125rocblas_gemm_scale_kernelILi32ELi32EfPKPfEEviiT1_T2_llli.uses_vcc, 1
	.set _ZN12_GLOBAL__N_125rocblas_gemm_scale_kernelILi32ELi32EfPKPfEEviiT1_T2_llli.uses_flat_scratch, 0
	.set _ZN12_GLOBAL__N_125rocblas_gemm_scale_kernelILi32ELi32EfPKPfEEviiT1_T2_llli.has_dyn_sized_stack, 0
	.set _ZN12_GLOBAL__N_125rocblas_gemm_scale_kernelILi32ELi32EfPKPfEEviiT1_T2_llli.has_recursion, 0
	.set _ZN12_GLOBAL__N_125rocblas_gemm_scale_kernelILi32ELi32EfPKPfEEviiT1_T2_llli.has_indirect_call, 0
	.section	.AMDGPU.csdata,"",@progbits
; Kernel info:
; codeLenInByte = 260
; TotalNumSgprs: 12
; NumVgprs: 6
; ScratchSize: 0
; MemoryBound: 0
; FloatMode: 240
; IeeeMode: 1
; LDSByteSize: 0 bytes/workgroup (compile time only)
; SGPRBlocks: 0
; VGPRBlocks: 0
; NumSGPRsForWavesPerEU: 12
; NumVGPRsForWavesPerEU: 6
; Occupancy: 16
; WaveLimiterHint : 1
; COMPUTE_PGM_RSRC2:SCRATCH_EN: 0
; COMPUTE_PGM_RSRC2:USER_SGPR: 6
; COMPUTE_PGM_RSRC2:TRAP_HANDLER: 0
; COMPUTE_PGM_RSRC2:TGID_X_EN: 1
; COMPUTE_PGM_RSRC2:TGID_Y_EN: 1
; COMPUTE_PGM_RSRC2:TGID_Z_EN: 1
; COMPUTE_PGM_RSRC2:TIDIG_COMP_CNT: 1
	.section	.text._ZN12_GLOBAL__N_120gemm_ex_scale_kernelILi32ELi32EfPKPKfPKPfEEviiT1_T2_lllT3_llli,"axG",@progbits,_ZN12_GLOBAL__N_120gemm_ex_scale_kernelILi32ELi32EfPKPKfPKPfEEviiT1_T2_lllT3_llli,comdat
	.globl	_ZN12_GLOBAL__N_120gemm_ex_scale_kernelILi32ELi32EfPKPKfPKPfEEviiT1_T2_lllT3_llli ; -- Begin function _ZN12_GLOBAL__N_120gemm_ex_scale_kernelILi32ELi32EfPKPKfPKPfEEviiT1_T2_lllT3_llli
	.p2align	8
	.type	_ZN12_GLOBAL__N_120gemm_ex_scale_kernelILi32ELi32EfPKPKfPKPfEEviiT1_T2_lllT3_llli,@function
_ZN12_GLOBAL__N_120gemm_ex_scale_kernelILi32ELi32EfPKPKfPKPfEEviiT1_T2_lllT3_llli: ; @_ZN12_GLOBAL__N_120gemm_ex_scale_kernelILi32ELi32EfPKPKfPKPfEEviiT1_T2_lllT3_llli
; %bb.0:
	s_clause 0x1
	s_load_dwordx8 s[12:19], s[4:5], 0x0
	s_load_dwordx2 s[10:11], s[4:5], 0x20
	s_mov_b32 s9, 0
	s_waitcnt lgkmcnt(0)
	v_cmp_eq_f32_e64 s15, s14, 0
	s_and_b32 vcc_lo, exec_lo, s15
	s_cbranch_vccnz .LBB175_2
; %bb.1:
	s_lshl_b64 s[0:1], s[8:9], 3
	s_add_u32 s0, s16, s0
	s_addc_u32 s1, s17, s1
	s_lshl_b64 s[2:3], s[18:19], 2
	s_load_dwordx2 s[0:1], s[0:1], 0x0
	s_waitcnt lgkmcnt(0)
	s_add_u32 s16, s0, s2
	s_addc_u32 s17, s1, s3
	s_branch .LBB175_3
.LBB175_2:
	s_mov_b64 s[16:17], 0
.LBB175_3:
	v_lshl_add_u32 v0, s6, 5, v0
	v_lshl_add_u32 v4, s7, 5, v1
	v_cmp_gt_u32_e32 vcc_lo, s12, v0
	v_cmp_gt_u32_e64 s0, s13, v4
	s_and_b32 s0, vcc_lo, s0
	s_and_saveexec_b32 s1, s0
	s_cbranch_execz .LBB175_9
; %bb.4:
	s_load_dwordx4 s[0:3], s[4:5], 0x30
	s_lshl_b64 s[6:7], s[8:9], 3
	s_load_dwordx2 s[4:5], s[4:5], 0x40
	v_mov_b32_e32 v1, 0
	s_waitcnt lgkmcnt(0)
	s_add_u32 s0, s0, s6
	s_addc_u32 s1, s1, s7
	s_andn2_b32 vcc_lo, exec_lo, s15
	s_load_dwordx2 s[0:1], s[0:1], 0x0
	s_cbranch_vccnz .LBB175_6
; %bb.5:
	v_mov_b32_e32 v3, 0
	v_mov_b32_e32 v2, v0
	s_cbranch_execz .LBB175_7
	s_branch .LBB175_8
.LBB175_6:
	v_mov_b32_e32 v3, v1
	v_mov_b32_e32 v2, v0
.LBB175_7:
	v_mad_u64_u32 v[5:6], null, s10, v4, 0
	v_lshlrev_b64 v[0:1], 2, v[0:1]
	v_mad_u64_u32 v[6:7], null, s11, v4, v[6:7]
	v_lshlrev_b64 v[5:6], 2, v[5:6]
	v_add_co_u32 v5, vcc_lo, s16, v5
	v_add_co_ci_u32_e64 v6, null, s17, v6, vcc_lo
	v_add_co_u32 v0, vcc_lo, v5, v0
	v_add_co_ci_u32_e64 v1, null, v6, v1, vcc_lo
	flat_load_dword v0, v[0:1]
	s_waitcnt vmcnt(0) lgkmcnt(0)
	v_mul_f32_e32 v1, s14, v0
.LBB175_8:
	v_mad_u64_u32 v[5:6], null, s4, v4, 0
	s_lshl_b64 s[2:3], s[2:3], 2
	v_lshlrev_b64 v[2:3], 2, v[2:3]
	s_waitcnt lgkmcnt(0)
	s_add_u32 s0, s0, s2
	s_addc_u32 s1, s1, s3
	v_mov_b32_e32 v0, v6
	v_mad_u64_u32 v[6:7], null, s5, v4, v[0:1]
	v_lshlrev_b64 v[4:5], 2, v[5:6]
	v_add_co_u32 v0, vcc_lo, s0, v4
	v_add_co_ci_u32_e64 v4, null, s1, v5, vcc_lo
	v_add_co_u32 v2, vcc_lo, v0, v2
	v_add_co_ci_u32_e64 v3, null, v4, v3, vcc_lo
	flat_store_dword v[2:3], v1
.LBB175_9:
	s_endpgm
	.section	.rodata,"a",@progbits
	.p2align	6, 0x0
	.amdhsa_kernel _ZN12_GLOBAL__N_120gemm_ex_scale_kernelILi32ELi32EfPKPKfPKPfEEviiT1_T2_lllT3_llli
		.amdhsa_group_segment_fixed_size 0
		.amdhsa_private_segment_fixed_size 0
		.amdhsa_kernarg_size 84
		.amdhsa_user_sgpr_count 6
		.amdhsa_user_sgpr_private_segment_buffer 1
		.amdhsa_user_sgpr_dispatch_ptr 0
		.amdhsa_user_sgpr_queue_ptr 0
		.amdhsa_user_sgpr_kernarg_segment_ptr 1
		.amdhsa_user_sgpr_dispatch_id 0
		.amdhsa_user_sgpr_flat_scratch_init 0
		.amdhsa_user_sgpr_private_segment_size 0
		.amdhsa_wavefront_size32 1
		.amdhsa_uses_dynamic_stack 0
		.amdhsa_system_sgpr_private_segment_wavefront_offset 0
		.amdhsa_system_sgpr_workgroup_id_x 1
		.amdhsa_system_sgpr_workgroup_id_y 1
		.amdhsa_system_sgpr_workgroup_id_z 1
		.amdhsa_system_sgpr_workgroup_info 0
		.amdhsa_system_vgpr_workitem_id 1
		.amdhsa_next_free_vgpr 8
		.amdhsa_next_free_sgpr 20
		.amdhsa_reserve_vcc 1
		.amdhsa_reserve_flat_scratch 0
		.amdhsa_float_round_mode_32 0
		.amdhsa_float_round_mode_16_64 0
		.amdhsa_float_denorm_mode_32 3
		.amdhsa_float_denorm_mode_16_64 3
		.amdhsa_dx10_clamp 1
		.amdhsa_ieee_mode 1
		.amdhsa_fp16_overflow 0
		.amdhsa_workgroup_processor_mode 1
		.amdhsa_memory_ordered 1
		.amdhsa_forward_progress 1
		.amdhsa_shared_vgpr_count 0
		.amdhsa_exception_fp_ieee_invalid_op 0
		.amdhsa_exception_fp_denorm_src 0
		.amdhsa_exception_fp_ieee_div_zero 0
		.amdhsa_exception_fp_ieee_overflow 0
		.amdhsa_exception_fp_ieee_underflow 0
		.amdhsa_exception_fp_ieee_inexact 0
		.amdhsa_exception_int_div_zero 0
	.end_amdhsa_kernel
	.section	.text._ZN12_GLOBAL__N_120gemm_ex_scale_kernelILi32ELi32EfPKPKfPKPfEEviiT1_T2_lllT3_llli,"axG",@progbits,_ZN12_GLOBAL__N_120gemm_ex_scale_kernelILi32ELi32EfPKPKfPKPfEEviiT1_T2_lllT3_llli,comdat
.Lfunc_end175:
	.size	_ZN12_GLOBAL__N_120gemm_ex_scale_kernelILi32ELi32EfPKPKfPKPfEEviiT1_T2_lllT3_llli, .Lfunc_end175-_ZN12_GLOBAL__N_120gemm_ex_scale_kernelILi32ELi32EfPKPKfPKPfEEviiT1_T2_lllT3_llli
                                        ; -- End function
	.set _ZN12_GLOBAL__N_120gemm_ex_scale_kernelILi32ELi32EfPKPKfPKPfEEviiT1_T2_lllT3_llli.num_vgpr, 8
	.set _ZN12_GLOBAL__N_120gemm_ex_scale_kernelILi32ELi32EfPKPKfPKPfEEviiT1_T2_lllT3_llli.num_agpr, 0
	.set _ZN12_GLOBAL__N_120gemm_ex_scale_kernelILi32ELi32EfPKPKfPKPfEEviiT1_T2_lllT3_llli.numbered_sgpr, 20
	.set _ZN12_GLOBAL__N_120gemm_ex_scale_kernelILi32ELi32EfPKPKfPKPfEEviiT1_T2_lllT3_llli.num_named_barrier, 0
	.set _ZN12_GLOBAL__N_120gemm_ex_scale_kernelILi32ELi32EfPKPKfPKPfEEviiT1_T2_lllT3_llli.private_seg_size, 0
	.set _ZN12_GLOBAL__N_120gemm_ex_scale_kernelILi32ELi32EfPKPKfPKPfEEviiT1_T2_lllT3_llli.uses_vcc, 1
	.set _ZN12_GLOBAL__N_120gemm_ex_scale_kernelILi32ELi32EfPKPKfPKPfEEviiT1_T2_lllT3_llli.uses_flat_scratch, 0
	.set _ZN12_GLOBAL__N_120gemm_ex_scale_kernelILi32ELi32EfPKPKfPKPfEEviiT1_T2_lllT3_llli.has_dyn_sized_stack, 0
	.set _ZN12_GLOBAL__N_120gemm_ex_scale_kernelILi32ELi32EfPKPKfPKPfEEviiT1_T2_lllT3_llli.has_recursion, 0
	.set _ZN12_GLOBAL__N_120gemm_ex_scale_kernelILi32ELi32EfPKPKfPKPfEEviiT1_T2_lllT3_llli.has_indirect_call, 0
	.section	.AMDGPU.csdata,"",@progbits
; Kernel info:
; codeLenInByte = 380
; TotalNumSgprs: 22
; NumVgprs: 8
; ScratchSize: 0
; MemoryBound: 0
; FloatMode: 240
; IeeeMode: 1
; LDSByteSize: 0 bytes/workgroup (compile time only)
; SGPRBlocks: 0
; VGPRBlocks: 0
; NumSGPRsForWavesPerEU: 22
; NumVGPRsForWavesPerEU: 8
; Occupancy: 16
; WaveLimiterHint : 1
; COMPUTE_PGM_RSRC2:SCRATCH_EN: 0
; COMPUTE_PGM_RSRC2:USER_SGPR: 6
; COMPUTE_PGM_RSRC2:TRAP_HANDLER: 0
; COMPUTE_PGM_RSRC2:TGID_X_EN: 1
; COMPUTE_PGM_RSRC2:TGID_Y_EN: 1
; COMPUTE_PGM_RSRC2:TGID_Z_EN: 1
; COMPUTE_PGM_RSRC2:TIDIG_COMP_CNT: 1
	.section	.text._ZN12_GLOBAL__N_127rocblas_gemm_batched_kernelIfLi16ELi16ELi64ELi64ELi4ELi64ELi4ELi4ELi64ELc78ELc78EKPKfS3_KPfEEvlllT_PT11_llS8_llS6_PT12_llPT13_lli,"axG",@progbits,_ZN12_GLOBAL__N_127rocblas_gemm_batched_kernelIfLi16ELi16ELi64ELi64ELi4ELi64ELi4ELi4ELi64ELc78ELc78EKPKfS3_KPfEEvlllT_PT11_llS8_llS6_PT12_llPT13_lli,comdat
	.globl	_ZN12_GLOBAL__N_127rocblas_gemm_batched_kernelIfLi16ELi16ELi64ELi64ELi4ELi64ELi4ELi4ELi64ELc78ELc78EKPKfS3_KPfEEvlllT_PT11_llS8_llS6_PT12_llPT13_lli ; -- Begin function _ZN12_GLOBAL__N_127rocblas_gemm_batched_kernelIfLi16ELi16ELi64ELi64ELi4ELi64ELi4ELi4ELi64ELc78ELc78EKPKfS3_KPfEEvlllT_PT11_llS8_llS6_PT12_llPT13_lli
	.p2align	8
	.type	_ZN12_GLOBAL__N_127rocblas_gemm_batched_kernelIfLi16ELi16ELi64ELi64ELi4ELi64ELi4ELi4ELi64ELc78ELc78EKPKfS3_KPfEEvlllT_PT11_llS8_llS6_PT12_llPT13_lli,@function
_ZN12_GLOBAL__N_127rocblas_gemm_batched_kernelIfLi16ELi16ELi64ELi64ELi4ELi64ELi4ELi4ELi64ELc78ELc78EKPKfS3_KPfEEvlllT_PT11_llS8_llS6_PT12_llPT13_lli: ; @_ZN12_GLOBAL__N_127rocblas_gemm_batched_kernelIfLi16ELi16ELi64ELi64ELi4ELi64ELi4ELi4ELi64ELc78ELc78EKPKfS3_KPfEEvlllT_PT11_llS8_llS6_PT12_llPT13_lli
; %bb.0:
	s_clause 0x1
	s_load_dwordx8 s[12:19], s[4:5], 0x58
	s_load_dwordx2 s[28:29], s[4:5], 0x10
	s_mov_b32 s9, 0
	s_mov_b32 s0, s7
	s_lshl_b64 s[34:35], s[8:9], 3
	s_load_dwordx4 s[8:11], s[4:5], 0x78
	v_mov_b32_e32 v18, 0
	v_mov_b32_e32 v21, 0
	;; [unrolled: 1-line block ×14, first 2 shown]
	s_waitcnt lgkmcnt(0)
	s_add_u32 s2, s12, s34
	s_addc_u32 s3, s13, s35
	s_add_u32 s18, s18, s34
	s_addc_u32 s19, s19, s35
	s_load_dwordx2 s[12:13], s[2:3], 0x0
	s_load_dwordx2 s[18:19], s[18:19], 0x0
	v_cmp_lt_i64_e64 s20, s[28:29], 1
	v_mov_b32_e32 v7, 0
	v_mov_b32_e32 v6, 0
	s_ashr_i32 s7, s6, 31
	s_ashr_i32 s1, s0, 31
	s_lshl_b64 s[6:7], s[6:7], 6
	s_and_b32 vcc_lo, exec_lo, s20
	s_lshl_b64 s[30:31], s[0:1], 6
	s_cbranch_vccnz .LBB176_3
; %bb.1:
	v_lshlrev_b32_e32 v2, 4, v1
	s_clause 0x1
	s_load_dwordx4 s[0:3], s[4:5], 0x40
	s_load_dwordx8 s[20:27], s[4:5], 0x20
	v_and_b32_e32 v4, 3, v0
	v_mov_b32_e32 v6, 0
	v_add_nc_u32_e32 v3, v2, v0
	v_add_nc_u32_e32 v23, 0x400, v2
	v_lshlrev_b32_e32 v22, 2, v0
	v_lshlrev_b32_e32 v9, 2, v4
	v_mov_b32_e32 v14, 0
	v_lshrrev_b32_e32 v5, 2, v3
	v_and_b32_e32 v10, 63, v3
	v_lshrrev_b32_e32 v8, 6, v3
	v_mov_b32_e32 v15, 0
	v_mov_b32_e32 v16, 0
	v_add_co_u32 v4, s33, v5, s30
	v_add_co_ci_u32_e64 v7, null, 0, s31, s33
	v_lshl_or_b32 v13, v5, 4, v9
	v_lshlrev_b32_e32 v11, 2, v10
	s_waitcnt lgkmcnt(0)
	v_mul_lo_u32 v12, s1, v4
	v_mul_lo_u32 v7, s0, v7
	v_mad_u64_u32 v[2:3], null, s0, v4, 0
	s_add_u32 s0, s20, s34
	v_mad_u64_u32 v[4:5], null, s22, v8, s[6:7]
	s_addc_u32 s1, s21, s35
	s_add_u32 s20, s26, s34
	s_addc_u32 s21, s27, s35
	v_add3_u32 v3, v3, v7, v12
	s_load_dwordx2 s[20:21], s[20:21], 0x0
	s_load_dwordx2 s[0:1], s[0:1], 0x0
	v_lshl_or_b32 v24, v8, 8, v11
	v_mad_u64_u32 v[7:8], null, s23, v8, v[5:6]
	v_lshlrev_b64 v[2:3], 2, v[2:3]
	s_lshl_b64 s[2:3], s[2:3], 2
	v_add_nc_u32_e32 v25, 0x400, v13
	v_mov_b32_e32 v11, 0
	v_mov_b32_e32 v12, 0
	v_mov_b32_e32 v13, 0
	v_add_co_u32 v5, vcc_lo, v2, s2
	v_add_co_ci_u32_e64 v8, null, s3, v3, vcc_lo
	v_add_co_u32 v2, vcc_lo, v4, v10
	v_add_co_ci_u32_e64 v3, null, 0, v7, vcc_lo
	;; [unrolled: 2-line block ×3, first 2 shown]
	v_lshlrev_b64 v[4:5], 2, v[2:3]
	s_lshl_b64 s[2:3], s[24:25], 2
	s_waitcnt lgkmcnt(0)
	v_add_co_u32 v2, vcc_lo, s20, v7
	s_add_u32 s0, s0, s2
	v_add_co_ci_u32_e64 v3, null, s21, v8, vcc_lo
	s_addc_u32 s1, s1, s3
	v_add_co_u32 v4, vcc_lo, s0, v4
	v_add_co_ci_u32_e64 v5, null, s1, v5, vcc_lo
	v_mov_b32_e32 v7, 0
	v_mov_b32_e32 v8, 0
	;; [unrolled: 1-line block ×9, first 2 shown]
	s_lshl_b64 s[2:3], s[22:23], 4
	s_mov_b64 s[20:21], 0
.LBB176_2:                              ; =>This Inner Loop Header: Depth=1
	flat_load_dword v26, v[4:5]
	s_add_u32 s20, s20, 4
	s_addc_u32 s21, s21, 0
	v_add_co_u32 v4, vcc_lo, v4, s2
	v_cmp_lt_i64_e64 s0, s[20:21], s[28:29]
	v_add_co_ci_u32_e64 v5, null, s3, v5, vcc_lo
	s_and_b32 vcc_lo, exec_lo, s0
	s_waitcnt vmcnt(0) lgkmcnt(0)
	ds_write_b32 v24, v26
	flat_load_dword v26, v[2:3]
	v_add_co_u32 v2, s0, v2, 16
	v_add_co_ci_u32_e64 v3, null, 0, v3, s0
	s_waitcnt vmcnt(0) lgkmcnt(0)
	ds_write_b32 v25, v26
	s_waitcnt lgkmcnt(0)
	s_barrier
	buffer_gl0_inv
	ds_read_b128 v[26:29], v23
	ds_read2_b32 v[42:43], v22 offset1:16
	ds_read2_b32 v[44:45], v22 offset0:32 offset1:48
	ds_read_b128 v[30:33], v23 offset:256
	ds_read_b128 v[34:37], v23 offset:512
	;; [unrolled: 1-line block ×3, first 2 shown]
	ds_read2_b32 v[46:47], v22 offset0:64 offset1:80
	ds_read2_b32 v[48:49], v22 offset0:96 offset1:112
	;; [unrolled: 1-line block ×6, first 2 shown]
	s_waitcnt lgkmcnt(0)
	s_barrier
	buffer_gl0_inv
	v_fmac_f32_e32 v18, v42, v26
	v_fmac_f32_e32 v21, v43, v26
	;; [unrolled: 1-line block ×64, first 2 shown]
	s_cbranch_vccnz .LBB176_2
.LBB176_3:
	s_clause 0x1
	s_load_dword s0, s[4:5], 0x50
	s_load_dword s1, s[4:5], 0x18
	v_add_co_u32 v2, s4, s30, v1
	v_add_co_ci_u32_e64 v5, null, s31, 0, s4
	v_add_co_u32 v0, s4, s6, v0
	v_add_co_ci_u32_e64 v1, null, s7, 0, s4
	v_mul_lo_u32 v3, v5, s8
	v_mul_lo_u32 v4, v2, s9
	s_lshl_b64 s[2:3], s[10:11], 2
	v_lshlrev_b64 v[0:1], 2, v[0:1]
	s_waitcnt lgkmcnt(0)
	s_add_u32 s2, s18, s2
	s_addc_u32 s3, s19, s3
	v_cmp_neq_f32_e64 s4, s0, 0
	s_and_b32 vcc_lo, exec_lo, s4
	s_mov_b32 s4, 0
	s_cbranch_vccnz .LBB176_7
; %bb.4:
	v_mad_u64_u32 v[22:23], null, v2, s8, 0
	s_lshl_b64 s[6:7], s[8:9], 6
	v_mul_f32_e32 v26, s1, v18
	v_mul_f32_e32 v27, s1, v21
	;; [unrolled: 1-line block ×5, first 2 shown]
	v_add3_u32 v23, v23, v4, v3
	v_mul_f32_e32 v31, s1, v16
	v_mul_f32_e32 v32, s1, v15
	;; [unrolled: 1-line block ×3, first 2 shown]
	v_lshlrev_b64 v[22:23], 2, v[22:23]
	v_add_co_u32 v22, vcc_lo, s2, v22
	v_add_co_ci_u32_e64 v23, null, s3, v23, vcc_lo
	v_add_co_u32 v34, vcc_lo, v22, s6
	v_add_co_ci_u32_e64 v35, null, s7, v23, vcc_lo
	;; [unrolled: 2-line block ×4, first 2 shown]
	flat_store_dword v[22:23], v26
	flat_store_dword v[22:23], v27 offset:64
	flat_store_dword v[22:23], v28 offset:128
	;; [unrolled: 1-line block ×3, first 2 shown]
	flat_store_dword v[24:25], v30
	flat_store_dword v[24:25], v31 offset:64
	v_add_co_u32 v26, vcc_lo, v34, s6
	v_add_co_ci_u32_e64 v27, null, s7, v35, vcc_lo
	v_mul_f32_e32 v28, s1, v13
	v_add_co_u32 v22, vcc_lo, v26, v0
	v_add_co_ci_u32_e64 v23, null, v27, v1, vcc_lo
	v_mul_f32_e32 v29, s1, v12
	v_mul_f32_e32 v30, s1, v11
	flat_store_dword v[24:25], v32 offset:128
	flat_store_dword v[24:25], v33 offset:192
	flat_store_dword v[22:23], v28
	flat_store_dword v[22:23], v29 offset:64
	flat_store_dword v[22:23], v30 offset:128
	v_add_co_u32 v24, vcc_lo, v26, s6
	v_add_co_ci_u32_e64 v25, null, s7, v27, vcc_lo
	v_mul_f32_e32 v28, s1, v10
	v_add_co_u32 v24, vcc_lo, v24, v0
	v_mul_f32_e32 v26, s1, v9
	v_add_co_ci_u32_e64 v25, null, v25, v1, vcc_lo
	v_mul_f32_e32 v27, s1, v8
	v_mul_f32_e32 v29, s1, v7
	;; [unrolled: 1-line block ×3, first 2 shown]
	flat_store_dword v[22:23], v28 offset:192
	flat_store_dword v[24:25], v26
	flat_store_dword v[24:25], v27 offset:64
	flat_store_dword v[24:25], v29 offset:128
	;; [unrolled: 1-line block ×3, first 2 shown]
	s_andn2_b32 vcc_lo, exec_lo, s4
	s_cbranch_vccnz .LBB176_6
.LBB176_5:
	v_mul_lo_u32 v5, v5, s14
	v_mul_lo_u32 v24, v2, s15
	v_mad_u64_u32 v[22:23], null, v2, s14, 0
	s_lshl_b64 s[4:5], s[16:17], 2
	s_add_u32 s4, s12, s4
	s_addc_u32 s5, s13, s5
	v_add3_u32 v23, v23, v24, v5
	v_mad_u64_u32 v[24:25], null, v2, s8, 0
	v_lshlrev_b64 v[22:23], 2, v[22:23]
	v_add3_u32 v25, v25, v4, v3
	v_add_co_u32 v5, vcc_lo, s4, v22
	v_add_co_ci_u32_e64 v26, null, s5, v23, vcc_lo
	v_lshlrev_b64 v[2:3], 2, v[24:25]
	v_add_co_u32 v22, vcc_lo, v5, v0
	v_add_co_ci_u32_e64 v23, null, v26, v1, vcc_lo
	s_lshl_b64 s[4:5], s[8:9], 6
	v_add_co_u32 v24, vcc_lo, s2, v2
	flat_load_dword v27, v[22:23]
	v_add_co_ci_u32_e64 v25, null, s3, v3, vcc_lo
	v_add_co_u32 v2, vcc_lo, v24, v0
	s_lshl_b64 s[2:3], s[14:15], 6
	v_add_co_ci_u32_e64 v3, null, v25, v1, vcc_lo
	s_waitcnt vmcnt(0) lgkmcnt(0)
	v_mul_f32_e32 v4, s0, v27
	v_fmac_f32_e32 v4, s1, v18
	flat_store_dword v[2:3], v4
	flat_load_dword v4, v[22:23] offset:64
	s_waitcnt vmcnt(0) lgkmcnt(0)
	v_mul_f32_e32 v4, s0, v4
	v_fmac_f32_e32 v4, s1, v21
	flat_store_dword v[2:3], v4 offset:64
	flat_load_dword v4, v[22:23] offset:128
	s_waitcnt vmcnt(0) lgkmcnt(0)
	v_mul_f32_e32 v4, s0, v4
	v_fmac_f32_e32 v4, s1, v20
	v_add_co_u32 v20, vcc_lo, v5, s2
	v_add_co_ci_u32_e64 v21, null, s3, v26, vcc_lo
	flat_store_dword v[2:3], v4 offset:128
	flat_load_dword v4, v[22:23] offset:192
	s_waitcnt vmcnt(0) lgkmcnt(0)
	v_mul_f32_e32 v18, s0, v4
	v_add_co_u32 v4, vcc_lo, v20, v0
	v_add_co_ci_u32_e64 v5, null, v21, v1, vcc_lo
	v_fmac_f32_e32 v18, s1, v19
	flat_store_dword v[2:3], v18 offset:192
	flat_load_dword v2, v[4:5]
	v_add_co_u32 v18, vcc_lo, v24, s4
	v_add_co_ci_u32_e64 v19, null, s5, v25, vcc_lo
	s_waitcnt vmcnt(0) lgkmcnt(0)
	v_mul_f32_e32 v22, s0, v2
	v_add_co_u32 v2, vcc_lo, v18, v0
	v_add_co_ci_u32_e64 v3, null, v19, v1, vcc_lo
	v_fmac_f32_e32 v22, s1, v17
	flat_store_dword v[2:3], v22
	flat_load_dword v17, v[4:5] offset:64
	s_waitcnt vmcnt(0) lgkmcnt(0)
	v_mul_f32_e32 v17, s0, v17
	v_fmac_f32_e32 v17, s1, v16
	flat_store_dword v[2:3], v17 offset:64
	flat_load_dword v16, v[4:5] offset:128
	s_waitcnt vmcnt(0) lgkmcnt(0)
	v_mul_f32_e32 v16, s0, v16
	v_fmac_f32_e32 v16, s1, v15
	flat_store_dword v[2:3], v16 offset:128
	flat_load_dword v4, v[4:5] offset:192
	v_add_co_u32 v16, vcc_lo, v20, s2
	v_add_co_ci_u32_e64 v17, null, s3, v21, vcc_lo
	s_waitcnt vmcnt(0) lgkmcnt(0)
	v_mul_f32_e32 v15, s0, v4
	v_add_co_u32 v4, vcc_lo, v16, v0
	v_add_co_ci_u32_e64 v5, null, v17, v1, vcc_lo
	v_fmac_f32_e32 v15, s1, v14
	v_add_co_u32 v14, vcc_lo, v18, s4
	flat_store_dword v[2:3], v15 offset:192
	flat_load_dword v2, v[4:5]
	v_add_co_ci_u32_e64 v15, null, s5, v19, vcc_lo
	s_waitcnt vmcnt(0) lgkmcnt(0)
	v_mul_f32_e32 v18, s0, v2
	v_add_co_u32 v2, vcc_lo, v14, v0
	v_add_co_ci_u32_e64 v3, null, v15, v1, vcc_lo
	v_fmac_f32_e32 v18, s1, v13
	flat_store_dword v[2:3], v18
	flat_load_dword v13, v[4:5] offset:64
	s_waitcnt vmcnt(0) lgkmcnt(0)
	v_mul_f32_e32 v13, s0, v13
	v_fmac_f32_e32 v13, s1, v12
	flat_store_dword v[2:3], v13 offset:64
	flat_load_dword v12, v[4:5] offset:128
	s_waitcnt vmcnt(0) lgkmcnt(0)
	v_mul_f32_e32 v12, s0, v12
	v_fmac_f32_e32 v12, s1, v11
	flat_store_dword v[2:3], v12 offset:128
	flat_load_dword v4, v[4:5] offset:192
	s_waitcnt vmcnt(0) lgkmcnt(0)
	v_mul_f32_e32 v11, s0, v4
	v_add_co_u32 v4, vcc_lo, v16, s2
	v_add_co_ci_u32_e64 v5, null, s3, v17, vcc_lo
	v_fmac_f32_e32 v11, s1, v10
	v_add_co_u32 v4, vcc_lo, v4, v0
	v_add_co_ci_u32_e64 v5, null, v5, v1, vcc_lo
	flat_store_dword v[2:3], v11 offset:192
	v_add_co_u32 v3, vcc_lo, v14, s4
	flat_load_dword v2, v[4:5]
	v_add_co_ci_u32_e64 v10, null, s5, v15, vcc_lo
	v_add_co_u32 v0, vcc_lo, v3, v0
	v_add_co_ci_u32_e64 v1, null, v10, v1, vcc_lo
	s_waitcnt vmcnt(0) lgkmcnt(0)
	v_mul_f32_e32 v2, s0, v2
	v_fmac_f32_e32 v2, s1, v9
	flat_store_dword v[0:1], v2
	flat_load_dword v2, v[4:5] offset:64
	s_waitcnt vmcnt(0) lgkmcnt(0)
	v_mul_f32_e32 v2, s0, v2
	v_fmac_f32_e32 v2, s1, v8
	flat_store_dword v[0:1], v2 offset:64
	flat_load_dword v2, v[4:5] offset:128
	s_waitcnt vmcnt(0) lgkmcnt(0)
	v_mul_f32_e32 v2, s0, v2
	v_fmac_f32_e32 v2, s1, v7
	flat_store_dword v[0:1], v2 offset:128
	;; [unrolled: 5-line block ×3, first 2 shown]
.LBB176_6:
	s_endpgm
.LBB176_7:
	s_branch .LBB176_5
	.section	.rodata,"a",@progbits
	.p2align	6, 0x0
	.amdhsa_kernel _ZN12_GLOBAL__N_127rocblas_gemm_batched_kernelIfLi16ELi16ELi64ELi64ELi4ELi64ELi4ELi4ELi64ELc78ELc78EKPKfS3_KPfEEvlllT_PT11_llS8_llS6_PT12_llPT13_lli
		.amdhsa_group_segment_fixed_size 2048
		.amdhsa_private_segment_fixed_size 0
		.amdhsa_kernarg_size 140
		.amdhsa_user_sgpr_count 6
		.amdhsa_user_sgpr_private_segment_buffer 1
		.amdhsa_user_sgpr_dispatch_ptr 0
		.amdhsa_user_sgpr_queue_ptr 0
		.amdhsa_user_sgpr_kernarg_segment_ptr 1
		.amdhsa_user_sgpr_dispatch_id 0
		.amdhsa_user_sgpr_flat_scratch_init 0
		.amdhsa_user_sgpr_private_segment_size 0
		.amdhsa_wavefront_size32 1
		.amdhsa_uses_dynamic_stack 0
		.amdhsa_system_sgpr_private_segment_wavefront_offset 0
		.amdhsa_system_sgpr_workgroup_id_x 1
		.amdhsa_system_sgpr_workgroup_id_y 1
		.amdhsa_system_sgpr_workgroup_id_z 1
		.amdhsa_system_sgpr_workgroup_info 0
		.amdhsa_system_vgpr_workitem_id 1
		.amdhsa_next_free_vgpr 58
		.amdhsa_next_free_sgpr 36
		.amdhsa_reserve_vcc 1
		.amdhsa_reserve_flat_scratch 0
		.amdhsa_float_round_mode_32 0
		.amdhsa_float_round_mode_16_64 0
		.amdhsa_float_denorm_mode_32 3
		.amdhsa_float_denorm_mode_16_64 3
		.amdhsa_dx10_clamp 1
		.amdhsa_ieee_mode 1
		.amdhsa_fp16_overflow 0
		.amdhsa_workgroup_processor_mode 1
		.amdhsa_memory_ordered 1
		.amdhsa_forward_progress 1
		.amdhsa_shared_vgpr_count 0
		.amdhsa_exception_fp_ieee_invalid_op 0
		.amdhsa_exception_fp_denorm_src 0
		.amdhsa_exception_fp_ieee_div_zero 0
		.amdhsa_exception_fp_ieee_overflow 0
		.amdhsa_exception_fp_ieee_underflow 0
		.amdhsa_exception_fp_ieee_inexact 0
		.amdhsa_exception_int_div_zero 0
	.end_amdhsa_kernel
	.section	.text._ZN12_GLOBAL__N_127rocblas_gemm_batched_kernelIfLi16ELi16ELi64ELi64ELi4ELi64ELi4ELi4ELi64ELc78ELc78EKPKfS3_KPfEEvlllT_PT11_llS8_llS6_PT12_llPT13_lli,"axG",@progbits,_ZN12_GLOBAL__N_127rocblas_gemm_batched_kernelIfLi16ELi16ELi64ELi64ELi4ELi64ELi4ELi4ELi64ELc78ELc78EKPKfS3_KPfEEvlllT_PT11_llS8_llS6_PT12_llPT13_lli,comdat
.Lfunc_end176:
	.size	_ZN12_GLOBAL__N_127rocblas_gemm_batched_kernelIfLi16ELi16ELi64ELi64ELi4ELi64ELi4ELi4ELi64ELc78ELc78EKPKfS3_KPfEEvlllT_PT11_llS8_llS6_PT12_llPT13_lli, .Lfunc_end176-_ZN12_GLOBAL__N_127rocblas_gemm_batched_kernelIfLi16ELi16ELi64ELi64ELi4ELi64ELi4ELi4ELi64ELc78ELc78EKPKfS3_KPfEEvlllT_PT11_llS8_llS6_PT12_llPT13_lli
                                        ; -- End function
	.set _ZN12_GLOBAL__N_127rocblas_gemm_batched_kernelIfLi16ELi16ELi64ELi64ELi4ELi64ELi4ELi4ELi64ELc78ELc78EKPKfS3_KPfEEvlllT_PT11_llS8_llS6_PT12_llPT13_lli.num_vgpr, 58
	.set _ZN12_GLOBAL__N_127rocblas_gemm_batched_kernelIfLi16ELi16ELi64ELi64ELi4ELi64ELi4ELi4ELi64ELc78ELc78EKPKfS3_KPfEEvlllT_PT11_llS8_llS6_PT12_llPT13_lli.num_agpr, 0
	.set _ZN12_GLOBAL__N_127rocblas_gemm_batched_kernelIfLi16ELi16ELi64ELi64ELi4ELi64ELi4ELi4ELi64ELc78ELc78EKPKfS3_KPfEEvlllT_PT11_llS8_llS6_PT12_llPT13_lli.numbered_sgpr, 36
	.set _ZN12_GLOBAL__N_127rocblas_gemm_batched_kernelIfLi16ELi16ELi64ELi64ELi4ELi64ELi4ELi4ELi64ELc78ELc78EKPKfS3_KPfEEvlllT_PT11_llS8_llS6_PT12_llPT13_lli.num_named_barrier, 0
	.set _ZN12_GLOBAL__N_127rocblas_gemm_batched_kernelIfLi16ELi16ELi64ELi64ELi4ELi64ELi4ELi4ELi64ELc78ELc78EKPKfS3_KPfEEvlllT_PT11_llS8_llS6_PT12_llPT13_lli.private_seg_size, 0
	.set _ZN12_GLOBAL__N_127rocblas_gemm_batched_kernelIfLi16ELi16ELi64ELi64ELi4ELi64ELi4ELi4ELi64ELc78ELc78EKPKfS3_KPfEEvlllT_PT11_llS8_llS6_PT12_llPT13_lli.uses_vcc, 1
	.set _ZN12_GLOBAL__N_127rocblas_gemm_batched_kernelIfLi16ELi16ELi64ELi64ELi4ELi64ELi4ELi4ELi64ELc78ELc78EKPKfS3_KPfEEvlllT_PT11_llS8_llS6_PT12_llPT13_lli.uses_flat_scratch, 0
	.set _ZN12_GLOBAL__N_127rocblas_gemm_batched_kernelIfLi16ELi16ELi64ELi64ELi4ELi64ELi4ELi4ELi64ELc78ELc78EKPKfS3_KPfEEvlllT_PT11_llS8_llS6_PT12_llPT13_lli.has_dyn_sized_stack, 0
	.set _ZN12_GLOBAL__N_127rocblas_gemm_batched_kernelIfLi16ELi16ELi64ELi64ELi4ELi64ELi4ELi4ELi64ELc78ELc78EKPKfS3_KPfEEvlllT_PT11_llS8_llS6_PT12_llPT13_lli.has_recursion, 0
	.set _ZN12_GLOBAL__N_127rocblas_gemm_batched_kernelIfLi16ELi16ELi64ELi64ELi4ELi64ELi4ELi4ELi64ELc78ELc78EKPKfS3_KPfEEvlllT_PT11_llS8_llS6_PT12_llPT13_lli.has_indirect_call, 0
	.section	.AMDGPU.csdata,"",@progbits
; Kernel info:
; codeLenInByte = 2292
; TotalNumSgprs: 38
; NumVgprs: 58
; ScratchSize: 0
; MemoryBound: 0
; FloatMode: 240
; IeeeMode: 1
; LDSByteSize: 2048 bytes/workgroup (compile time only)
; SGPRBlocks: 0
; VGPRBlocks: 7
; NumSGPRsForWavesPerEU: 38
; NumVGPRsForWavesPerEU: 58
; Occupancy: 16
; WaveLimiterHint : 1
; COMPUTE_PGM_RSRC2:SCRATCH_EN: 0
; COMPUTE_PGM_RSRC2:USER_SGPR: 6
; COMPUTE_PGM_RSRC2:TRAP_HANDLER: 0
; COMPUTE_PGM_RSRC2:TGID_X_EN: 1
; COMPUTE_PGM_RSRC2:TGID_Y_EN: 1
; COMPUTE_PGM_RSRC2:TGID_Z_EN: 1
; COMPUTE_PGM_RSRC2:TIDIG_COMP_CNT: 1
	.section	.text._ZN12_GLOBAL__N_127rocblas_gemm_batched_kernelIfLi16ELi16ELi64ELi64ELi4ELi64ELi4ELi4ELi64ELc84ELc78EKPKfS3_KPfEEvlllT_PT11_llS8_llS6_PT12_llPT13_lli,"axG",@progbits,_ZN12_GLOBAL__N_127rocblas_gemm_batched_kernelIfLi16ELi16ELi64ELi64ELi4ELi64ELi4ELi4ELi64ELc84ELc78EKPKfS3_KPfEEvlllT_PT11_llS8_llS6_PT12_llPT13_lli,comdat
	.globl	_ZN12_GLOBAL__N_127rocblas_gemm_batched_kernelIfLi16ELi16ELi64ELi64ELi4ELi64ELi4ELi4ELi64ELc84ELc78EKPKfS3_KPfEEvlllT_PT11_llS8_llS6_PT12_llPT13_lli ; -- Begin function _ZN12_GLOBAL__N_127rocblas_gemm_batched_kernelIfLi16ELi16ELi64ELi64ELi4ELi64ELi4ELi4ELi64ELc84ELc78EKPKfS3_KPfEEvlllT_PT11_llS8_llS6_PT12_llPT13_lli
	.p2align	8
	.type	_ZN12_GLOBAL__N_127rocblas_gemm_batched_kernelIfLi16ELi16ELi64ELi64ELi4ELi64ELi4ELi4ELi64ELc84ELc78EKPKfS3_KPfEEvlllT_PT11_llS8_llS6_PT12_llPT13_lli,@function
_ZN12_GLOBAL__N_127rocblas_gemm_batched_kernelIfLi16ELi16ELi64ELi64ELi4ELi64ELi4ELi4ELi64ELc84ELc78EKPKfS3_KPfEEvlllT_PT11_llS8_llS6_PT12_llPT13_lli: ; @_ZN12_GLOBAL__N_127rocblas_gemm_batched_kernelIfLi16ELi16ELi64ELi64ELi4ELi64ELi4ELi4ELi64ELc84ELc78EKPKfS3_KPfEEvlllT_PT11_llS8_llS6_PT12_llPT13_lli
; %bb.0:
	s_clause 0x1
	s_load_dwordx8 s[12:19], s[4:5], 0x58
	s_load_dwordx2 s[28:29], s[4:5], 0x10
	s_mov_b32 s9, 0
	s_mov_b32 s0, s7
	s_lshl_b64 s[34:35], s[8:9], 3
	s_load_dwordx4 s[8:11], s[4:5], 0x78
	v_mov_b32_e32 v18, 0
	v_mov_b32_e32 v21, 0
	;; [unrolled: 1-line block ×14, first 2 shown]
	s_waitcnt lgkmcnt(0)
	s_add_u32 s2, s12, s34
	s_addc_u32 s3, s13, s35
	s_add_u32 s18, s18, s34
	s_addc_u32 s19, s19, s35
	s_load_dwordx2 s[12:13], s[2:3], 0x0
	s_load_dwordx2 s[18:19], s[18:19], 0x0
	v_cmp_lt_i64_e64 s20, s[28:29], 1
	v_mov_b32_e32 v7, 0
	v_mov_b32_e32 v6, 0
	s_ashr_i32 s7, s6, 31
	s_ashr_i32 s1, s0, 31
	s_lshl_b64 s[6:7], s[6:7], 6
	s_and_b32 vcc_lo, exec_lo, s20
	s_lshl_b64 s[30:31], s[0:1], 6
	s_cbranch_vccnz .LBB177_3
; %bb.1:
	v_lshlrev_b32_e32 v7, 4, v1
	s_clause 0x1
	s_load_dwordx8 s[20:27], s[4:5], 0x20
	s_load_dwordx4 s[0:3], s[4:5], 0x40
	v_and_b32_e32 v3, 3, v0
	v_lshlrev_b32_e32 v24, 2, v0
	v_mov_b32_e32 v16, 0
	v_add_nc_u32_e32 v2, v7, v0
	v_add_nc_u32_e32 v25, 0x400, v7
	v_lshlrev_b32_e32 v8, 2, v3
	v_mov_b32_e32 v17, 0
	v_mov_b32_e32 v19, 0
	v_lshrrev_b32_e32 v6, 2, v2
	v_and_b32_e32 v9, 63, v2
	v_lshrrev_b32_e32 v10, 6, v2
	v_mov_b32_e32 v20, 0
	v_mov_b32_e32 v21, 0
	v_add_co_u32 v2, s33, v6, s30
	v_add_co_ci_u32_e64 v3, null, 0, s31, s33
	v_add_co_u32 v4, s33, s6, v9
	v_add_co_ci_u32_e64 v5, null, s7, 0, s33
	s_waitcnt lgkmcnt(0)
	v_mul_lo_u32 v11, s1, v2
	v_mul_lo_u32 v12, s0, v3
	v_mad_u64_u32 v[2:3], null, s0, v2, 0
	v_mul_lo_u32 v13, s23, v4
	v_mul_lo_u32 v14, s22, v5
	v_mad_u64_u32 v[4:5], null, s22, v4, 0
	s_add_u32 s20, s20, s34
	s_addc_u32 s21, s21, s35
	s_add_u32 s26, s26, s34
	v_add3_u32 v3, v3, v12, v11
	s_addc_u32 s27, s27, s35
	s_load_dwordx2 s[20:21], s[20:21], 0x0
	s_load_dwordx2 s[0:1], s[26:27], 0x0
	v_add3_u32 v5, v5, v14, v13
	v_lshlrev_b64 v[2:3], 2, v[2:3]
	s_lshl_b64 s[2:3], s[2:3], 2
	v_lshlrev_b32_e32 v7, 2, v10
	v_lshlrev_b32_e32 v9, 2, v9
	v_lshlrev_b64 v[4:5], 2, v[4:5]
	v_lshl_or_b32 v15, v6, 4, v8
	v_add_co_u32 v2, vcc_lo, v2, s2
	v_add_co_ci_u32_e64 v3, null, s3, v3, vcc_lo
	s_lshl_b64 s[2:3], s[24:25], 2
	v_mov_b32_e32 v6, 0
	v_add_co_u32 v4, vcc_lo, v4, s2
	v_add_co_ci_u32_e64 v5, null, s3, v5, vcc_lo
	v_add_co_u32 v2, vcc_lo, v2, v8
	v_add_co_ci_u32_e64 v3, null, 0, v3, vcc_lo
	;; [unrolled: 2-line block ×3, first 2 shown]
	s_waitcnt lgkmcnt(0)
	v_add_co_u32 v2, vcc_lo, s0, v2
	v_add_co_ci_u32_e64 v3, null, s1, v3, vcc_lo
	v_add_co_u32 v4, vcc_lo, s20, v4
	v_lshl_or_b32 v22, v10, 8, v9
	v_add_nc_u32_e32 v23, 0x400, v15
	v_add_co_ci_u32_e64 v5, null, s21, v5, vcc_lo
	v_mov_b32_e32 v7, 0
	v_mov_b32_e32 v8, 0
	;; [unrolled: 1-line block ×10, first 2 shown]
	s_mov_b64 s[2:3], 0
.LBB177_2:                              ; =>This Inner Loop Header: Depth=1
	flat_load_dword v26, v[4:5]
	s_add_u32 s2, s2, 4
	s_addc_u32 s3, s3, 0
	v_add_co_u32 v4, vcc_lo, v4, 16
	v_cmp_lt_i64_e64 s0, s[2:3], s[28:29]
	v_add_co_ci_u32_e64 v5, null, 0, v5, vcc_lo
	s_and_b32 vcc_lo, exec_lo, s0
	s_waitcnt vmcnt(0) lgkmcnt(0)
	ds_write_b32 v22, v26
	flat_load_dword v26, v[2:3]
	v_add_co_u32 v2, s0, v2, 16
	v_add_co_ci_u32_e64 v3, null, 0, v3, s0
	s_waitcnt vmcnt(0) lgkmcnt(0)
	ds_write_b32 v23, v26
	s_waitcnt lgkmcnt(0)
	s_barrier
	buffer_gl0_inv
	ds_read_b128 v[26:29], v25
	ds_read2_b32 v[42:43], v24 offset1:16
	ds_read2_b32 v[44:45], v24 offset0:32 offset1:48
	ds_read_b128 v[30:33], v25 offset:256
	ds_read_b128 v[34:37], v25 offset:512
	;; [unrolled: 1-line block ×3, first 2 shown]
	ds_read2_b32 v[46:47], v24 offset0:64 offset1:80
	ds_read2_b32 v[48:49], v24 offset0:96 offset1:112
	;; [unrolled: 1-line block ×6, first 2 shown]
	s_waitcnt lgkmcnt(0)
	s_barrier
	buffer_gl0_inv
	v_fmac_f32_e32 v18, v42, v26
	v_fmac_f32_e32 v21, v43, v26
	;; [unrolled: 1-line block ×64, first 2 shown]
	s_cbranch_vccnz .LBB177_2
.LBB177_3:
	s_clause 0x1
	s_load_dword s0, s[4:5], 0x50
	s_load_dword s1, s[4:5], 0x18
	v_add_co_u32 v2, s4, s30, v1
	v_add_co_ci_u32_e64 v5, null, s31, 0, s4
	v_add_co_u32 v0, s4, s6, v0
	v_add_co_ci_u32_e64 v1, null, s7, 0, s4
	v_mul_lo_u32 v3, v5, s8
	v_mul_lo_u32 v4, v2, s9
	s_lshl_b64 s[2:3], s[10:11], 2
	v_lshlrev_b64 v[0:1], 2, v[0:1]
	s_waitcnt lgkmcnt(0)
	s_add_u32 s2, s18, s2
	s_addc_u32 s3, s19, s3
	v_cmp_neq_f32_e64 s4, s0, 0
	s_and_b32 vcc_lo, exec_lo, s4
	s_mov_b32 s4, 0
	s_cbranch_vccnz .LBB177_7
; %bb.4:
	v_mad_u64_u32 v[22:23], null, v2, s8, 0
	s_lshl_b64 s[6:7], s[8:9], 6
	v_mul_f32_e32 v26, s1, v18
	v_mul_f32_e32 v27, s1, v21
	;; [unrolled: 1-line block ×5, first 2 shown]
	v_add3_u32 v23, v23, v4, v3
	v_mul_f32_e32 v31, s1, v16
	v_mul_f32_e32 v32, s1, v15
	;; [unrolled: 1-line block ×3, first 2 shown]
	v_lshlrev_b64 v[22:23], 2, v[22:23]
	v_add_co_u32 v22, vcc_lo, s2, v22
	v_add_co_ci_u32_e64 v23, null, s3, v23, vcc_lo
	v_add_co_u32 v34, vcc_lo, v22, s6
	v_add_co_ci_u32_e64 v35, null, s7, v23, vcc_lo
	;; [unrolled: 2-line block ×4, first 2 shown]
	flat_store_dword v[22:23], v26
	flat_store_dword v[22:23], v27 offset:64
	flat_store_dword v[22:23], v28 offset:128
	flat_store_dword v[22:23], v29 offset:192
	flat_store_dword v[24:25], v30
	flat_store_dword v[24:25], v31 offset:64
	v_add_co_u32 v26, vcc_lo, v34, s6
	v_add_co_ci_u32_e64 v27, null, s7, v35, vcc_lo
	v_mul_f32_e32 v28, s1, v13
	v_add_co_u32 v22, vcc_lo, v26, v0
	v_add_co_ci_u32_e64 v23, null, v27, v1, vcc_lo
	v_mul_f32_e32 v29, s1, v12
	v_mul_f32_e32 v30, s1, v11
	flat_store_dword v[24:25], v32 offset:128
	flat_store_dword v[24:25], v33 offset:192
	flat_store_dword v[22:23], v28
	flat_store_dword v[22:23], v29 offset:64
	flat_store_dword v[22:23], v30 offset:128
	v_add_co_u32 v24, vcc_lo, v26, s6
	v_add_co_ci_u32_e64 v25, null, s7, v27, vcc_lo
	v_mul_f32_e32 v28, s1, v10
	v_add_co_u32 v24, vcc_lo, v24, v0
	v_mul_f32_e32 v26, s1, v9
	v_add_co_ci_u32_e64 v25, null, v25, v1, vcc_lo
	v_mul_f32_e32 v27, s1, v8
	v_mul_f32_e32 v29, s1, v7
	;; [unrolled: 1-line block ×3, first 2 shown]
	flat_store_dword v[22:23], v28 offset:192
	flat_store_dword v[24:25], v26
	flat_store_dword v[24:25], v27 offset:64
	flat_store_dword v[24:25], v29 offset:128
	;; [unrolled: 1-line block ×3, first 2 shown]
	s_andn2_b32 vcc_lo, exec_lo, s4
	s_cbranch_vccnz .LBB177_6
.LBB177_5:
	v_mul_lo_u32 v5, v5, s14
	v_mul_lo_u32 v24, v2, s15
	v_mad_u64_u32 v[22:23], null, v2, s14, 0
	s_lshl_b64 s[4:5], s[16:17], 2
	s_add_u32 s4, s12, s4
	s_addc_u32 s5, s13, s5
	v_add3_u32 v23, v23, v24, v5
	v_mad_u64_u32 v[24:25], null, v2, s8, 0
	v_lshlrev_b64 v[22:23], 2, v[22:23]
	v_add3_u32 v25, v25, v4, v3
	v_add_co_u32 v5, vcc_lo, s4, v22
	v_add_co_ci_u32_e64 v26, null, s5, v23, vcc_lo
	v_lshlrev_b64 v[2:3], 2, v[24:25]
	v_add_co_u32 v22, vcc_lo, v5, v0
	v_add_co_ci_u32_e64 v23, null, v26, v1, vcc_lo
	s_lshl_b64 s[4:5], s[8:9], 6
	v_add_co_u32 v24, vcc_lo, s2, v2
	flat_load_dword v27, v[22:23]
	v_add_co_ci_u32_e64 v25, null, s3, v3, vcc_lo
	v_add_co_u32 v2, vcc_lo, v24, v0
	s_lshl_b64 s[2:3], s[14:15], 6
	v_add_co_ci_u32_e64 v3, null, v25, v1, vcc_lo
	s_waitcnt vmcnt(0) lgkmcnt(0)
	v_mul_f32_e32 v4, s0, v27
	v_fmac_f32_e32 v4, s1, v18
	flat_store_dword v[2:3], v4
	flat_load_dword v4, v[22:23] offset:64
	s_waitcnt vmcnt(0) lgkmcnt(0)
	v_mul_f32_e32 v4, s0, v4
	v_fmac_f32_e32 v4, s1, v21
	flat_store_dword v[2:3], v4 offset:64
	flat_load_dword v4, v[22:23] offset:128
	s_waitcnt vmcnt(0) lgkmcnt(0)
	v_mul_f32_e32 v4, s0, v4
	v_fmac_f32_e32 v4, s1, v20
	v_add_co_u32 v20, vcc_lo, v5, s2
	v_add_co_ci_u32_e64 v21, null, s3, v26, vcc_lo
	flat_store_dword v[2:3], v4 offset:128
	flat_load_dword v4, v[22:23] offset:192
	s_waitcnt vmcnt(0) lgkmcnt(0)
	v_mul_f32_e32 v18, s0, v4
	v_add_co_u32 v4, vcc_lo, v20, v0
	v_add_co_ci_u32_e64 v5, null, v21, v1, vcc_lo
	v_fmac_f32_e32 v18, s1, v19
	flat_store_dword v[2:3], v18 offset:192
	flat_load_dword v2, v[4:5]
	v_add_co_u32 v18, vcc_lo, v24, s4
	v_add_co_ci_u32_e64 v19, null, s5, v25, vcc_lo
	s_waitcnt vmcnt(0) lgkmcnt(0)
	v_mul_f32_e32 v22, s0, v2
	v_add_co_u32 v2, vcc_lo, v18, v0
	v_add_co_ci_u32_e64 v3, null, v19, v1, vcc_lo
	v_fmac_f32_e32 v22, s1, v17
	flat_store_dword v[2:3], v22
	flat_load_dword v17, v[4:5] offset:64
	s_waitcnt vmcnt(0) lgkmcnt(0)
	v_mul_f32_e32 v17, s0, v17
	v_fmac_f32_e32 v17, s1, v16
	flat_store_dword v[2:3], v17 offset:64
	flat_load_dword v16, v[4:5] offset:128
	s_waitcnt vmcnt(0) lgkmcnt(0)
	v_mul_f32_e32 v16, s0, v16
	v_fmac_f32_e32 v16, s1, v15
	flat_store_dword v[2:3], v16 offset:128
	flat_load_dword v4, v[4:5] offset:192
	v_add_co_u32 v16, vcc_lo, v20, s2
	v_add_co_ci_u32_e64 v17, null, s3, v21, vcc_lo
	s_waitcnt vmcnt(0) lgkmcnt(0)
	v_mul_f32_e32 v15, s0, v4
	v_add_co_u32 v4, vcc_lo, v16, v0
	v_add_co_ci_u32_e64 v5, null, v17, v1, vcc_lo
	v_fmac_f32_e32 v15, s1, v14
	v_add_co_u32 v14, vcc_lo, v18, s4
	flat_store_dword v[2:3], v15 offset:192
	flat_load_dword v2, v[4:5]
	v_add_co_ci_u32_e64 v15, null, s5, v19, vcc_lo
	s_waitcnt vmcnt(0) lgkmcnt(0)
	v_mul_f32_e32 v18, s0, v2
	v_add_co_u32 v2, vcc_lo, v14, v0
	v_add_co_ci_u32_e64 v3, null, v15, v1, vcc_lo
	v_fmac_f32_e32 v18, s1, v13
	flat_store_dword v[2:3], v18
	flat_load_dword v13, v[4:5] offset:64
	s_waitcnt vmcnt(0) lgkmcnt(0)
	v_mul_f32_e32 v13, s0, v13
	v_fmac_f32_e32 v13, s1, v12
	flat_store_dword v[2:3], v13 offset:64
	flat_load_dword v12, v[4:5] offset:128
	s_waitcnt vmcnt(0) lgkmcnt(0)
	v_mul_f32_e32 v12, s0, v12
	v_fmac_f32_e32 v12, s1, v11
	flat_store_dword v[2:3], v12 offset:128
	flat_load_dword v4, v[4:5] offset:192
	s_waitcnt vmcnt(0) lgkmcnt(0)
	v_mul_f32_e32 v11, s0, v4
	v_add_co_u32 v4, vcc_lo, v16, s2
	v_add_co_ci_u32_e64 v5, null, s3, v17, vcc_lo
	v_fmac_f32_e32 v11, s1, v10
	v_add_co_u32 v4, vcc_lo, v4, v0
	v_add_co_ci_u32_e64 v5, null, v5, v1, vcc_lo
	flat_store_dword v[2:3], v11 offset:192
	v_add_co_u32 v3, vcc_lo, v14, s4
	flat_load_dword v2, v[4:5]
	v_add_co_ci_u32_e64 v10, null, s5, v15, vcc_lo
	v_add_co_u32 v0, vcc_lo, v3, v0
	v_add_co_ci_u32_e64 v1, null, v10, v1, vcc_lo
	s_waitcnt vmcnt(0) lgkmcnt(0)
	v_mul_f32_e32 v2, s0, v2
	v_fmac_f32_e32 v2, s1, v9
	flat_store_dword v[0:1], v2
	flat_load_dword v2, v[4:5] offset:64
	s_waitcnt vmcnt(0) lgkmcnt(0)
	v_mul_f32_e32 v2, s0, v2
	v_fmac_f32_e32 v2, s1, v8
	flat_store_dword v[0:1], v2 offset:64
	flat_load_dword v2, v[4:5] offset:128
	s_waitcnt vmcnt(0) lgkmcnt(0)
	v_mul_f32_e32 v2, s0, v2
	v_fmac_f32_e32 v2, s1, v7
	flat_store_dword v[0:1], v2 offset:128
	;; [unrolled: 5-line block ×3, first 2 shown]
.LBB177_6:
	s_endpgm
.LBB177_7:
	s_branch .LBB177_5
	.section	.rodata,"a",@progbits
	.p2align	6, 0x0
	.amdhsa_kernel _ZN12_GLOBAL__N_127rocblas_gemm_batched_kernelIfLi16ELi16ELi64ELi64ELi4ELi64ELi4ELi4ELi64ELc84ELc78EKPKfS3_KPfEEvlllT_PT11_llS8_llS6_PT12_llPT13_lli
		.amdhsa_group_segment_fixed_size 2048
		.amdhsa_private_segment_fixed_size 0
		.amdhsa_kernarg_size 140
		.amdhsa_user_sgpr_count 6
		.amdhsa_user_sgpr_private_segment_buffer 1
		.amdhsa_user_sgpr_dispatch_ptr 0
		.amdhsa_user_sgpr_queue_ptr 0
		.amdhsa_user_sgpr_kernarg_segment_ptr 1
		.amdhsa_user_sgpr_dispatch_id 0
		.amdhsa_user_sgpr_flat_scratch_init 0
		.amdhsa_user_sgpr_private_segment_size 0
		.amdhsa_wavefront_size32 1
		.amdhsa_uses_dynamic_stack 0
		.amdhsa_system_sgpr_private_segment_wavefront_offset 0
		.amdhsa_system_sgpr_workgroup_id_x 1
		.amdhsa_system_sgpr_workgroup_id_y 1
		.amdhsa_system_sgpr_workgroup_id_z 1
		.amdhsa_system_sgpr_workgroup_info 0
		.amdhsa_system_vgpr_workitem_id 1
		.amdhsa_next_free_vgpr 58
		.amdhsa_next_free_sgpr 36
		.amdhsa_reserve_vcc 1
		.amdhsa_reserve_flat_scratch 0
		.amdhsa_float_round_mode_32 0
		.amdhsa_float_round_mode_16_64 0
		.amdhsa_float_denorm_mode_32 3
		.amdhsa_float_denorm_mode_16_64 3
		.amdhsa_dx10_clamp 1
		.amdhsa_ieee_mode 1
		.amdhsa_fp16_overflow 0
		.amdhsa_workgroup_processor_mode 1
		.amdhsa_memory_ordered 1
		.amdhsa_forward_progress 1
		.amdhsa_shared_vgpr_count 0
		.amdhsa_exception_fp_ieee_invalid_op 0
		.amdhsa_exception_fp_denorm_src 0
		.amdhsa_exception_fp_ieee_div_zero 0
		.amdhsa_exception_fp_ieee_overflow 0
		.amdhsa_exception_fp_ieee_underflow 0
		.amdhsa_exception_fp_ieee_inexact 0
		.amdhsa_exception_int_div_zero 0
	.end_amdhsa_kernel
	.section	.text._ZN12_GLOBAL__N_127rocblas_gemm_batched_kernelIfLi16ELi16ELi64ELi64ELi4ELi64ELi4ELi4ELi64ELc84ELc78EKPKfS3_KPfEEvlllT_PT11_llS8_llS6_PT12_llPT13_lli,"axG",@progbits,_ZN12_GLOBAL__N_127rocblas_gemm_batched_kernelIfLi16ELi16ELi64ELi64ELi4ELi64ELi4ELi4ELi64ELc84ELc78EKPKfS3_KPfEEvlllT_PT11_llS8_llS6_PT12_llPT13_lli,comdat
.Lfunc_end177:
	.size	_ZN12_GLOBAL__N_127rocblas_gemm_batched_kernelIfLi16ELi16ELi64ELi64ELi4ELi64ELi4ELi4ELi64ELc84ELc78EKPKfS3_KPfEEvlllT_PT11_llS8_llS6_PT12_llPT13_lli, .Lfunc_end177-_ZN12_GLOBAL__N_127rocblas_gemm_batched_kernelIfLi16ELi16ELi64ELi64ELi4ELi64ELi4ELi4ELi64ELc84ELc78EKPKfS3_KPfEEvlllT_PT11_llS8_llS6_PT12_llPT13_lli
                                        ; -- End function
	.set _ZN12_GLOBAL__N_127rocblas_gemm_batched_kernelIfLi16ELi16ELi64ELi64ELi4ELi64ELi4ELi4ELi64ELc84ELc78EKPKfS3_KPfEEvlllT_PT11_llS8_llS6_PT12_llPT13_lli.num_vgpr, 58
	.set _ZN12_GLOBAL__N_127rocblas_gemm_batched_kernelIfLi16ELi16ELi64ELi64ELi4ELi64ELi4ELi4ELi64ELc84ELc78EKPKfS3_KPfEEvlllT_PT11_llS8_llS6_PT12_llPT13_lli.num_agpr, 0
	.set _ZN12_GLOBAL__N_127rocblas_gemm_batched_kernelIfLi16ELi16ELi64ELi64ELi4ELi64ELi4ELi4ELi64ELc84ELc78EKPKfS3_KPfEEvlllT_PT11_llS8_llS6_PT12_llPT13_lli.numbered_sgpr, 36
	.set _ZN12_GLOBAL__N_127rocblas_gemm_batched_kernelIfLi16ELi16ELi64ELi64ELi4ELi64ELi4ELi4ELi64ELc84ELc78EKPKfS3_KPfEEvlllT_PT11_llS8_llS6_PT12_llPT13_lli.num_named_barrier, 0
	.set _ZN12_GLOBAL__N_127rocblas_gemm_batched_kernelIfLi16ELi16ELi64ELi64ELi4ELi64ELi4ELi4ELi64ELc84ELc78EKPKfS3_KPfEEvlllT_PT11_llS8_llS6_PT12_llPT13_lli.private_seg_size, 0
	.set _ZN12_GLOBAL__N_127rocblas_gemm_batched_kernelIfLi16ELi16ELi64ELi64ELi4ELi64ELi4ELi4ELi64ELc84ELc78EKPKfS3_KPfEEvlllT_PT11_llS8_llS6_PT12_llPT13_lli.uses_vcc, 1
	.set _ZN12_GLOBAL__N_127rocblas_gemm_batched_kernelIfLi16ELi16ELi64ELi64ELi4ELi64ELi4ELi4ELi64ELc84ELc78EKPKfS3_KPfEEvlllT_PT11_llS8_llS6_PT12_llPT13_lli.uses_flat_scratch, 0
	.set _ZN12_GLOBAL__N_127rocblas_gemm_batched_kernelIfLi16ELi16ELi64ELi64ELi4ELi64ELi4ELi4ELi64ELc84ELc78EKPKfS3_KPfEEvlllT_PT11_llS8_llS6_PT12_llPT13_lli.has_dyn_sized_stack, 0
	.set _ZN12_GLOBAL__N_127rocblas_gemm_batched_kernelIfLi16ELi16ELi64ELi64ELi4ELi64ELi4ELi4ELi64ELc84ELc78EKPKfS3_KPfEEvlllT_PT11_llS8_llS6_PT12_llPT13_lli.has_recursion, 0
	.set _ZN12_GLOBAL__N_127rocblas_gemm_batched_kernelIfLi16ELi16ELi64ELi64ELi4ELi64ELi4ELi4ELi64ELc84ELc78EKPKfS3_KPfEEvlllT_PT11_llS8_llS6_PT12_llPT13_lli.has_indirect_call, 0
	.section	.AMDGPU.csdata,"",@progbits
; Kernel info:
; codeLenInByte = 2332
; TotalNumSgprs: 38
; NumVgprs: 58
; ScratchSize: 0
; MemoryBound: 0
; FloatMode: 240
; IeeeMode: 1
; LDSByteSize: 2048 bytes/workgroup (compile time only)
; SGPRBlocks: 0
; VGPRBlocks: 7
; NumSGPRsForWavesPerEU: 38
; NumVGPRsForWavesPerEU: 58
; Occupancy: 16
; WaveLimiterHint : 1
; COMPUTE_PGM_RSRC2:SCRATCH_EN: 0
; COMPUTE_PGM_RSRC2:USER_SGPR: 6
; COMPUTE_PGM_RSRC2:TRAP_HANDLER: 0
; COMPUTE_PGM_RSRC2:TGID_X_EN: 1
; COMPUTE_PGM_RSRC2:TGID_Y_EN: 1
; COMPUTE_PGM_RSRC2:TGID_Z_EN: 1
; COMPUTE_PGM_RSRC2:TIDIG_COMP_CNT: 1
	.section	.text._ZN12_GLOBAL__N_127rocblas_gemm_batched_kernelIfLi16ELi16ELi64ELi64ELi4ELi64ELi4ELi4ELi64ELc78ELc84EKPKfS3_KPfEEvlllT_PT11_llS8_llS6_PT12_llPT13_lli,"axG",@progbits,_ZN12_GLOBAL__N_127rocblas_gemm_batched_kernelIfLi16ELi16ELi64ELi64ELi4ELi64ELi4ELi4ELi64ELc78ELc84EKPKfS3_KPfEEvlllT_PT11_llS8_llS6_PT12_llPT13_lli,comdat
	.globl	_ZN12_GLOBAL__N_127rocblas_gemm_batched_kernelIfLi16ELi16ELi64ELi64ELi4ELi64ELi4ELi4ELi64ELc78ELc84EKPKfS3_KPfEEvlllT_PT11_llS8_llS6_PT12_llPT13_lli ; -- Begin function _ZN12_GLOBAL__N_127rocblas_gemm_batched_kernelIfLi16ELi16ELi64ELi64ELi4ELi64ELi4ELi4ELi64ELc78ELc84EKPKfS3_KPfEEvlllT_PT11_llS8_llS6_PT12_llPT13_lli
	.p2align	8
	.type	_ZN12_GLOBAL__N_127rocblas_gemm_batched_kernelIfLi16ELi16ELi64ELi64ELi4ELi64ELi4ELi4ELi64ELc78ELc84EKPKfS3_KPfEEvlllT_PT11_llS8_llS6_PT12_llPT13_lli,@function
_ZN12_GLOBAL__N_127rocblas_gemm_batched_kernelIfLi16ELi16ELi64ELi64ELi4ELi64ELi4ELi4ELi64ELc78ELc84EKPKfS3_KPfEEvlllT_PT11_llS8_llS6_PT12_llPT13_lli: ; @_ZN12_GLOBAL__N_127rocblas_gemm_batched_kernelIfLi16ELi16ELi64ELi64ELi4ELi64ELi4ELi4ELi64ELc78ELc84EKPKfS3_KPfEEvlllT_PT11_llS8_llS6_PT12_llPT13_lli
; %bb.0:
	s_clause 0x1
	s_load_dwordx8 s[12:19], s[4:5], 0x58
	s_load_dwordx2 s[28:29], s[4:5], 0x10
	s_mov_b32 s9, 0
	s_mov_b32 s0, s7
	s_lshl_b64 s[34:35], s[8:9], 3
	s_load_dwordx4 s[8:11], s[4:5], 0x78
	v_mov_b32_e32 v18, 0
	v_mov_b32_e32 v21, 0
	;; [unrolled: 1-line block ×14, first 2 shown]
	s_waitcnt lgkmcnt(0)
	s_add_u32 s2, s12, s34
	s_addc_u32 s3, s13, s35
	s_add_u32 s18, s18, s34
	s_addc_u32 s19, s19, s35
	s_load_dwordx2 s[12:13], s[2:3], 0x0
	s_load_dwordx2 s[18:19], s[18:19], 0x0
	v_cmp_lt_i64_e64 s20, s[28:29], 1
	v_mov_b32_e32 v2, 0
	v_mov_b32_e32 v3, 0
	s_ashr_i32 s7, s6, 31
	s_ashr_i32 s1, s0, 31
	s_lshl_b64 s[6:7], s[6:7], 6
	s_and_b32 vcc_lo, exec_lo, s20
	s_lshl_b64 s[30:31], s[0:1], 6
	s_cbranch_vccnz .LBB178_3
; %bb.1:
	s_clause 0x1
	s_load_dwordx8 s[20:27], s[4:5], 0x20
	s_load_dwordx4 s[0:3], s[4:5], 0x40
	v_lshlrev_b32_e32 v8, 4, v1
	v_and_b32_e32 v9, 3, v0
	v_mov_b32_e32 v3, 0
	v_lshlrev_b32_e32 v22, 2, v0
	v_add_nc_u32_e32 v4, v8, v0
	v_lshlrev_b32_e32 v11, 2, v9
	v_add_nc_u32_e32 v23, 0x400, v8
	v_mov_b32_e32 v14, v3
	v_mov_b32_e32 v15, v3
	v_lshrrev_b32_e32 v2, 2, v4
	v_lshrrev_b32_e32 v12, 6, v4
	v_and_b32_e32 v10, 63, v4
	v_mov_b32_e32 v16, v3
	v_mov_b32_e32 v17, v3
	v_lshl_or_b32 v11, v2, 4, v11
	v_mov_b32_e32 v19, v3
	v_lshlrev_b32_e32 v13, 2, v10
	s_waitcnt lgkmcnt(0)
	v_mad_u64_u32 v[6:7], null, s22, v12, s[6:7]
	v_mad_u64_u32 v[4:5], null, s0, v9, v[2:3]
	s_add_u32 s20, s20, s34
	s_addc_u32 s21, s21, s35
	s_add_u32 s26, s26, s34
	s_addc_u32 s27, s27, s35
	s_load_dwordx2 s[20:21], s[20:21], 0x0
	s_load_dwordx2 s[26:27], s[26:27], 0x0
	v_mov_b32_e32 v2, v5
	v_mov_b32_e32 v5, v7
	v_add_co_u32 v4, vcc_lo, v4, s30
	s_lshl_b64 s[2:3], s[2:3], 2
	v_mad_u64_u32 v[7:8], null, s1, v9, v[2:3]
	v_mad_u64_u32 v[8:9], null, s23, v12, v[5:6]
	v_lshl_or_b32 v24, v12, 8, v13
	v_add_nc_u32_e32 v25, 0x400, v11
	v_mov_b32_e32 v2, v3
	v_mov_b32_e32 v9, v3
	v_add_co_ci_u32_e64 v5, null, s31, v7, vcc_lo
	v_add_co_u32 v6, vcc_lo, v6, v10
	v_add_co_ci_u32_e64 v7, null, 0, v8, vcc_lo
	v_lshlrev_b64 v[4:5], 2, v[4:5]
	s_waitcnt lgkmcnt(0)
	s_add_u32 s26, s26, s2
	s_addc_u32 s27, s27, s3
	v_lshlrev_b64 v[6:7], 2, v[6:7]
	s_lshl_b64 s[2:3], s[0:1], 4
	s_lshl_b64 s[0:1], s[24:25], 2
	v_add_co_u32 v4, vcc_lo, s26, v4
	s_add_u32 s0, s20, s0
	s_addc_u32 s1, s21, s1
	v_add_co_ci_u32_e64 v5, null, s27, v5, vcc_lo
	v_add_co_u32 v6, vcc_lo, s0, v6
	v_add_co_ci_u32_e64 v7, null, s1, v7, vcc_lo
	v_mov_b32_e32 v8, v3
	v_mov_b32_e32 v10, v3
	;; [unrolled: 1-line block ×8, first 2 shown]
	s_lshl_b64 s[20:21], s[22:23], 4
	s_mov_b64 s[22:23], 0
.LBB178_2:                              ; =>This Inner Loop Header: Depth=1
	flat_load_dword v26, v[6:7]
	s_add_u32 s22, s22, 4
	s_addc_u32 s23, s23, 0
	v_add_co_u32 v6, vcc_lo, v6, s20
	v_cmp_lt_i64_e64 s0, s[22:23], s[28:29]
	v_add_co_ci_u32_e64 v7, null, s21, v7, vcc_lo
	s_and_b32 vcc_lo, exec_lo, s0
	s_waitcnt vmcnt(0) lgkmcnt(0)
	ds_write_b32 v24, v26
	flat_load_dword v26, v[4:5]
	v_add_co_u32 v4, s0, v4, s2
	v_add_co_ci_u32_e64 v5, null, s3, v5, s0
	s_waitcnt vmcnt(0) lgkmcnt(0)
	ds_write_b32 v25, v26
	s_waitcnt lgkmcnt(0)
	s_barrier
	buffer_gl0_inv
	ds_read_b128 v[26:29], v23
	ds_read2_b32 v[42:43], v22 offset1:16
	ds_read2_b32 v[44:45], v22 offset0:32 offset1:48
	ds_read_b128 v[30:33], v23 offset:256
	ds_read_b128 v[34:37], v23 offset:512
	;; [unrolled: 1-line block ×3, first 2 shown]
	ds_read2_b32 v[46:47], v22 offset0:64 offset1:80
	ds_read2_b32 v[48:49], v22 offset0:96 offset1:112
	;; [unrolled: 1-line block ×6, first 2 shown]
	s_waitcnt lgkmcnt(0)
	s_barrier
	buffer_gl0_inv
	v_fmac_f32_e32 v18, v42, v26
	v_fmac_f32_e32 v21, v43, v26
	;; [unrolled: 1-line block ×64, first 2 shown]
	s_cbranch_vccnz .LBB178_2
.LBB178_3:
	s_clause 0x1
	s_load_dword s0, s[4:5], 0x50
	s_load_dword s1, s[4:5], 0x18
	v_add_co_u32 v4, s4, s30, v1
	v_add_co_ci_u32_e64 v7, null, s31, 0, s4
	v_add_co_u32 v0, s4, s6, v0
	v_add_co_ci_u32_e64 v1, null, s7, 0, s4
	v_mul_lo_u32 v5, v7, s8
	v_mul_lo_u32 v6, v4, s9
	s_lshl_b64 s[2:3], s[10:11], 2
	v_lshlrev_b64 v[0:1], 2, v[0:1]
	s_waitcnt lgkmcnt(0)
	s_add_u32 s2, s18, s2
	s_addc_u32 s3, s19, s3
	v_cmp_neq_f32_e64 s4, s0, 0
	s_and_b32 vcc_lo, exec_lo, s4
	s_mov_b32 s4, 0
	s_cbranch_vccnz .LBB178_7
; %bb.4:
	v_mad_u64_u32 v[22:23], null, v4, s8, 0
	s_lshl_b64 s[6:7], s[8:9], 6
	v_mul_f32_e32 v26, s1, v18
	v_mul_f32_e32 v27, s1, v21
	;; [unrolled: 1-line block ×5, first 2 shown]
	v_add3_u32 v23, v23, v6, v5
	v_mul_f32_e32 v31, s1, v16
	v_mul_f32_e32 v32, s1, v15
	;; [unrolled: 1-line block ×3, first 2 shown]
	v_lshlrev_b64 v[22:23], 2, v[22:23]
	v_add_co_u32 v22, vcc_lo, s2, v22
	v_add_co_ci_u32_e64 v23, null, s3, v23, vcc_lo
	v_add_co_u32 v34, vcc_lo, v22, s6
	v_add_co_ci_u32_e64 v35, null, s7, v23, vcc_lo
	;; [unrolled: 2-line block ×4, first 2 shown]
	flat_store_dword v[22:23], v26
	flat_store_dword v[22:23], v27 offset:64
	flat_store_dword v[22:23], v28 offset:128
	;; [unrolled: 1-line block ×3, first 2 shown]
	flat_store_dword v[24:25], v30
	flat_store_dword v[24:25], v31 offset:64
	v_add_co_u32 v26, vcc_lo, v34, s6
	v_add_co_ci_u32_e64 v27, null, s7, v35, vcc_lo
	v_mul_f32_e32 v28, s1, v13
	v_add_co_u32 v22, vcc_lo, v26, v0
	v_add_co_ci_u32_e64 v23, null, v27, v1, vcc_lo
	v_mul_f32_e32 v29, s1, v12
	v_mul_f32_e32 v30, s1, v11
	flat_store_dword v[24:25], v32 offset:128
	flat_store_dword v[24:25], v33 offset:192
	flat_store_dword v[22:23], v28
	flat_store_dword v[22:23], v29 offset:64
	flat_store_dword v[22:23], v30 offset:128
	v_add_co_u32 v24, vcc_lo, v26, s6
	v_add_co_ci_u32_e64 v25, null, s7, v27, vcc_lo
	v_mul_f32_e32 v28, s1, v10
	v_add_co_u32 v24, vcc_lo, v24, v0
	v_mul_f32_e32 v26, s1, v9
	v_add_co_ci_u32_e64 v25, null, v25, v1, vcc_lo
	v_mul_f32_e32 v27, s1, v8
	v_mul_f32_e32 v29, s1, v2
	;; [unrolled: 1-line block ×3, first 2 shown]
	flat_store_dword v[22:23], v28 offset:192
	flat_store_dword v[24:25], v26
	flat_store_dword v[24:25], v27 offset:64
	flat_store_dword v[24:25], v29 offset:128
	;; [unrolled: 1-line block ×3, first 2 shown]
	s_andn2_b32 vcc_lo, exec_lo, s4
	s_cbranch_vccnz .LBB178_6
.LBB178_5:
	v_mul_lo_u32 v7, v7, s14
	v_mul_lo_u32 v24, v4, s15
	v_mad_u64_u32 v[22:23], null, v4, s14, 0
	s_lshl_b64 s[4:5], s[16:17], 2
	s_add_u32 s4, s12, s4
	s_addc_u32 s5, s13, s5
	v_add3_u32 v23, v23, v24, v7
	v_mad_u64_u32 v[24:25], null, v4, s8, 0
	v_lshlrev_b64 v[22:23], 2, v[22:23]
	v_add3_u32 v25, v25, v6, v5
	v_add_co_u32 v7, vcc_lo, s4, v22
	v_add_co_ci_u32_e64 v26, null, s5, v23, vcc_lo
	v_lshlrev_b64 v[4:5], 2, v[24:25]
	v_add_co_u32 v22, vcc_lo, v7, v0
	v_add_co_ci_u32_e64 v23, null, v26, v1, vcc_lo
	s_lshl_b64 s[4:5], s[8:9], 6
	v_add_co_u32 v24, vcc_lo, s2, v4
	flat_load_dword v27, v[22:23]
	v_add_co_ci_u32_e64 v25, null, s3, v5, vcc_lo
	v_add_co_u32 v4, vcc_lo, v24, v0
	s_lshl_b64 s[2:3], s[14:15], 6
	v_add_co_ci_u32_e64 v5, null, v25, v1, vcc_lo
	s_waitcnt vmcnt(0) lgkmcnt(0)
	v_mul_f32_e32 v6, s0, v27
	v_fmac_f32_e32 v6, s1, v18
	flat_store_dword v[4:5], v6
	flat_load_dword v6, v[22:23] offset:64
	s_waitcnt vmcnt(0) lgkmcnt(0)
	v_mul_f32_e32 v6, s0, v6
	v_fmac_f32_e32 v6, s1, v21
	flat_store_dword v[4:5], v6 offset:64
	flat_load_dword v6, v[22:23] offset:128
	s_waitcnt vmcnt(0) lgkmcnt(0)
	v_mul_f32_e32 v6, s0, v6
	v_fmac_f32_e32 v6, s1, v20
	v_add_co_u32 v20, vcc_lo, v7, s2
	v_add_co_ci_u32_e64 v21, null, s3, v26, vcc_lo
	flat_store_dword v[4:5], v6 offset:128
	flat_load_dword v6, v[22:23] offset:192
	s_waitcnt vmcnt(0) lgkmcnt(0)
	v_mul_f32_e32 v18, s0, v6
	v_add_co_u32 v6, vcc_lo, v20, v0
	v_add_co_ci_u32_e64 v7, null, v21, v1, vcc_lo
	v_fmac_f32_e32 v18, s1, v19
	flat_store_dword v[4:5], v18 offset:192
	flat_load_dword v4, v[6:7]
	v_add_co_u32 v18, vcc_lo, v24, s4
	v_add_co_ci_u32_e64 v19, null, s5, v25, vcc_lo
	s_waitcnt vmcnt(0) lgkmcnt(0)
	v_mul_f32_e32 v22, s0, v4
	v_add_co_u32 v4, vcc_lo, v18, v0
	v_add_co_ci_u32_e64 v5, null, v19, v1, vcc_lo
	v_fmac_f32_e32 v22, s1, v17
	flat_store_dword v[4:5], v22
	flat_load_dword v17, v[6:7] offset:64
	s_waitcnt vmcnt(0) lgkmcnt(0)
	v_mul_f32_e32 v17, s0, v17
	v_fmac_f32_e32 v17, s1, v16
	flat_store_dword v[4:5], v17 offset:64
	flat_load_dword v16, v[6:7] offset:128
	s_waitcnt vmcnt(0) lgkmcnt(0)
	v_mul_f32_e32 v16, s0, v16
	v_fmac_f32_e32 v16, s1, v15
	flat_store_dword v[4:5], v16 offset:128
	flat_load_dword v6, v[6:7] offset:192
	v_add_co_u32 v16, vcc_lo, v20, s2
	v_add_co_ci_u32_e64 v17, null, s3, v21, vcc_lo
	s_waitcnt vmcnt(0) lgkmcnt(0)
	v_mul_f32_e32 v15, s0, v6
	v_add_co_u32 v6, vcc_lo, v16, v0
	v_add_co_ci_u32_e64 v7, null, v17, v1, vcc_lo
	v_fmac_f32_e32 v15, s1, v14
	v_add_co_u32 v14, vcc_lo, v18, s4
	flat_store_dword v[4:5], v15 offset:192
	flat_load_dword v4, v[6:7]
	v_add_co_ci_u32_e64 v15, null, s5, v19, vcc_lo
	s_waitcnt vmcnt(0) lgkmcnt(0)
	v_mul_f32_e32 v18, s0, v4
	v_add_co_u32 v4, vcc_lo, v14, v0
	v_add_co_ci_u32_e64 v5, null, v15, v1, vcc_lo
	v_fmac_f32_e32 v18, s1, v13
	flat_store_dword v[4:5], v18
	flat_load_dword v13, v[6:7] offset:64
	s_waitcnt vmcnt(0) lgkmcnt(0)
	v_mul_f32_e32 v13, s0, v13
	v_fmac_f32_e32 v13, s1, v12
	flat_store_dword v[4:5], v13 offset:64
	flat_load_dword v12, v[6:7] offset:128
	s_waitcnt vmcnt(0) lgkmcnt(0)
	v_mul_f32_e32 v12, s0, v12
	v_fmac_f32_e32 v12, s1, v11
	flat_store_dword v[4:5], v12 offset:128
	flat_load_dword v6, v[6:7] offset:192
	s_waitcnt vmcnt(0) lgkmcnt(0)
	v_mul_f32_e32 v11, s0, v6
	v_add_co_u32 v6, vcc_lo, v16, s2
	v_add_co_ci_u32_e64 v7, null, s3, v17, vcc_lo
	v_fmac_f32_e32 v11, s1, v10
	v_add_co_u32 v6, vcc_lo, v6, v0
	v_add_co_ci_u32_e64 v7, null, v7, v1, vcc_lo
	flat_store_dword v[4:5], v11 offset:192
	v_add_co_u32 v5, vcc_lo, v14, s4
	flat_load_dword v4, v[6:7]
	v_add_co_ci_u32_e64 v10, null, s5, v15, vcc_lo
	v_add_co_u32 v0, vcc_lo, v5, v0
	v_add_co_ci_u32_e64 v1, null, v10, v1, vcc_lo
	s_waitcnt vmcnt(0) lgkmcnt(0)
	v_mul_f32_e32 v4, s0, v4
	v_fmac_f32_e32 v4, s1, v9
	flat_store_dword v[0:1], v4
	flat_load_dword v4, v[6:7] offset:64
	s_waitcnt vmcnt(0) lgkmcnt(0)
	v_mul_f32_e32 v4, s0, v4
	v_fmac_f32_e32 v4, s1, v8
	flat_store_dword v[0:1], v4 offset:64
	flat_load_dword v4, v[6:7] offset:128
	s_waitcnt vmcnt(0) lgkmcnt(0)
	v_mul_f32_e32 v4, s0, v4
	v_fmac_f32_e32 v4, s1, v2
	flat_store_dword v[0:1], v4 offset:128
	;; [unrolled: 5-line block ×3, first 2 shown]
.LBB178_6:
	s_endpgm
.LBB178_7:
	s_branch .LBB178_5
	.section	.rodata,"a",@progbits
	.p2align	6, 0x0
	.amdhsa_kernel _ZN12_GLOBAL__N_127rocblas_gemm_batched_kernelIfLi16ELi16ELi64ELi64ELi4ELi64ELi4ELi4ELi64ELc78ELc84EKPKfS3_KPfEEvlllT_PT11_llS8_llS6_PT12_llPT13_lli
		.amdhsa_group_segment_fixed_size 2048
		.amdhsa_private_segment_fixed_size 0
		.amdhsa_kernarg_size 140
		.amdhsa_user_sgpr_count 6
		.amdhsa_user_sgpr_private_segment_buffer 1
		.amdhsa_user_sgpr_dispatch_ptr 0
		.amdhsa_user_sgpr_queue_ptr 0
		.amdhsa_user_sgpr_kernarg_segment_ptr 1
		.amdhsa_user_sgpr_dispatch_id 0
		.amdhsa_user_sgpr_flat_scratch_init 0
		.amdhsa_user_sgpr_private_segment_size 0
		.amdhsa_wavefront_size32 1
		.amdhsa_uses_dynamic_stack 0
		.amdhsa_system_sgpr_private_segment_wavefront_offset 0
		.amdhsa_system_sgpr_workgroup_id_x 1
		.amdhsa_system_sgpr_workgroup_id_y 1
		.amdhsa_system_sgpr_workgroup_id_z 1
		.amdhsa_system_sgpr_workgroup_info 0
		.amdhsa_system_vgpr_workitem_id 1
		.amdhsa_next_free_vgpr 58
		.amdhsa_next_free_sgpr 36
		.amdhsa_reserve_vcc 1
		.amdhsa_reserve_flat_scratch 0
		.amdhsa_float_round_mode_32 0
		.amdhsa_float_round_mode_16_64 0
		.amdhsa_float_denorm_mode_32 3
		.amdhsa_float_denorm_mode_16_64 3
		.amdhsa_dx10_clamp 1
		.amdhsa_ieee_mode 1
		.amdhsa_fp16_overflow 0
		.amdhsa_workgroup_processor_mode 1
		.amdhsa_memory_ordered 1
		.amdhsa_forward_progress 1
		.amdhsa_shared_vgpr_count 0
		.amdhsa_exception_fp_ieee_invalid_op 0
		.amdhsa_exception_fp_denorm_src 0
		.amdhsa_exception_fp_ieee_div_zero 0
		.amdhsa_exception_fp_ieee_overflow 0
		.amdhsa_exception_fp_ieee_underflow 0
		.amdhsa_exception_fp_ieee_inexact 0
		.amdhsa_exception_int_div_zero 0
	.end_amdhsa_kernel
	.section	.text._ZN12_GLOBAL__N_127rocblas_gemm_batched_kernelIfLi16ELi16ELi64ELi64ELi4ELi64ELi4ELi4ELi64ELc78ELc84EKPKfS3_KPfEEvlllT_PT11_llS8_llS6_PT12_llPT13_lli,"axG",@progbits,_ZN12_GLOBAL__N_127rocblas_gemm_batched_kernelIfLi16ELi16ELi64ELi64ELi4ELi64ELi4ELi4ELi64ELc78ELc84EKPKfS3_KPfEEvlllT_PT11_llS8_llS6_PT12_llPT13_lli,comdat
.Lfunc_end178:
	.size	_ZN12_GLOBAL__N_127rocblas_gemm_batched_kernelIfLi16ELi16ELi64ELi64ELi4ELi64ELi4ELi4ELi64ELc78ELc84EKPKfS3_KPfEEvlllT_PT11_llS8_llS6_PT12_llPT13_lli, .Lfunc_end178-_ZN12_GLOBAL__N_127rocblas_gemm_batched_kernelIfLi16ELi16ELi64ELi64ELi4ELi64ELi4ELi4ELi64ELc78ELc84EKPKfS3_KPfEEvlllT_PT11_llS8_llS6_PT12_llPT13_lli
                                        ; -- End function
	.set _ZN12_GLOBAL__N_127rocblas_gemm_batched_kernelIfLi16ELi16ELi64ELi64ELi4ELi64ELi4ELi4ELi64ELc78ELc84EKPKfS3_KPfEEvlllT_PT11_llS8_llS6_PT12_llPT13_lli.num_vgpr, 58
	.set _ZN12_GLOBAL__N_127rocblas_gemm_batched_kernelIfLi16ELi16ELi64ELi64ELi4ELi64ELi4ELi4ELi64ELc78ELc84EKPKfS3_KPfEEvlllT_PT11_llS8_llS6_PT12_llPT13_lli.num_agpr, 0
	.set _ZN12_GLOBAL__N_127rocblas_gemm_batched_kernelIfLi16ELi16ELi64ELi64ELi4ELi64ELi4ELi4ELi64ELc78ELc84EKPKfS3_KPfEEvlllT_PT11_llS8_llS6_PT12_llPT13_lli.numbered_sgpr, 36
	.set _ZN12_GLOBAL__N_127rocblas_gemm_batched_kernelIfLi16ELi16ELi64ELi64ELi4ELi64ELi4ELi4ELi64ELc78ELc84EKPKfS3_KPfEEvlllT_PT11_llS8_llS6_PT12_llPT13_lli.num_named_barrier, 0
	.set _ZN12_GLOBAL__N_127rocblas_gemm_batched_kernelIfLi16ELi16ELi64ELi64ELi4ELi64ELi4ELi4ELi64ELc78ELc84EKPKfS3_KPfEEvlllT_PT11_llS8_llS6_PT12_llPT13_lli.private_seg_size, 0
	.set _ZN12_GLOBAL__N_127rocblas_gemm_batched_kernelIfLi16ELi16ELi64ELi64ELi4ELi64ELi4ELi4ELi64ELc78ELc84EKPKfS3_KPfEEvlllT_PT11_llS8_llS6_PT12_llPT13_lli.uses_vcc, 1
	.set _ZN12_GLOBAL__N_127rocblas_gemm_batched_kernelIfLi16ELi16ELi64ELi64ELi4ELi64ELi4ELi4ELi64ELc78ELc84EKPKfS3_KPfEEvlllT_PT11_llS8_llS6_PT12_llPT13_lli.uses_flat_scratch, 0
	.set _ZN12_GLOBAL__N_127rocblas_gemm_batched_kernelIfLi16ELi16ELi64ELi64ELi4ELi64ELi4ELi4ELi64ELc78ELc84EKPKfS3_KPfEEvlllT_PT11_llS8_llS6_PT12_llPT13_lli.has_dyn_sized_stack, 0
	.set _ZN12_GLOBAL__N_127rocblas_gemm_batched_kernelIfLi16ELi16ELi64ELi64ELi4ELi64ELi4ELi4ELi64ELc78ELc84EKPKfS3_KPfEEvlllT_PT11_llS8_llS6_PT12_llPT13_lli.has_recursion, 0
	.set _ZN12_GLOBAL__N_127rocblas_gemm_batched_kernelIfLi16ELi16ELi64ELi64ELi4ELi64ELi4ELi4ELi64ELc78ELc84EKPKfS3_KPfEEvlllT_PT11_llS8_llS6_PT12_llPT13_lli.has_indirect_call, 0
	.section	.AMDGPU.csdata,"",@progbits
; Kernel info:
; codeLenInByte = 2264
; TotalNumSgprs: 38
; NumVgprs: 58
; ScratchSize: 0
; MemoryBound: 0
; FloatMode: 240
; IeeeMode: 1
; LDSByteSize: 2048 bytes/workgroup (compile time only)
; SGPRBlocks: 0
; VGPRBlocks: 7
; NumSGPRsForWavesPerEU: 38
; NumVGPRsForWavesPerEU: 58
; Occupancy: 16
; WaveLimiterHint : 1
; COMPUTE_PGM_RSRC2:SCRATCH_EN: 0
; COMPUTE_PGM_RSRC2:USER_SGPR: 6
; COMPUTE_PGM_RSRC2:TRAP_HANDLER: 0
; COMPUTE_PGM_RSRC2:TGID_X_EN: 1
; COMPUTE_PGM_RSRC2:TGID_Y_EN: 1
; COMPUTE_PGM_RSRC2:TGID_Z_EN: 1
; COMPUTE_PGM_RSRC2:TIDIG_COMP_CNT: 1
	.section	.text._ZN12_GLOBAL__N_127rocblas_gemm_batched_kernelIfLi16ELi16ELi64ELi64ELi4ELi64ELi4ELi4ELi64ELc84ELc84EKPKfS3_KPfEEvlllT_PT11_llS8_llS6_PT12_llPT13_lli,"axG",@progbits,_ZN12_GLOBAL__N_127rocblas_gemm_batched_kernelIfLi16ELi16ELi64ELi64ELi4ELi64ELi4ELi4ELi64ELc84ELc84EKPKfS3_KPfEEvlllT_PT11_llS8_llS6_PT12_llPT13_lli,comdat
	.globl	_ZN12_GLOBAL__N_127rocblas_gemm_batched_kernelIfLi16ELi16ELi64ELi64ELi4ELi64ELi4ELi4ELi64ELc84ELc84EKPKfS3_KPfEEvlllT_PT11_llS8_llS6_PT12_llPT13_lli ; -- Begin function _ZN12_GLOBAL__N_127rocblas_gemm_batched_kernelIfLi16ELi16ELi64ELi64ELi4ELi64ELi4ELi4ELi64ELc84ELc84EKPKfS3_KPfEEvlllT_PT11_llS8_llS6_PT12_llPT13_lli
	.p2align	8
	.type	_ZN12_GLOBAL__N_127rocblas_gemm_batched_kernelIfLi16ELi16ELi64ELi64ELi4ELi64ELi4ELi4ELi64ELc84ELc84EKPKfS3_KPfEEvlllT_PT11_llS8_llS6_PT12_llPT13_lli,@function
_ZN12_GLOBAL__N_127rocblas_gemm_batched_kernelIfLi16ELi16ELi64ELi64ELi4ELi64ELi4ELi4ELi64ELc84ELc84EKPKfS3_KPfEEvlllT_PT11_llS8_llS6_PT12_llPT13_lli: ; @_ZN12_GLOBAL__N_127rocblas_gemm_batched_kernelIfLi16ELi16ELi64ELi64ELi4ELi64ELi4ELi4ELi64ELc84ELc84EKPKfS3_KPfEEvlllT_PT11_llS8_llS6_PT12_llPT13_lli
; %bb.0:
	s_clause 0x1
	s_load_dwordx8 s[12:19], s[4:5], 0x58
	s_load_dwordx2 s[28:29], s[4:5], 0x10
	s_mov_b32 s9, 0
	s_mov_b32 s0, s7
	s_lshl_b64 s[34:35], s[8:9], 3
	s_load_dwordx4 s[8:11], s[4:5], 0x78
	v_mov_b32_e32 v18, 0
	v_mov_b32_e32 v21, 0
	;; [unrolled: 1-line block ×14, first 2 shown]
	s_waitcnt lgkmcnt(0)
	s_add_u32 s2, s12, s34
	s_addc_u32 s3, s13, s35
	s_add_u32 s18, s18, s34
	s_addc_u32 s19, s19, s35
	s_load_dwordx2 s[12:13], s[2:3], 0x0
	s_load_dwordx2 s[18:19], s[18:19], 0x0
	v_cmp_lt_i64_e64 s20, s[28:29], 1
	v_mov_b32_e32 v2, 0
	v_mov_b32_e32 v3, 0
	s_ashr_i32 s7, s6, 31
	s_ashr_i32 s1, s0, 31
	s_lshl_b64 s[6:7], s[6:7], 6
	s_and_b32 vcc_lo, exec_lo, s20
	s_lshl_b64 s[30:31], s[0:1], 6
	s_cbranch_vccnz .LBB179_3
; %bb.1:
	s_clause 0x1
	s_load_dwordx8 s[20:27], s[4:5], 0x20
	s_load_dwordx4 s[0:3], s[4:5], 0x40
	v_lshlrev_b32_e32 v8, 4, v1
	v_and_b32_e32 v10, 3, v0
	v_mov_b32_e32 v3, 0
	v_lshlrev_b32_e32 v22, 2, v0
	v_add_nc_u32_e32 v9, v8, v0
	v_lshlrev_b32_e32 v12, 2, v10
	v_add_nc_u32_e32 v23, 0x400, v8
	v_mov_b32_e32 v16, v3
	v_mov_b32_e32 v17, v3
	v_and_b32_e32 v11, 63, v9
	v_lshrrev_b32_e32 v2, 2, v9
	v_lshrrev_b32_e32 v9, 6, v9
	v_mov_b32_e32 v19, v3
	v_mov_b32_e32 v20, v3
	v_add_co_u32 v6, s33, s6, v11
	v_add_co_ci_u32_e64 v7, null, s7, 0, s33
	s_waitcnt lgkmcnt(0)
	s_add_u32 s20, s20, s34
	s_addc_u32 s21, s21, s35
	s_add_u32 s26, s26, s34
	s_addc_u32 s27, s27, s35
	v_mad_u64_u32 v[4:5], null, s0, v10, v[2:3]
	s_load_dwordx2 s[26:27], s[26:27], 0x0
	v_mul_lo_u32 v13, s23, v6
	v_mul_lo_u32 v14, s22, v7
	v_mad_u64_u32 v[6:7], null, s22, v6, 0
	v_lshlrev_b32_e32 v11, 2, v11
	v_lshl_or_b32 v12, v2, 4, v12
	v_mov_b32_e32 v2, v5
	v_lshlrev_b32_e32 v15, 2, v9
	s_load_dwordx2 s[20:21], s[20:21], 0x0
	v_lshl_or_b32 v24, v9, 8, v11
	v_add3_u32 v7, v7, v14, v13
	v_mad_u64_u32 v[8:9], null, s1, v10, v[2:3]
	s_lshl_b64 s[2:3], s[2:3], 2
	v_add_nc_u32_e32 v25, 0x400, v12
	v_lshlrev_b64 v[5:6], 2, v[6:7]
	v_add_co_u32 v7, vcc_lo, v4, s30
	v_mov_b32_e32 v9, v3
	v_add_co_ci_u32_e64 v8, null, s31, v8, vcc_lo
	s_waitcnt lgkmcnt(0)
	s_add_u32 s22, s26, s2
	s_addc_u32 s23, s27, s3
	s_lshl_b64 s[2:3], s[24:25], 2
	v_mov_b32_e32 v10, v3
	v_add_co_u32 v2, vcc_lo, v5, s2
	v_add_co_ci_u32_e64 v6, null, s3, v6, vcc_lo
	v_lshlrev_b64 v[4:5], 2, v[7:8]
	v_add_co_u32 v2, vcc_lo, v2, v15
	v_add_co_ci_u32_e64 v7, null, 0, v6, vcc_lo
	v_mov_b32_e32 v8, v3
	v_add_co_u32 v4, vcc_lo, s22, v4
	v_add_co_ci_u32_e64 v5, null, s23, v5, vcc_lo
	v_add_co_u32 v6, vcc_lo, s20, v2
	v_add_co_ci_u32_e64 v7, null, s21, v7, vcc_lo
	v_mov_b32_e32 v2, v3
	v_mov_b32_e32 v11, v3
	;; [unrolled: 1-line block ×8, first 2 shown]
	s_lshl_b64 s[2:3], s[0:1], 4
	s_mov_b64 s[20:21], 0
.LBB179_2:                              ; =>This Inner Loop Header: Depth=1
	flat_load_dword v26, v[6:7]
	s_add_u32 s20, s20, 4
	s_addc_u32 s21, s21, 0
	v_add_co_u32 v6, vcc_lo, v6, 16
	v_cmp_lt_i64_e64 s0, s[20:21], s[28:29]
	v_add_co_ci_u32_e64 v7, null, 0, v7, vcc_lo
	s_and_b32 vcc_lo, exec_lo, s0
	s_waitcnt vmcnt(0) lgkmcnt(0)
	ds_write_b32 v24, v26
	flat_load_dword v26, v[4:5]
	v_add_co_u32 v4, s0, v4, s2
	v_add_co_ci_u32_e64 v5, null, s3, v5, s0
	s_waitcnt vmcnt(0) lgkmcnt(0)
	ds_write_b32 v25, v26
	s_waitcnt lgkmcnt(0)
	s_barrier
	buffer_gl0_inv
	ds_read_b128 v[26:29], v23
	ds_read2_b32 v[42:43], v22 offset1:16
	ds_read2_b32 v[44:45], v22 offset0:32 offset1:48
	ds_read_b128 v[30:33], v23 offset:256
	ds_read_b128 v[34:37], v23 offset:512
	;; [unrolled: 1-line block ×3, first 2 shown]
	ds_read2_b32 v[46:47], v22 offset0:64 offset1:80
	ds_read2_b32 v[48:49], v22 offset0:96 offset1:112
	;; [unrolled: 1-line block ×6, first 2 shown]
	s_waitcnt lgkmcnt(0)
	s_barrier
	buffer_gl0_inv
	v_fmac_f32_e32 v18, v42, v26
	v_fmac_f32_e32 v21, v43, v26
	;; [unrolled: 1-line block ×64, first 2 shown]
	s_cbranch_vccnz .LBB179_2
.LBB179_3:
	s_clause 0x1
	s_load_dword s0, s[4:5], 0x50
	s_load_dword s1, s[4:5], 0x18
	v_add_co_u32 v4, s4, s30, v1
	v_add_co_ci_u32_e64 v7, null, s31, 0, s4
	v_add_co_u32 v0, s4, s6, v0
	v_add_co_ci_u32_e64 v1, null, s7, 0, s4
	v_mul_lo_u32 v5, v7, s8
	v_mul_lo_u32 v6, v4, s9
	s_lshl_b64 s[2:3], s[10:11], 2
	v_lshlrev_b64 v[0:1], 2, v[0:1]
	s_waitcnt lgkmcnt(0)
	s_add_u32 s2, s18, s2
	s_addc_u32 s3, s19, s3
	v_cmp_neq_f32_e64 s4, s0, 0
	s_and_b32 vcc_lo, exec_lo, s4
	s_mov_b32 s4, 0
	s_cbranch_vccnz .LBB179_7
; %bb.4:
	v_mad_u64_u32 v[22:23], null, v4, s8, 0
	s_lshl_b64 s[6:7], s[8:9], 6
	v_mul_f32_e32 v26, s1, v18
	v_mul_f32_e32 v27, s1, v21
	;; [unrolled: 1-line block ×5, first 2 shown]
	v_add3_u32 v23, v23, v6, v5
	v_mul_f32_e32 v31, s1, v16
	v_mul_f32_e32 v32, s1, v15
	;; [unrolled: 1-line block ×3, first 2 shown]
	v_lshlrev_b64 v[22:23], 2, v[22:23]
	v_add_co_u32 v22, vcc_lo, s2, v22
	v_add_co_ci_u32_e64 v23, null, s3, v23, vcc_lo
	v_add_co_u32 v34, vcc_lo, v22, s6
	v_add_co_ci_u32_e64 v35, null, s7, v23, vcc_lo
	;; [unrolled: 2-line block ×4, first 2 shown]
	flat_store_dword v[22:23], v26
	flat_store_dword v[22:23], v27 offset:64
	flat_store_dword v[22:23], v28 offset:128
	;; [unrolled: 1-line block ×3, first 2 shown]
	flat_store_dword v[24:25], v30
	flat_store_dword v[24:25], v31 offset:64
	v_add_co_u32 v26, vcc_lo, v34, s6
	v_add_co_ci_u32_e64 v27, null, s7, v35, vcc_lo
	v_mul_f32_e32 v28, s1, v13
	v_add_co_u32 v22, vcc_lo, v26, v0
	v_add_co_ci_u32_e64 v23, null, v27, v1, vcc_lo
	v_mul_f32_e32 v29, s1, v12
	v_mul_f32_e32 v30, s1, v11
	flat_store_dword v[24:25], v32 offset:128
	flat_store_dword v[24:25], v33 offset:192
	flat_store_dword v[22:23], v28
	flat_store_dword v[22:23], v29 offset:64
	flat_store_dword v[22:23], v30 offset:128
	v_add_co_u32 v24, vcc_lo, v26, s6
	v_add_co_ci_u32_e64 v25, null, s7, v27, vcc_lo
	v_mul_f32_e32 v28, s1, v10
	v_add_co_u32 v24, vcc_lo, v24, v0
	v_mul_f32_e32 v26, s1, v9
	v_add_co_ci_u32_e64 v25, null, v25, v1, vcc_lo
	v_mul_f32_e32 v27, s1, v8
	v_mul_f32_e32 v29, s1, v2
	;; [unrolled: 1-line block ×3, first 2 shown]
	flat_store_dword v[22:23], v28 offset:192
	flat_store_dword v[24:25], v26
	flat_store_dword v[24:25], v27 offset:64
	flat_store_dword v[24:25], v29 offset:128
	;; [unrolled: 1-line block ×3, first 2 shown]
	s_andn2_b32 vcc_lo, exec_lo, s4
	s_cbranch_vccnz .LBB179_6
.LBB179_5:
	v_mul_lo_u32 v7, v7, s14
	v_mul_lo_u32 v24, v4, s15
	v_mad_u64_u32 v[22:23], null, v4, s14, 0
	s_lshl_b64 s[4:5], s[16:17], 2
	s_add_u32 s4, s12, s4
	s_addc_u32 s5, s13, s5
	v_add3_u32 v23, v23, v24, v7
	v_mad_u64_u32 v[24:25], null, v4, s8, 0
	v_lshlrev_b64 v[22:23], 2, v[22:23]
	v_add3_u32 v25, v25, v6, v5
	v_add_co_u32 v7, vcc_lo, s4, v22
	v_add_co_ci_u32_e64 v26, null, s5, v23, vcc_lo
	v_lshlrev_b64 v[4:5], 2, v[24:25]
	v_add_co_u32 v22, vcc_lo, v7, v0
	v_add_co_ci_u32_e64 v23, null, v26, v1, vcc_lo
	s_lshl_b64 s[4:5], s[8:9], 6
	v_add_co_u32 v24, vcc_lo, s2, v4
	flat_load_dword v27, v[22:23]
	v_add_co_ci_u32_e64 v25, null, s3, v5, vcc_lo
	v_add_co_u32 v4, vcc_lo, v24, v0
	s_lshl_b64 s[2:3], s[14:15], 6
	v_add_co_ci_u32_e64 v5, null, v25, v1, vcc_lo
	s_waitcnt vmcnt(0) lgkmcnt(0)
	v_mul_f32_e32 v6, s0, v27
	v_fmac_f32_e32 v6, s1, v18
	flat_store_dword v[4:5], v6
	flat_load_dword v6, v[22:23] offset:64
	s_waitcnt vmcnt(0) lgkmcnt(0)
	v_mul_f32_e32 v6, s0, v6
	v_fmac_f32_e32 v6, s1, v21
	flat_store_dword v[4:5], v6 offset:64
	flat_load_dword v6, v[22:23] offset:128
	s_waitcnt vmcnt(0) lgkmcnt(0)
	v_mul_f32_e32 v6, s0, v6
	v_fmac_f32_e32 v6, s1, v20
	v_add_co_u32 v20, vcc_lo, v7, s2
	v_add_co_ci_u32_e64 v21, null, s3, v26, vcc_lo
	flat_store_dword v[4:5], v6 offset:128
	flat_load_dword v6, v[22:23] offset:192
	s_waitcnt vmcnt(0) lgkmcnt(0)
	v_mul_f32_e32 v18, s0, v6
	v_add_co_u32 v6, vcc_lo, v20, v0
	v_add_co_ci_u32_e64 v7, null, v21, v1, vcc_lo
	v_fmac_f32_e32 v18, s1, v19
	flat_store_dword v[4:5], v18 offset:192
	flat_load_dword v4, v[6:7]
	v_add_co_u32 v18, vcc_lo, v24, s4
	v_add_co_ci_u32_e64 v19, null, s5, v25, vcc_lo
	s_waitcnt vmcnt(0) lgkmcnt(0)
	v_mul_f32_e32 v22, s0, v4
	v_add_co_u32 v4, vcc_lo, v18, v0
	v_add_co_ci_u32_e64 v5, null, v19, v1, vcc_lo
	v_fmac_f32_e32 v22, s1, v17
	flat_store_dword v[4:5], v22
	flat_load_dword v17, v[6:7] offset:64
	s_waitcnt vmcnt(0) lgkmcnt(0)
	v_mul_f32_e32 v17, s0, v17
	v_fmac_f32_e32 v17, s1, v16
	flat_store_dword v[4:5], v17 offset:64
	flat_load_dword v16, v[6:7] offset:128
	s_waitcnt vmcnt(0) lgkmcnt(0)
	v_mul_f32_e32 v16, s0, v16
	v_fmac_f32_e32 v16, s1, v15
	flat_store_dword v[4:5], v16 offset:128
	flat_load_dword v6, v[6:7] offset:192
	v_add_co_u32 v16, vcc_lo, v20, s2
	v_add_co_ci_u32_e64 v17, null, s3, v21, vcc_lo
	s_waitcnt vmcnt(0) lgkmcnt(0)
	v_mul_f32_e32 v15, s0, v6
	v_add_co_u32 v6, vcc_lo, v16, v0
	v_add_co_ci_u32_e64 v7, null, v17, v1, vcc_lo
	v_fmac_f32_e32 v15, s1, v14
	v_add_co_u32 v14, vcc_lo, v18, s4
	flat_store_dword v[4:5], v15 offset:192
	flat_load_dword v4, v[6:7]
	v_add_co_ci_u32_e64 v15, null, s5, v19, vcc_lo
	s_waitcnt vmcnt(0) lgkmcnt(0)
	v_mul_f32_e32 v18, s0, v4
	v_add_co_u32 v4, vcc_lo, v14, v0
	v_add_co_ci_u32_e64 v5, null, v15, v1, vcc_lo
	v_fmac_f32_e32 v18, s1, v13
	flat_store_dword v[4:5], v18
	flat_load_dword v13, v[6:7] offset:64
	s_waitcnt vmcnt(0) lgkmcnt(0)
	v_mul_f32_e32 v13, s0, v13
	v_fmac_f32_e32 v13, s1, v12
	flat_store_dword v[4:5], v13 offset:64
	flat_load_dword v12, v[6:7] offset:128
	s_waitcnt vmcnt(0) lgkmcnt(0)
	v_mul_f32_e32 v12, s0, v12
	v_fmac_f32_e32 v12, s1, v11
	flat_store_dword v[4:5], v12 offset:128
	flat_load_dword v6, v[6:7] offset:192
	s_waitcnt vmcnt(0) lgkmcnt(0)
	v_mul_f32_e32 v11, s0, v6
	v_add_co_u32 v6, vcc_lo, v16, s2
	v_add_co_ci_u32_e64 v7, null, s3, v17, vcc_lo
	v_fmac_f32_e32 v11, s1, v10
	v_add_co_u32 v6, vcc_lo, v6, v0
	v_add_co_ci_u32_e64 v7, null, v7, v1, vcc_lo
	flat_store_dword v[4:5], v11 offset:192
	v_add_co_u32 v5, vcc_lo, v14, s4
	flat_load_dword v4, v[6:7]
	v_add_co_ci_u32_e64 v10, null, s5, v15, vcc_lo
	v_add_co_u32 v0, vcc_lo, v5, v0
	v_add_co_ci_u32_e64 v1, null, v10, v1, vcc_lo
	s_waitcnt vmcnt(0) lgkmcnt(0)
	v_mul_f32_e32 v4, s0, v4
	v_fmac_f32_e32 v4, s1, v9
	flat_store_dword v[0:1], v4
	flat_load_dword v4, v[6:7] offset:64
	s_waitcnt vmcnt(0) lgkmcnt(0)
	v_mul_f32_e32 v4, s0, v4
	v_fmac_f32_e32 v4, s1, v8
	flat_store_dword v[0:1], v4 offset:64
	flat_load_dword v4, v[6:7] offset:128
	s_waitcnt vmcnt(0) lgkmcnt(0)
	v_mul_f32_e32 v4, s0, v4
	v_fmac_f32_e32 v4, s1, v2
	flat_store_dword v[0:1], v4 offset:128
	;; [unrolled: 5-line block ×3, first 2 shown]
.LBB179_6:
	s_endpgm
.LBB179_7:
	s_branch .LBB179_5
	.section	.rodata,"a",@progbits
	.p2align	6, 0x0
	.amdhsa_kernel _ZN12_GLOBAL__N_127rocblas_gemm_batched_kernelIfLi16ELi16ELi64ELi64ELi4ELi64ELi4ELi4ELi64ELc84ELc84EKPKfS3_KPfEEvlllT_PT11_llS8_llS6_PT12_llPT13_lli
		.amdhsa_group_segment_fixed_size 2048
		.amdhsa_private_segment_fixed_size 0
		.amdhsa_kernarg_size 140
		.amdhsa_user_sgpr_count 6
		.amdhsa_user_sgpr_private_segment_buffer 1
		.amdhsa_user_sgpr_dispatch_ptr 0
		.amdhsa_user_sgpr_queue_ptr 0
		.amdhsa_user_sgpr_kernarg_segment_ptr 1
		.amdhsa_user_sgpr_dispatch_id 0
		.amdhsa_user_sgpr_flat_scratch_init 0
		.amdhsa_user_sgpr_private_segment_size 0
		.amdhsa_wavefront_size32 1
		.amdhsa_uses_dynamic_stack 0
		.amdhsa_system_sgpr_private_segment_wavefront_offset 0
		.amdhsa_system_sgpr_workgroup_id_x 1
		.amdhsa_system_sgpr_workgroup_id_y 1
		.amdhsa_system_sgpr_workgroup_id_z 1
		.amdhsa_system_sgpr_workgroup_info 0
		.amdhsa_system_vgpr_workitem_id 1
		.amdhsa_next_free_vgpr 58
		.amdhsa_next_free_sgpr 36
		.amdhsa_reserve_vcc 1
		.amdhsa_reserve_flat_scratch 0
		.amdhsa_float_round_mode_32 0
		.amdhsa_float_round_mode_16_64 0
		.amdhsa_float_denorm_mode_32 3
		.amdhsa_float_denorm_mode_16_64 3
		.amdhsa_dx10_clamp 1
		.amdhsa_ieee_mode 1
		.amdhsa_fp16_overflow 0
		.amdhsa_workgroup_processor_mode 1
		.amdhsa_memory_ordered 1
		.amdhsa_forward_progress 1
		.amdhsa_shared_vgpr_count 0
		.amdhsa_exception_fp_ieee_invalid_op 0
		.amdhsa_exception_fp_denorm_src 0
		.amdhsa_exception_fp_ieee_div_zero 0
		.amdhsa_exception_fp_ieee_overflow 0
		.amdhsa_exception_fp_ieee_underflow 0
		.amdhsa_exception_fp_ieee_inexact 0
		.amdhsa_exception_int_div_zero 0
	.end_amdhsa_kernel
	.section	.text._ZN12_GLOBAL__N_127rocblas_gemm_batched_kernelIfLi16ELi16ELi64ELi64ELi4ELi64ELi4ELi4ELi64ELc84ELc84EKPKfS3_KPfEEvlllT_PT11_llS8_llS6_PT12_llPT13_lli,"axG",@progbits,_ZN12_GLOBAL__N_127rocblas_gemm_batched_kernelIfLi16ELi16ELi64ELi64ELi4ELi64ELi4ELi4ELi64ELc84ELc84EKPKfS3_KPfEEvlllT_PT11_llS8_llS6_PT12_llPT13_lli,comdat
.Lfunc_end179:
	.size	_ZN12_GLOBAL__N_127rocblas_gemm_batched_kernelIfLi16ELi16ELi64ELi64ELi4ELi64ELi4ELi4ELi64ELc84ELc84EKPKfS3_KPfEEvlllT_PT11_llS8_llS6_PT12_llPT13_lli, .Lfunc_end179-_ZN12_GLOBAL__N_127rocblas_gemm_batched_kernelIfLi16ELi16ELi64ELi64ELi4ELi64ELi4ELi4ELi64ELc84ELc84EKPKfS3_KPfEEvlllT_PT11_llS8_llS6_PT12_llPT13_lli
                                        ; -- End function
	.set _ZN12_GLOBAL__N_127rocblas_gemm_batched_kernelIfLi16ELi16ELi64ELi64ELi4ELi64ELi4ELi4ELi64ELc84ELc84EKPKfS3_KPfEEvlllT_PT11_llS8_llS6_PT12_llPT13_lli.num_vgpr, 58
	.set _ZN12_GLOBAL__N_127rocblas_gemm_batched_kernelIfLi16ELi16ELi64ELi64ELi4ELi64ELi4ELi4ELi64ELc84ELc84EKPKfS3_KPfEEvlllT_PT11_llS8_llS6_PT12_llPT13_lli.num_agpr, 0
	.set _ZN12_GLOBAL__N_127rocblas_gemm_batched_kernelIfLi16ELi16ELi64ELi64ELi4ELi64ELi4ELi4ELi64ELc84ELc84EKPKfS3_KPfEEvlllT_PT11_llS8_llS6_PT12_llPT13_lli.numbered_sgpr, 36
	.set _ZN12_GLOBAL__N_127rocblas_gemm_batched_kernelIfLi16ELi16ELi64ELi64ELi4ELi64ELi4ELi4ELi64ELc84ELc84EKPKfS3_KPfEEvlllT_PT11_llS8_llS6_PT12_llPT13_lli.num_named_barrier, 0
	.set _ZN12_GLOBAL__N_127rocblas_gemm_batched_kernelIfLi16ELi16ELi64ELi64ELi4ELi64ELi4ELi4ELi64ELc84ELc84EKPKfS3_KPfEEvlllT_PT11_llS8_llS6_PT12_llPT13_lli.private_seg_size, 0
	.set _ZN12_GLOBAL__N_127rocblas_gemm_batched_kernelIfLi16ELi16ELi64ELi64ELi4ELi64ELi4ELi4ELi64ELc84ELc84EKPKfS3_KPfEEvlllT_PT11_llS8_llS6_PT12_llPT13_lli.uses_vcc, 1
	.set _ZN12_GLOBAL__N_127rocblas_gemm_batched_kernelIfLi16ELi16ELi64ELi64ELi4ELi64ELi4ELi4ELi64ELc84ELc84EKPKfS3_KPfEEvlllT_PT11_llS8_llS6_PT12_llPT13_lli.uses_flat_scratch, 0
	.set _ZN12_GLOBAL__N_127rocblas_gemm_batched_kernelIfLi16ELi16ELi64ELi64ELi4ELi64ELi4ELi4ELi64ELc84ELc84EKPKfS3_KPfEEvlllT_PT11_llS8_llS6_PT12_llPT13_lli.has_dyn_sized_stack, 0
	.set _ZN12_GLOBAL__N_127rocblas_gemm_batched_kernelIfLi16ELi16ELi64ELi64ELi4ELi64ELi4ELi4ELi64ELc84ELc84EKPKfS3_KPfEEvlllT_PT11_llS8_llS6_PT12_llPT13_lli.has_recursion, 0
	.set _ZN12_GLOBAL__N_127rocblas_gemm_batched_kernelIfLi16ELi16ELi64ELi64ELi4ELi64ELi4ELi4ELi64ELc84ELc84EKPKfS3_KPfEEvlllT_PT11_llS8_llS6_PT12_llPT13_lli.has_indirect_call, 0
	.section	.AMDGPU.csdata,"",@progbits
; Kernel info:
; codeLenInByte = 2300
; TotalNumSgprs: 38
; NumVgprs: 58
; ScratchSize: 0
; MemoryBound: 0
; FloatMode: 240
; IeeeMode: 1
; LDSByteSize: 2048 bytes/workgroup (compile time only)
; SGPRBlocks: 0
; VGPRBlocks: 7
; NumSGPRsForWavesPerEU: 38
; NumVGPRsForWavesPerEU: 58
; Occupancy: 16
; WaveLimiterHint : 1
; COMPUTE_PGM_RSRC2:SCRATCH_EN: 0
; COMPUTE_PGM_RSRC2:USER_SGPR: 6
; COMPUTE_PGM_RSRC2:TRAP_HANDLER: 0
; COMPUTE_PGM_RSRC2:TGID_X_EN: 1
; COMPUTE_PGM_RSRC2:TGID_Y_EN: 1
; COMPUTE_PGM_RSRC2:TGID_Z_EN: 1
; COMPUTE_PGM_RSRC2:TIDIG_COMP_CNT: 1
	.section	.text._ZN12_GLOBAL__N_127rocblas_gemm_batched_kernelIfLi16ELi16ELi64ELi64ELi4ELi64ELi4ELi4ELi64ELc67ELc67EKPKfS3_KPfEEvlllT_PT11_llS8_llS6_PT12_llPT13_lli,"axG",@progbits,_ZN12_GLOBAL__N_127rocblas_gemm_batched_kernelIfLi16ELi16ELi64ELi64ELi4ELi64ELi4ELi4ELi64ELc67ELc67EKPKfS3_KPfEEvlllT_PT11_llS8_llS6_PT12_llPT13_lli,comdat
	.globl	_ZN12_GLOBAL__N_127rocblas_gemm_batched_kernelIfLi16ELi16ELi64ELi64ELi4ELi64ELi4ELi4ELi64ELc67ELc67EKPKfS3_KPfEEvlllT_PT11_llS8_llS6_PT12_llPT13_lli ; -- Begin function _ZN12_GLOBAL__N_127rocblas_gemm_batched_kernelIfLi16ELi16ELi64ELi64ELi4ELi64ELi4ELi4ELi64ELc67ELc67EKPKfS3_KPfEEvlllT_PT11_llS8_llS6_PT12_llPT13_lli
	.p2align	8
	.type	_ZN12_GLOBAL__N_127rocblas_gemm_batched_kernelIfLi16ELi16ELi64ELi64ELi4ELi64ELi4ELi4ELi64ELc67ELc67EKPKfS3_KPfEEvlllT_PT11_llS8_llS6_PT12_llPT13_lli,@function
_ZN12_GLOBAL__N_127rocblas_gemm_batched_kernelIfLi16ELi16ELi64ELi64ELi4ELi64ELi4ELi4ELi64ELc67ELc67EKPKfS3_KPfEEvlllT_PT11_llS8_llS6_PT12_llPT13_lli: ; @_ZN12_GLOBAL__N_127rocblas_gemm_batched_kernelIfLi16ELi16ELi64ELi64ELi4ELi64ELi4ELi4ELi64ELc67ELc67EKPKfS3_KPfEEvlllT_PT11_llS8_llS6_PT12_llPT13_lli
; %bb.0:
	s_clause 0x1
	s_load_dwordx8 s[12:19], s[4:5], 0x58
	s_load_dwordx2 s[28:29], s[4:5], 0x10
	s_mov_b32 s9, 0
	s_mov_b32 s0, s7
	s_lshl_b64 s[34:35], s[8:9], 3
	s_load_dwordx4 s[8:11], s[4:5], 0x78
	v_mov_b32_e32 v18, 0
	v_mov_b32_e32 v21, 0
	;; [unrolled: 1-line block ×14, first 2 shown]
	s_waitcnt lgkmcnt(0)
	s_add_u32 s2, s12, s34
	s_addc_u32 s3, s13, s35
	s_add_u32 s18, s18, s34
	s_addc_u32 s19, s19, s35
	s_load_dwordx2 s[12:13], s[2:3], 0x0
	s_load_dwordx2 s[18:19], s[18:19], 0x0
	v_cmp_lt_i64_e64 s20, s[28:29], 1
	v_mov_b32_e32 v2, 0
	v_mov_b32_e32 v3, 0
	s_ashr_i32 s7, s6, 31
	s_ashr_i32 s1, s0, 31
	s_lshl_b64 s[6:7], s[6:7], 6
	s_and_b32 vcc_lo, exec_lo, s20
	s_lshl_b64 s[30:31], s[0:1], 6
	s_cbranch_vccnz .LBB180_3
; %bb.1:
	s_clause 0x1
	s_load_dwordx8 s[20:27], s[4:5], 0x20
	s_load_dwordx4 s[0:3], s[4:5], 0x40
	v_lshlrev_b32_e32 v8, 4, v1
	v_and_b32_e32 v10, 3, v0
	v_mov_b32_e32 v3, 0
	v_lshlrev_b32_e32 v22, 2, v0
	v_add_nc_u32_e32 v9, v8, v0
	v_lshlrev_b32_e32 v12, 2, v10
	v_add_nc_u32_e32 v23, 0x400, v8
	v_mov_b32_e32 v16, v3
	v_mov_b32_e32 v17, v3
	v_and_b32_e32 v11, 63, v9
	v_lshrrev_b32_e32 v2, 2, v9
	v_lshrrev_b32_e32 v9, 6, v9
	v_mov_b32_e32 v19, v3
	v_mov_b32_e32 v20, v3
	v_add_co_u32 v6, s33, s6, v11
	v_add_co_ci_u32_e64 v7, null, s7, 0, s33
	s_waitcnt lgkmcnt(0)
	s_add_u32 s20, s20, s34
	s_addc_u32 s21, s21, s35
	s_add_u32 s26, s26, s34
	s_addc_u32 s27, s27, s35
	v_mad_u64_u32 v[4:5], null, s0, v10, v[2:3]
	s_load_dwordx2 s[26:27], s[26:27], 0x0
	v_mul_lo_u32 v13, s23, v6
	v_mul_lo_u32 v14, s22, v7
	v_mad_u64_u32 v[6:7], null, s22, v6, 0
	v_lshlrev_b32_e32 v11, 2, v11
	v_lshl_or_b32 v12, v2, 4, v12
	v_mov_b32_e32 v2, v5
	v_lshlrev_b32_e32 v15, 2, v9
	s_load_dwordx2 s[20:21], s[20:21], 0x0
	v_lshl_or_b32 v24, v9, 8, v11
	v_add3_u32 v7, v7, v14, v13
	v_mad_u64_u32 v[8:9], null, s1, v10, v[2:3]
	s_lshl_b64 s[2:3], s[2:3], 2
	v_add_nc_u32_e32 v25, 0x400, v12
	v_lshlrev_b64 v[5:6], 2, v[6:7]
	v_add_co_u32 v7, vcc_lo, v4, s30
	v_mov_b32_e32 v9, v3
	v_add_co_ci_u32_e64 v8, null, s31, v8, vcc_lo
	s_waitcnt lgkmcnt(0)
	s_add_u32 s22, s26, s2
	s_addc_u32 s23, s27, s3
	s_lshl_b64 s[2:3], s[24:25], 2
	v_mov_b32_e32 v10, v3
	v_add_co_u32 v2, vcc_lo, v5, s2
	v_add_co_ci_u32_e64 v6, null, s3, v6, vcc_lo
	v_lshlrev_b64 v[4:5], 2, v[7:8]
	v_add_co_u32 v2, vcc_lo, v2, v15
	v_add_co_ci_u32_e64 v7, null, 0, v6, vcc_lo
	v_mov_b32_e32 v8, v3
	v_add_co_u32 v4, vcc_lo, s22, v4
	v_add_co_ci_u32_e64 v5, null, s23, v5, vcc_lo
	v_add_co_u32 v6, vcc_lo, s20, v2
	v_add_co_ci_u32_e64 v7, null, s21, v7, vcc_lo
	v_mov_b32_e32 v2, v3
	v_mov_b32_e32 v11, v3
	;; [unrolled: 1-line block ×8, first 2 shown]
	s_lshl_b64 s[2:3], s[0:1], 4
	s_mov_b64 s[20:21], 0
.LBB180_2:                              ; =>This Inner Loop Header: Depth=1
	flat_load_dword v26, v[6:7]
	s_add_u32 s20, s20, 4
	s_addc_u32 s21, s21, 0
	v_add_co_u32 v6, vcc_lo, v6, 16
	v_cmp_lt_i64_e64 s0, s[20:21], s[28:29]
	v_add_co_ci_u32_e64 v7, null, 0, v7, vcc_lo
	s_and_b32 vcc_lo, exec_lo, s0
	s_waitcnt vmcnt(0) lgkmcnt(0)
	ds_write_b32 v24, v26
	flat_load_dword v26, v[4:5]
	v_add_co_u32 v4, s0, v4, s2
	v_add_co_ci_u32_e64 v5, null, s3, v5, s0
	s_waitcnt vmcnt(0) lgkmcnt(0)
	ds_write_b32 v25, v26
	s_waitcnt lgkmcnt(0)
	s_barrier
	buffer_gl0_inv
	ds_read_b128 v[26:29], v23
	ds_read2_b32 v[42:43], v22 offset1:16
	ds_read2_b32 v[44:45], v22 offset0:32 offset1:48
	ds_read_b128 v[30:33], v23 offset:256
	ds_read_b128 v[34:37], v23 offset:512
	;; [unrolled: 1-line block ×3, first 2 shown]
	ds_read2_b32 v[46:47], v22 offset0:64 offset1:80
	ds_read2_b32 v[48:49], v22 offset0:96 offset1:112
	;; [unrolled: 1-line block ×6, first 2 shown]
	s_waitcnt lgkmcnt(0)
	s_barrier
	buffer_gl0_inv
	v_fmac_f32_e32 v18, v42, v26
	v_fmac_f32_e32 v21, v43, v26
	;; [unrolled: 1-line block ×64, first 2 shown]
	s_cbranch_vccnz .LBB180_2
.LBB180_3:
	s_clause 0x1
	s_load_dword s0, s[4:5], 0x50
	s_load_dword s1, s[4:5], 0x18
	v_add_co_u32 v4, s4, s30, v1
	v_add_co_ci_u32_e64 v7, null, s31, 0, s4
	v_add_co_u32 v0, s4, s6, v0
	v_add_co_ci_u32_e64 v1, null, s7, 0, s4
	v_mul_lo_u32 v5, v7, s8
	v_mul_lo_u32 v6, v4, s9
	s_lshl_b64 s[2:3], s[10:11], 2
	v_lshlrev_b64 v[0:1], 2, v[0:1]
	s_waitcnt lgkmcnt(0)
	s_add_u32 s2, s18, s2
	s_addc_u32 s3, s19, s3
	v_cmp_neq_f32_e64 s4, s0, 0
	s_and_b32 vcc_lo, exec_lo, s4
	s_mov_b32 s4, 0
	s_cbranch_vccnz .LBB180_7
; %bb.4:
	v_mad_u64_u32 v[22:23], null, v4, s8, 0
	s_lshl_b64 s[6:7], s[8:9], 6
	v_mul_f32_e32 v26, s1, v18
	v_mul_f32_e32 v27, s1, v21
	;; [unrolled: 1-line block ×5, first 2 shown]
	v_add3_u32 v23, v23, v6, v5
	v_mul_f32_e32 v31, s1, v16
	v_mul_f32_e32 v32, s1, v15
	;; [unrolled: 1-line block ×3, first 2 shown]
	v_lshlrev_b64 v[22:23], 2, v[22:23]
	v_add_co_u32 v22, vcc_lo, s2, v22
	v_add_co_ci_u32_e64 v23, null, s3, v23, vcc_lo
	v_add_co_u32 v34, vcc_lo, v22, s6
	v_add_co_ci_u32_e64 v35, null, s7, v23, vcc_lo
	;; [unrolled: 2-line block ×4, first 2 shown]
	flat_store_dword v[22:23], v26
	flat_store_dword v[22:23], v27 offset:64
	flat_store_dword v[22:23], v28 offset:128
	;; [unrolled: 1-line block ×3, first 2 shown]
	flat_store_dword v[24:25], v30
	flat_store_dword v[24:25], v31 offset:64
	v_add_co_u32 v26, vcc_lo, v34, s6
	v_add_co_ci_u32_e64 v27, null, s7, v35, vcc_lo
	v_mul_f32_e32 v28, s1, v13
	v_add_co_u32 v22, vcc_lo, v26, v0
	v_add_co_ci_u32_e64 v23, null, v27, v1, vcc_lo
	v_mul_f32_e32 v29, s1, v12
	v_mul_f32_e32 v30, s1, v11
	flat_store_dword v[24:25], v32 offset:128
	flat_store_dword v[24:25], v33 offset:192
	flat_store_dword v[22:23], v28
	flat_store_dword v[22:23], v29 offset:64
	flat_store_dword v[22:23], v30 offset:128
	v_add_co_u32 v24, vcc_lo, v26, s6
	v_add_co_ci_u32_e64 v25, null, s7, v27, vcc_lo
	v_mul_f32_e32 v28, s1, v10
	v_add_co_u32 v24, vcc_lo, v24, v0
	v_mul_f32_e32 v26, s1, v9
	v_add_co_ci_u32_e64 v25, null, v25, v1, vcc_lo
	v_mul_f32_e32 v27, s1, v8
	v_mul_f32_e32 v29, s1, v2
	;; [unrolled: 1-line block ×3, first 2 shown]
	flat_store_dword v[22:23], v28 offset:192
	flat_store_dword v[24:25], v26
	flat_store_dword v[24:25], v27 offset:64
	flat_store_dword v[24:25], v29 offset:128
	;; [unrolled: 1-line block ×3, first 2 shown]
	s_andn2_b32 vcc_lo, exec_lo, s4
	s_cbranch_vccnz .LBB180_6
.LBB180_5:
	v_mul_lo_u32 v7, v7, s14
	v_mul_lo_u32 v24, v4, s15
	v_mad_u64_u32 v[22:23], null, v4, s14, 0
	s_lshl_b64 s[4:5], s[16:17], 2
	s_add_u32 s4, s12, s4
	s_addc_u32 s5, s13, s5
	v_add3_u32 v23, v23, v24, v7
	v_mad_u64_u32 v[24:25], null, v4, s8, 0
	v_lshlrev_b64 v[22:23], 2, v[22:23]
	v_add3_u32 v25, v25, v6, v5
	v_add_co_u32 v7, vcc_lo, s4, v22
	v_add_co_ci_u32_e64 v26, null, s5, v23, vcc_lo
	v_lshlrev_b64 v[4:5], 2, v[24:25]
	v_add_co_u32 v22, vcc_lo, v7, v0
	v_add_co_ci_u32_e64 v23, null, v26, v1, vcc_lo
	s_lshl_b64 s[4:5], s[8:9], 6
	v_add_co_u32 v24, vcc_lo, s2, v4
	flat_load_dword v27, v[22:23]
	v_add_co_ci_u32_e64 v25, null, s3, v5, vcc_lo
	v_add_co_u32 v4, vcc_lo, v24, v0
	s_lshl_b64 s[2:3], s[14:15], 6
	v_add_co_ci_u32_e64 v5, null, v25, v1, vcc_lo
	s_waitcnt vmcnt(0) lgkmcnt(0)
	v_mul_f32_e32 v6, s0, v27
	v_fmac_f32_e32 v6, s1, v18
	flat_store_dword v[4:5], v6
	flat_load_dword v6, v[22:23] offset:64
	s_waitcnt vmcnt(0) lgkmcnt(0)
	v_mul_f32_e32 v6, s0, v6
	v_fmac_f32_e32 v6, s1, v21
	flat_store_dword v[4:5], v6 offset:64
	flat_load_dword v6, v[22:23] offset:128
	s_waitcnt vmcnt(0) lgkmcnt(0)
	v_mul_f32_e32 v6, s0, v6
	v_fmac_f32_e32 v6, s1, v20
	v_add_co_u32 v20, vcc_lo, v7, s2
	v_add_co_ci_u32_e64 v21, null, s3, v26, vcc_lo
	flat_store_dword v[4:5], v6 offset:128
	flat_load_dword v6, v[22:23] offset:192
	s_waitcnt vmcnt(0) lgkmcnt(0)
	v_mul_f32_e32 v18, s0, v6
	v_add_co_u32 v6, vcc_lo, v20, v0
	v_add_co_ci_u32_e64 v7, null, v21, v1, vcc_lo
	v_fmac_f32_e32 v18, s1, v19
	flat_store_dword v[4:5], v18 offset:192
	flat_load_dword v4, v[6:7]
	v_add_co_u32 v18, vcc_lo, v24, s4
	v_add_co_ci_u32_e64 v19, null, s5, v25, vcc_lo
	s_waitcnt vmcnt(0) lgkmcnt(0)
	v_mul_f32_e32 v22, s0, v4
	v_add_co_u32 v4, vcc_lo, v18, v0
	v_add_co_ci_u32_e64 v5, null, v19, v1, vcc_lo
	v_fmac_f32_e32 v22, s1, v17
	flat_store_dword v[4:5], v22
	flat_load_dword v17, v[6:7] offset:64
	s_waitcnt vmcnt(0) lgkmcnt(0)
	v_mul_f32_e32 v17, s0, v17
	v_fmac_f32_e32 v17, s1, v16
	flat_store_dword v[4:5], v17 offset:64
	flat_load_dword v16, v[6:7] offset:128
	s_waitcnt vmcnt(0) lgkmcnt(0)
	v_mul_f32_e32 v16, s0, v16
	v_fmac_f32_e32 v16, s1, v15
	flat_store_dword v[4:5], v16 offset:128
	flat_load_dword v6, v[6:7] offset:192
	v_add_co_u32 v16, vcc_lo, v20, s2
	v_add_co_ci_u32_e64 v17, null, s3, v21, vcc_lo
	s_waitcnt vmcnt(0) lgkmcnt(0)
	v_mul_f32_e32 v15, s0, v6
	v_add_co_u32 v6, vcc_lo, v16, v0
	v_add_co_ci_u32_e64 v7, null, v17, v1, vcc_lo
	v_fmac_f32_e32 v15, s1, v14
	v_add_co_u32 v14, vcc_lo, v18, s4
	flat_store_dword v[4:5], v15 offset:192
	flat_load_dword v4, v[6:7]
	v_add_co_ci_u32_e64 v15, null, s5, v19, vcc_lo
	s_waitcnt vmcnt(0) lgkmcnt(0)
	v_mul_f32_e32 v18, s0, v4
	v_add_co_u32 v4, vcc_lo, v14, v0
	v_add_co_ci_u32_e64 v5, null, v15, v1, vcc_lo
	v_fmac_f32_e32 v18, s1, v13
	flat_store_dword v[4:5], v18
	flat_load_dword v13, v[6:7] offset:64
	s_waitcnt vmcnt(0) lgkmcnt(0)
	v_mul_f32_e32 v13, s0, v13
	v_fmac_f32_e32 v13, s1, v12
	flat_store_dword v[4:5], v13 offset:64
	flat_load_dword v12, v[6:7] offset:128
	s_waitcnt vmcnt(0) lgkmcnt(0)
	v_mul_f32_e32 v12, s0, v12
	v_fmac_f32_e32 v12, s1, v11
	flat_store_dword v[4:5], v12 offset:128
	flat_load_dword v6, v[6:7] offset:192
	s_waitcnt vmcnt(0) lgkmcnt(0)
	v_mul_f32_e32 v11, s0, v6
	v_add_co_u32 v6, vcc_lo, v16, s2
	v_add_co_ci_u32_e64 v7, null, s3, v17, vcc_lo
	v_fmac_f32_e32 v11, s1, v10
	v_add_co_u32 v6, vcc_lo, v6, v0
	v_add_co_ci_u32_e64 v7, null, v7, v1, vcc_lo
	flat_store_dword v[4:5], v11 offset:192
	v_add_co_u32 v5, vcc_lo, v14, s4
	flat_load_dword v4, v[6:7]
	v_add_co_ci_u32_e64 v10, null, s5, v15, vcc_lo
	v_add_co_u32 v0, vcc_lo, v5, v0
	v_add_co_ci_u32_e64 v1, null, v10, v1, vcc_lo
	s_waitcnt vmcnt(0) lgkmcnt(0)
	v_mul_f32_e32 v4, s0, v4
	v_fmac_f32_e32 v4, s1, v9
	flat_store_dword v[0:1], v4
	flat_load_dword v4, v[6:7] offset:64
	s_waitcnt vmcnt(0) lgkmcnt(0)
	v_mul_f32_e32 v4, s0, v4
	v_fmac_f32_e32 v4, s1, v8
	flat_store_dword v[0:1], v4 offset:64
	flat_load_dword v4, v[6:7] offset:128
	s_waitcnt vmcnt(0) lgkmcnt(0)
	v_mul_f32_e32 v4, s0, v4
	v_fmac_f32_e32 v4, s1, v2
	flat_store_dword v[0:1], v4 offset:128
	flat_load_dword v2, v[6:7] offset:192
	s_waitcnt vmcnt(0) lgkmcnt(0)
	v_mul_f32_e32 v2, s0, v2
	v_fmac_f32_e32 v2, s1, v3
	flat_store_dword v[0:1], v2 offset:192
.LBB180_6:
	s_endpgm
.LBB180_7:
	s_branch .LBB180_5
	.section	.rodata,"a",@progbits
	.p2align	6, 0x0
	.amdhsa_kernel _ZN12_GLOBAL__N_127rocblas_gemm_batched_kernelIfLi16ELi16ELi64ELi64ELi4ELi64ELi4ELi4ELi64ELc67ELc67EKPKfS3_KPfEEvlllT_PT11_llS8_llS6_PT12_llPT13_lli
		.amdhsa_group_segment_fixed_size 2048
		.amdhsa_private_segment_fixed_size 0
		.amdhsa_kernarg_size 140
		.amdhsa_user_sgpr_count 6
		.amdhsa_user_sgpr_private_segment_buffer 1
		.amdhsa_user_sgpr_dispatch_ptr 0
		.amdhsa_user_sgpr_queue_ptr 0
		.amdhsa_user_sgpr_kernarg_segment_ptr 1
		.amdhsa_user_sgpr_dispatch_id 0
		.amdhsa_user_sgpr_flat_scratch_init 0
		.amdhsa_user_sgpr_private_segment_size 0
		.amdhsa_wavefront_size32 1
		.amdhsa_uses_dynamic_stack 0
		.amdhsa_system_sgpr_private_segment_wavefront_offset 0
		.amdhsa_system_sgpr_workgroup_id_x 1
		.amdhsa_system_sgpr_workgroup_id_y 1
		.amdhsa_system_sgpr_workgroup_id_z 1
		.amdhsa_system_sgpr_workgroup_info 0
		.amdhsa_system_vgpr_workitem_id 1
		.amdhsa_next_free_vgpr 58
		.amdhsa_next_free_sgpr 36
		.amdhsa_reserve_vcc 1
		.amdhsa_reserve_flat_scratch 0
		.amdhsa_float_round_mode_32 0
		.amdhsa_float_round_mode_16_64 0
		.amdhsa_float_denorm_mode_32 3
		.amdhsa_float_denorm_mode_16_64 3
		.amdhsa_dx10_clamp 1
		.amdhsa_ieee_mode 1
		.amdhsa_fp16_overflow 0
		.amdhsa_workgroup_processor_mode 1
		.amdhsa_memory_ordered 1
		.amdhsa_forward_progress 1
		.amdhsa_shared_vgpr_count 0
		.amdhsa_exception_fp_ieee_invalid_op 0
		.amdhsa_exception_fp_denorm_src 0
		.amdhsa_exception_fp_ieee_div_zero 0
		.amdhsa_exception_fp_ieee_overflow 0
		.amdhsa_exception_fp_ieee_underflow 0
		.amdhsa_exception_fp_ieee_inexact 0
		.amdhsa_exception_int_div_zero 0
	.end_amdhsa_kernel
	.section	.text._ZN12_GLOBAL__N_127rocblas_gemm_batched_kernelIfLi16ELi16ELi64ELi64ELi4ELi64ELi4ELi4ELi64ELc67ELc67EKPKfS3_KPfEEvlllT_PT11_llS8_llS6_PT12_llPT13_lli,"axG",@progbits,_ZN12_GLOBAL__N_127rocblas_gemm_batched_kernelIfLi16ELi16ELi64ELi64ELi4ELi64ELi4ELi4ELi64ELc67ELc67EKPKfS3_KPfEEvlllT_PT11_llS8_llS6_PT12_llPT13_lli,comdat
.Lfunc_end180:
	.size	_ZN12_GLOBAL__N_127rocblas_gemm_batched_kernelIfLi16ELi16ELi64ELi64ELi4ELi64ELi4ELi4ELi64ELc67ELc67EKPKfS3_KPfEEvlllT_PT11_llS8_llS6_PT12_llPT13_lli, .Lfunc_end180-_ZN12_GLOBAL__N_127rocblas_gemm_batched_kernelIfLi16ELi16ELi64ELi64ELi4ELi64ELi4ELi4ELi64ELc67ELc67EKPKfS3_KPfEEvlllT_PT11_llS8_llS6_PT12_llPT13_lli
                                        ; -- End function
	.set _ZN12_GLOBAL__N_127rocblas_gemm_batched_kernelIfLi16ELi16ELi64ELi64ELi4ELi64ELi4ELi4ELi64ELc67ELc67EKPKfS3_KPfEEvlllT_PT11_llS8_llS6_PT12_llPT13_lli.num_vgpr, 58
	.set _ZN12_GLOBAL__N_127rocblas_gemm_batched_kernelIfLi16ELi16ELi64ELi64ELi4ELi64ELi4ELi4ELi64ELc67ELc67EKPKfS3_KPfEEvlllT_PT11_llS8_llS6_PT12_llPT13_lli.num_agpr, 0
	.set _ZN12_GLOBAL__N_127rocblas_gemm_batched_kernelIfLi16ELi16ELi64ELi64ELi4ELi64ELi4ELi4ELi64ELc67ELc67EKPKfS3_KPfEEvlllT_PT11_llS8_llS6_PT12_llPT13_lli.numbered_sgpr, 36
	.set _ZN12_GLOBAL__N_127rocblas_gemm_batched_kernelIfLi16ELi16ELi64ELi64ELi4ELi64ELi4ELi4ELi64ELc67ELc67EKPKfS3_KPfEEvlllT_PT11_llS8_llS6_PT12_llPT13_lli.num_named_barrier, 0
	.set _ZN12_GLOBAL__N_127rocblas_gemm_batched_kernelIfLi16ELi16ELi64ELi64ELi4ELi64ELi4ELi4ELi64ELc67ELc67EKPKfS3_KPfEEvlllT_PT11_llS8_llS6_PT12_llPT13_lli.private_seg_size, 0
	.set _ZN12_GLOBAL__N_127rocblas_gemm_batched_kernelIfLi16ELi16ELi64ELi64ELi4ELi64ELi4ELi4ELi64ELc67ELc67EKPKfS3_KPfEEvlllT_PT11_llS8_llS6_PT12_llPT13_lli.uses_vcc, 1
	.set _ZN12_GLOBAL__N_127rocblas_gemm_batched_kernelIfLi16ELi16ELi64ELi64ELi4ELi64ELi4ELi4ELi64ELc67ELc67EKPKfS3_KPfEEvlllT_PT11_llS8_llS6_PT12_llPT13_lli.uses_flat_scratch, 0
	.set _ZN12_GLOBAL__N_127rocblas_gemm_batched_kernelIfLi16ELi16ELi64ELi64ELi4ELi64ELi4ELi4ELi64ELc67ELc67EKPKfS3_KPfEEvlllT_PT11_llS8_llS6_PT12_llPT13_lli.has_dyn_sized_stack, 0
	.set _ZN12_GLOBAL__N_127rocblas_gemm_batched_kernelIfLi16ELi16ELi64ELi64ELi4ELi64ELi4ELi4ELi64ELc67ELc67EKPKfS3_KPfEEvlllT_PT11_llS8_llS6_PT12_llPT13_lli.has_recursion, 0
	.set _ZN12_GLOBAL__N_127rocblas_gemm_batched_kernelIfLi16ELi16ELi64ELi64ELi4ELi64ELi4ELi4ELi64ELc67ELc67EKPKfS3_KPfEEvlllT_PT11_llS8_llS6_PT12_llPT13_lli.has_indirect_call, 0
	.section	.AMDGPU.csdata,"",@progbits
; Kernel info:
; codeLenInByte = 2300
; TotalNumSgprs: 38
; NumVgprs: 58
; ScratchSize: 0
; MemoryBound: 0
; FloatMode: 240
; IeeeMode: 1
; LDSByteSize: 2048 bytes/workgroup (compile time only)
; SGPRBlocks: 0
; VGPRBlocks: 7
; NumSGPRsForWavesPerEU: 38
; NumVGPRsForWavesPerEU: 58
; Occupancy: 16
; WaveLimiterHint : 1
; COMPUTE_PGM_RSRC2:SCRATCH_EN: 0
; COMPUTE_PGM_RSRC2:USER_SGPR: 6
; COMPUTE_PGM_RSRC2:TRAP_HANDLER: 0
; COMPUTE_PGM_RSRC2:TGID_X_EN: 1
; COMPUTE_PGM_RSRC2:TGID_Y_EN: 1
; COMPUTE_PGM_RSRC2:TGID_Z_EN: 1
; COMPUTE_PGM_RSRC2:TIDIG_COMP_CNT: 1
	.section	.text._ZN12_GLOBAL__N_127rocblas_gemm_batched_kernelIfLi16ELi16ELi64ELi64ELi4ELi64ELi4ELi4ELi64ELc67ELc78EKPKfS3_KPfEEvlllT_PT11_llS8_llS6_PT12_llPT13_lli,"axG",@progbits,_ZN12_GLOBAL__N_127rocblas_gemm_batched_kernelIfLi16ELi16ELi64ELi64ELi4ELi64ELi4ELi4ELi64ELc67ELc78EKPKfS3_KPfEEvlllT_PT11_llS8_llS6_PT12_llPT13_lli,comdat
	.globl	_ZN12_GLOBAL__N_127rocblas_gemm_batched_kernelIfLi16ELi16ELi64ELi64ELi4ELi64ELi4ELi4ELi64ELc67ELc78EKPKfS3_KPfEEvlllT_PT11_llS8_llS6_PT12_llPT13_lli ; -- Begin function _ZN12_GLOBAL__N_127rocblas_gemm_batched_kernelIfLi16ELi16ELi64ELi64ELi4ELi64ELi4ELi4ELi64ELc67ELc78EKPKfS3_KPfEEvlllT_PT11_llS8_llS6_PT12_llPT13_lli
	.p2align	8
	.type	_ZN12_GLOBAL__N_127rocblas_gemm_batched_kernelIfLi16ELi16ELi64ELi64ELi4ELi64ELi4ELi4ELi64ELc67ELc78EKPKfS3_KPfEEvlllT_PT11_llS8_llS6_PT12_llPT13_lli,@function
_ZN12_GLOBAL__N_127rocblas_gemm_batched_kernelIfLi16ELi16ELi64ELi64ELi4ELi64ELi4ELi4ELi64ELc67ELc78EKPKfS3_KPfEEvlllT_PT11_llS8_llS6_PT12_llPT13_lli: ; @_ZN12_GLOBAL__N_127rocblas_gemm_batched_kernelIfLi16ELi16ELi64ELi64ELi4ELi64ELi4ELi4ELi64ELc67ELc78EKPKfS3_KPfEEvlllT_PT11_llS8_llS6_PT12_llPT13_lli
; %bb.0:
	s_clause 0x1
	s_load_dwordx8 s[12:19], s[4:5], 0x58
	s_load_dwordx2 s[28:29], s[4:5], 0x10
	s_mov_b32 s9, 0
	s_mov_b32 s0, s7
	s_lshl_b64 s[34:35], s[8:9], 3
	s_load_dwordx4 s[8:11], s[4:5], 0x78
	v_mov_b32_e32 v18, 0
	v_mov_b32_e32 v21, 0
	;; [unrolled: 1-line block ×14, first 2 shown]
	s_waitcnt lgkmcnt(0)
	s_add_u32 s2, s12, s34
	s_addc_u32 s3, s13, s35
	s_add_u32 s18, s18, s34
	s_addc_u32 s19, s19, s35
	s_load_dwordx2 s[12:13], s[2:3], 0x0
	s_load_dwordx2 s[18:19], s[18:19], 0x0
	v_cmp_lt_i64_e64 s20, s[28:29], 1
	v_mov_b32_e32 v7, 0
	v_mov_b32_e32 v6, 0
	s_ashr_i32 s7, s6, 31
	s_ashr_i32 s1, s0, 31
	s_lshl_b64 s[6:7], s[6:7], 6
	s_and_b32 vcc_lo, exec_lo, s20
	s_lshl_b64 s[30:31], s[0:1], 6
	s_cbranch_vccnz .LBB181_3
; %bb.1:
	v_lshlrev_b32_e32 v7, 4, v1
	s_clause 0x1
	s_load_dwordx8 s[20:27], s[4:5], 0x20
	s_load_dwordx4 s[0:3], s[4:5], 0x40
	v_and_b32_e32 v3, 3, v0
	v_lshlrev_b32_e32 v24, 2, v0
	v_mov_b32_e32 v16, 0
	v_add_nc_u32_e32 v2, v7, v0
	v_add_nc_u32_e32 v25, 0x400, v7
	v_lshlrev_b32_e32 v8, 2, v3
	v_mov_b32_e32 v17, 0
	v_mov_b32_e32 v19, 0
	v_lshrrev_b32_e32 v6, 2, v2
	v_and_b32_e32 v9, 63, v2
	v_lshrrev_b32_e32 v10, 6, v2
	v_mov_b32_e32 v20, 0
	v_mov_b32_e32 v21, 0
	v_add_co_u32 v2, s33, v6, s30
	v_add_co_ci_u32_e64 v3, null, 0, s31, s33
	v_add_co_u32 v4, s33, s6, v9
	v_add_co_ci_u32_e64 v5, null, s7, 0, s33
	s_waitcnt lgkmcnt(0)
	v_mul_lo_u32 v11, s1, v2
	v_mul_lo_u32 v12, s0, v3
	v_mad_u64_u32 v[2:3], null, s0, v2, 0
	v_mul_lo_u32 v13, s23, v4
	v_mul_lo_u32 v14, s22, v5
	v_mad_u64_u32 v[4:5], null, s22, v4, 0
	s_add_u32 s20, s20, s34
	s_addc_u32 s21, s21, s35
	s_add_u32 s26, s26, s34
	v_add3_u32 v3, v3, v12, v11
	s_addc_u32 s27, s27, s35
	s_load_dwordx2 s[20:21], s[20:21], 0x0
	s_load_dwordx2 s[0:1], s[26:27], 0x0
	v_add3_u32 v5, v5, v14, v13
	v_lshlrev_b64 v[2:3], 2, v[2:3]
	s_lshl_b64 s[2:3], s[2:3], 2
	v_lshlrev_b32_e32 v7, 2, v10
	v_lshlrev_b32_e32 v9, 2, v9
	v_lshlrev_b64 v[4:5], 2, v[4:5]
	v_lshl_or_b32 v15, v6, 4, v8
	v_add_co_u32 v2, vcc_lo, v2, s2
	v_add_co_ci_u32_e64 v3, null, s3, v3, vcc_lo
	s_lshl_b64 s[2:3], s[24:25], 2
	v_mov_b32_e32 v6, 0
	v_add_co_u32 v4, vcc_lo, v4, s2
	v_add_co_ci_u32_e64 v5, null, s3, v5, vcc_lo
	v_add_co_u32 v2, vcc_lo, v2, v8
	v_add_co_ci_u32_e64 v3, null, 0, v3, vcc_lo
	;; [unrolled: 2-line block ×3, first 2 shown]
	s_waitcnt lgkmcnt(0)
	v_add_co_u32 v2, vcc_lo, s0, v2
	v_add_co_ci_u32_e64 v3, null, s1, v3, vcc_lo
	v_add_co_u32 v4, vcc_lo, s20, v4
	v_lshl_or_b32 v22, v10, 8, v9
	v_add_nc_u32_e32 v23, 0x400, v15
	v_add_co_ci_u32_e64 v5, null, s21, v5, vcc_lo
	v_mov_b32_e32 v7, 0
	v_mov_b32_e32 v8, 0
	;; [unrolled: 1-line block ×10, first 2 shown]
	s_mov_b64 s[2:3], 0
.LBB181_2:                              ; =>This Inner Loop Header: Depth=1
	flat_load_dword v26, v[4:5]
	s_add_u32 s2, s2, 4
	s_addc_u32 s3, s3, 0
	v_add_co_u32 v4, vcc_lo, v4, 16
	v_cmp_lt_i64_e64 s0, s[2:3], s[28:29]
	v_add_co_ci_u32_e64 v5, null, 0, v5, vcc_lo
	s_and_b32 vcc_lo, exec_lo, s0
	s_waitcnt vmcnt(0) lgkmcnt(0)
	ds_write_b32 v22, v26
	flat_load_dword v26, v[2:3]
	v_add_co_u32 v2, s0, v2, 16
	v_add_co_ci_u32_e64 v3, null, 0, v3, s0
	s_waitcnt vmcnt(0) lgkmcnt(0)
	ds_write_b32 v23, v26
	s_waitcnt lgkmcnt(0)
	s_barrier
	buffer_gl0_inv
	ds_read_b128 v[26:29], v25
	ds_read2_b32 v[42:43], v24 offset1:16
	ds_read2_b32 v[44:45], v24 offset0:32 offset1:48
	ds_read_b128 v[30:33], v25 offset:256
	ds_read_b128 v[34:37], v25 offset:512
	;; [unrolled: 1-line block ×3, first 2 shown]
	ds_read2_b32 v[46:47], v24 offset0:64 offset1:80
	ds_read2_b32 v[48:49], v24 offset0:96 offset1:112
	ds_read2_b32 v[50:51], v24 offset0:128 offset1:144
	ds_read2_b32 v[52:53], v24 offset0:160 offset1:176
	ds_read2_b32 v[54:55], v24 offset0:192 offset1:208
	ds_read2_b32 v[56:57], v24 offset0:224 offset1:240
	s_waitcnt lgkmcnt(0)
	s_barrier
	buffer_gl0_inv
	v_fmac_f32_e32 v18, v42, v26
	v_fmac_f32_e32 v21, v43, v26
	;; [unrolled: 1-line block ×64, first 2 shown]
	s_cbranch_vccnz .LBB181_2
.LBB181_3:
	s_clause 0x1
	s_load_dword s0, s[4:5], 0x50
	s_load_dword s1, s[4:5], 0x18
	v_add_co_u32 v2, s4, s30, v1
	v_add_co_ci_u32_e64 v5, null, s31, 0, s4
	v_add_co_u32 v0, s4, s6, v0
	v_add_co_ci_u32_e64 v1, null, s7, 0, s4
	v_mul_lo_u32 v3, v5, s8
	v_mul_lo_u32 v4, v2, s9
	s_lshl_b64 s[2:3], s[10:11], 2
	v_lshlrev_b64 v[0:1], 2, v[0:1]
	s_waitcnt lgkmcnt(0)
	s_add_u32 s2, s18, s2
	s_addc_u32 s3, s19, s3
	v_cmp_neq_f32_e64 s4, s0, 0
	s_and_b32 vcc_lo, exec_lo, s4
	s_mov_b32 s4, 0
	s_cbranch_vccnz .LBB181_7
; %bb.4:
	v_mad_u64_u32 v[22:23], null, v2, s8, 0
	s_lshl_b64 s[6:7], s[8:9], 6
	v_mul_f32_e32 v26, s1, v18
	v_mul_f32_e32 v27, s1, v21
	v_mul_f32_e32 v28, s1, v20
	v_mul_f32_e32 v29, s1, v19
	v_mul_f32_e32 v30, s1, v17
	v_add3_u32 v23, v23, v4, v3
	v_mul_f32_e32 v31, s1, v16
	v_mul_f32_e32 v32, s1, v15
	v_mul_f32_e32 v33, s1, v14
	v_lshlrev_b64 v[22:23], 2, v[22:23]
	v_add_co_u32 v22, vcc_lo, s2, v22
	v_add_co_ci_u32_e64 v23, null, s3, v23, vcc_lo
	v_add_co_u32 v34, vcc_lo, v22, s6
	v_add_co_ci_u32_e64 v35, null, s7, v23, vcc_lo
	;; [unrolled: 2-line block ×4, first 2 shown]
	flat_store_dword v[22:23], v26
	flat_store_dword v[22:23], v27 offset:64
	flat_store_dword v[22:23], v28 offset:128
	;; [unrolled: 1-line block ×3, first 2 shown]
	flat_store_dword v[24:25], v30
	flat_store_dword v[24:25], v31 offset:64
	v_add_co_u32 v26, vcc_lo, v34, s6
	v_add_co_ci_u32_e64 v27, null, s7, v35, vcc_lo
	v_mul_f32_e32 v28, s1, v13
	v_add_co_u32 v22, vcc_lo, v26, v0
	v_add_co_ci_u32_e64 v23, null, v27, v1, vcc_lo
	v_mul_f32_e32 v29, s1, v12
	v_mul_f32_e32 v30, s1, v11
	flat_store_dword v[24:25], v32 offset:128
	flat_store_dword v[24:25], v33 offset:192
	flat_store_dword v[22:23], v28
	flat_store_dword v[22:23], v29 offset:64
	flat_store_dword v[22:23], v30 offset:128
	v_add_co_u32 v24, vcc_lo, v26, s6
	v_add_co_ci_u32_e64 v25, null, s7, v27, vcc_lo
	v_mul_f32_e32 v28, s1, v10
	v_add_co_u32 v24, vcc_lo, v24, v0
	v_mul_f32_e32 v26, s1, v9
	v_add_co_ci_u32_e64 v25, null, v25, v1, vcc_lo
	v_mul_f32_e32 v27, s1, v8
	v_mul_f32_e32 v29, s1, v7
	;; [unrolled: 1-line block ×3, first 2 shown]
	flat_store_dword v[22:23], v28 offset:192
	flat_store_dword v[24:25], v26
	flat_store_dword v[24:25], v27 offset:64
	flat_store_dword v[24:25], v29 offset:128
	;; [unrolled: 1-line block ×3, first 2 shown]
	s_andn2_b32 vcc_lo, exec_lo, s4
	s_cbranch_vccnz .LBB181_6
.LBB181_5:
	v_mul_lo_u32 v5, v5, s14
	v_mul_lo_u32 v24, v2, s15
	v_mad_u64_u32 v[22:23], null, v2, s14, 0
	s_lshl_b64 s[4:5], s[16:17], 2
	s_add_u32 s4, s12, s4
	s_addc_u32 s5, s13, s5
	v_add3_u32 v23, v23, v24, v5
	v_mad_u64_u32 v[24:25], null, v2, s8, 0
	v_lshlrev_b64 v[22:23], 2, v[22:23]
	v_add3_u32 v25, v25, v4, v3
	v_add_co_u32 v5, vcc_lo, s4, v22
	v_add_co_ci_u32_e64 v26, null, s5, v23, vcc_lo
	v_lshlrev_b64 v[2:3], 2, v[24:25]
	v_add_co_u32 v22, vcc_lo, v5, v0
	v_add_co_ci_u32_e64 v23, null, v26, v1, vcc_lo
	s_lshl_b64 s[4:5], s[8:9], 6
	v_add_co_u32 v24, vcc_lo, s2, v2
	flat_load_dword v27, v[22:23]
	v_add_co_ci_u32_e64 v25, null, s3, v3, vcc_lo
	v_add_co_u32 v2, vcc_lo, v24, v0
	s_lshl_b64 s[2:3], s[14:15], 6
	v_add_co_ci_u32_e64 v3, null, v25, v1, vcc_lo
	s_waitcnt vmcnt(0) lgkmcnt(0)
	v_mul_f32_e32 v4, s0, v27
	v_fmac_f32_e32 v4, s1, v18
	flat_store_dword v[2:3], v4
	flat_load_dword v4, v[22:23] offset:64
	s_waitcnt vmcnt(0) lgkmcnt(0)
	v_mul_f32_e32 v4, s0, v4
	v_fmac_f32_e32 v4, s1, v21
	flat_store_dword v[2:3], v4 offset:64
	flat_load_dword v4, v[22:23] offset:128
	s_waitcnt vmcnt(0) lgkmcnt(0)
	v_mul_f32_e32 v4, s0, v4
	v_fmac_f32_e32 v4, s1, v20
	v_add_co_u32 v20, vcc_lo, v5, s2
	v_add_co_ci_u32_e64 v21, null, s3, v26, vcc_lo
	flat_store_dword v[2:3], v4 offset:128
	flat_load_dword v4, v[22:23] offset:192
	s_waitcnt vmcnt(0) lgkmcnt(0)
	v_mul_f32_e32 v18, s0, v4
	v_add_co_u32 v4, vcc_lo, v20, v0
	v_add_co_ci_u32_e64 v5, null, v21, v1, vcc_lo
	v_fmac_f32_e32 v18, s1, v19
	flat_store_dword v[2:3], v18 offset:192
	flat_load_dword v2, v[4:5]
	v_add_co_u32 v18, vcc_lo, v24, s4
	v_add_co_ci_u32_e64 v19, null, s5, v25, vcc_lo
	s_waitcnt vmcnt(0) lgkmcnt(0)
	v_mul_f32_e32 v22, s0, v2
	v_add_co_u32 v2, vcc_lo, v18, v0
	v_add_co_ci_u32_e64 v3, null, v19, v1, vcc_lo
	v_fmac_f32_e32 v22, s1, v17
	flat_store_dword v[2:3], v22
	flat_load_dword v17, v[4:5] offset:64
	s_waitcnt vmcnt(0) lgkmcnt(0)
	v_mul_f32_e32 v17, s0, v17
	v_fmac_f32_e32 v17, s1, v16
	flat_store_dword v[2:3], v17 offset:64
	flat_load_dword v16, v[4:5] offset:128
	s_waitcnt vmcnt(0) lgkmcnt(0)
	v_mul_f32_e32 v16, s0, v16
	v_fmac_f32_e32 v16, s1, v15
	flat_store_dword v[2:3], v16 offset:128
	flat_load_dword v4, v[4:5] offset:192
	v_add_co_u32 v16, vcc_lo, v20, s2
	v_add_co_ci_u32_e64 v17, null, s3, v21, vcc_lo
	s_waitcnt vmcnt(0) lgkmcnt(0)
	v_mul_f32_e32 v15, s0, v4
	v_add_co_u32 v4, vcc_lo, v16, v0
	v_add_co_ci_u32_e64 v5, null, v17, v1, vcc_lo
	v_fmac_f32_e32 v15, s1, v14
	v_add_co_u32 v14, vcc_lo, v18, s4
	flat_store_dword v[2:3], v15 offset:192
	flat_load_dword v2, v[4:5]
	v_add_co_ci_u32_e64 v15, null, s5, v19, vcc_lo
	s_waitcnt vmcnt(0) lgkmcnt(0)
	v_mul_f32_e32 v18, s0, v2
	v_add_co_u32 v2, vcc_lo, v14, v0
	v_add_co_ci_u32_e64 v3, null, v15, v1, vcc_lo
	v_fmac_f32_e32 v18, s1, v13
	flat_store_dword v[2:3], v18
	flat_load_dword v13, v[4:5] offset:64
	s_waitcnt vmcnt(0) lgkmcnt(0)
	v_mul_f32_e32 v13, s0, v13
	v_fmac_f32_e32 v13, s1, v12
	flat_store_dword v[2:3], v13 offset:64
	flat_load_dword v12, v[4:5] offset:128
	s_waitcnt vmcnt(0) lgkmcnt(0)
	v_mul_f32_e32 v12, s0, v12
	v_fmac_f32_e32 v12, s1, v11
	flat_store_dword v[2:3], v12 offset:128
	flat_load_dword v4, v[4:5] offset:192
	s_waitcnt vmcnt(0) lgkmcnt(0)
	v_mul_f32_e32 v11, s0, v4
	v_add_co_u32 v4, vcc_lo, v16, s2
	v_add_co_ci_u32_e64 v5, null, s3, v17, vcc_lo
	v_fmac_f32_e32 v11, s1, v10
	v_add_co_u32 v4, vcc_lo, v4, v0
	v_add_co_ci_u32_e64 v5, null, v5, v1, vcc_lo
	flat_store_dword v[2:3], v11 offset:192
	v_add_co_u32 v3, vcc_lo, v14, s4
	flat_load_dword v2, v[4:5]
	v_add_co_ci_u32_e64 v10, null, s5, v15, vcc_lo
	v_add_co_u32 v0, vcc_lo, v3, v0
	v_add_co_ci_u32_e64 v1, null, v10, v1, vcc_lo
	s_waitcnt vmcnt(0) lgkmcnt(0)
	v_mul_f32_e32 v2, s0, v2
	v_fmac_f32_e32 v2, s1, v9
	flat_store_dword v[0:1], v2
	flat_load_dword v2, v[4:5] offset:64
	s_waitcnt vmcnt(0) lgkmcnt(0)
	v_mul_f32_e32 v2, s0, v2
	v_fmac_f32_e32 v2, s1, v8
	flat_store_dword v[0:1], v2 offset:64
	flat_load_dword v2, v[4:5] offset:128
	s_waitcnt vmcnt(0) lgkmcnt(0)
	v_mul_f32_e32 v2, s0, v2
	v_fmac_f32_e32 v2, s1, v7
	flat_store_dword v[0:1], v2 offset:128
	;; [unrolled: 5-line block ×3, first 2 shown]
.LBB181_6:
	s_endpgm
.LBB181_7:
	s_branch .LBB181_5
	.section	.rodata,"a",@progbits
	.p2align	6, 0x0
	.amdhsa_kernel _ZN12_GLOBAL__N_127rocblas_gemm_batched_kernelIfLi16ELi16ELi64ELi64ELi4ELi64ELi4ELi4ELi64ELc67ELc78EKPKfS3_KPfEEvlllT_PT11_llS8_llS6_PT12_llPT13_lli
		.amdhsa_group_segment_fixed_size 2048
		.amdhsa_private_segment_fixed_size 0
		.amdhsa_kernarg_size 140
		.amdhsa_user_sgpr_count 6
		.amdhsa_user_sgpr_private_segment_buffer 1
		.amdhsa_user_sgpr_dispatch_ptr 0
		.amdhsa_user_sgpr_queue_ptr 0
		.amdhsa_user_sgpr_kernarg_segment_ptr 1
		.amdhsa_user_sgpr_dispatch_id 0
		.amdhsa_user_sgpr_flat_scratch_init 0
		.amdhsa_user_sgpr_private_segment_size 0
		.amdhsa_wavefront_size32 1
		.amdhsa_uses_dynamic_stack 0
		.amdhsa_system_sgpr_private_segment_wavefront_offset 0
		.amdhsa_system_sgpr_workgroup_id_x 1
		.amdhsa_system_sgpr_workgroup_id_y 1
		.amdhsa_system_sgpr_workgroup_id_z 1
		.amdhsa_system_sgpr_workgroup_info 0
		.amdhsa_system_vgpr_workitem_id 1
		.amdhsa_next_free_vgpr 58
		.amdhsa_next_free_sgpr 36
		.amdhsa_reserve_vcc 1
		.amdhsa_reserve_flat_scratch 0
		.amdhsa_float_round_mode_32 0
		.amdhsa_float_round_mode_16_64 0
		.amdhsa_float_denorm_mode_32 3
		.amdhsa_float_denorm_mode_16_64 3
		.amdhsa_dx10_clamp 1
		.amdhsa_ieee_mode 1
		.amdhsa_fp16_overflow 0
		.amdhsa_workgroup_processor_mode 1
		.amdhsa_memory_ordered 1
		.amdhsa_forward_progress 1
		.amdhsa_shared_vgpr_count 0
		.amdhsa_exception_fp_ieee_invalid_op 0
		.amdhsa_exception_fp_denorm_src 0
		.amdhsa_exception_fp_ieee_div_zero 0
		.amdhsa_exception_fp_ieee_overflow 0
		.amdhsa_exception_fp_ieee_underflow 0
		.amdhsa_exception_fp_ieee_inexact 0
		.amdhsa_exception_int_div_zero 0
	.end_amdhsa_kernel
	.section	.text._ZN12_GLOBAL__N_127rocblas_gemm_batched_kernelIfLi16ELi16ELi64ELi64ELi4ELi64ELi4ELi4ELi64ELc67ELc78EKPKfS3_KPfEEvlllT_PT11_llS8_llS6_PT12_llPT13_lli,"axG",@progbits,_ZN12_GLOBAL__N_127rocblas_gemm_batched_kernelIfLi16ELi16ELi64ELi64ELi4ELi64ELi4ELi4ELi64ELc67ELc78EKPKfS3_KPfEEvlllT_PT11_llS8_llS6_PT12_llPT13_lli,comdat
.Lfunc_end181:
	.size	_ZN12_GLOBAL__N_127rocblas_gemm_batched_kernelIfLi16ELi16ELi64ELi64ELi4ELi64ELi4ELi4ELi64ELc67ELc78EKPKfS3_KPfEEvlllT_PT11_llS8_llS6_PT12_llPT13_lli, .Lfunc_end181-_ZN12_GLOBAL__N_127rocblas_gemm_batched_kernelIfLi16ELi16ELi64ELi64ELi4ELi64ELi4ELi4ELi64ELc67ELc78EKPKfS3_KPfEEvlllT_PT11_llS8_llS6_PT12_llPT13_lli
                                        ; -- End function
	.set _ZN12_GLOBAL__N_127rocblas_gemm_batched_kernelIfLi16ELi16ELi64ELi64ELi4ELi64ELi4ELi4ELi64ELc67ELc78EKPKfS3_KPfEEvlllT_PT11_llS8_llS6_PT12_llPT13_lli.num_vgpr, 58
	.set _ZN12_GLOBAL__N_127rocblas_gemm_batched_kernelIfLi16ELi16ELi64ELi64ELi4ELi64ELi4ELi4ELi64ELc67ELc78EKPKfS3_KPfEEvlllT_PT11_llS8_llS6_PT12_llPT13_lli.num_agpr, 0
	.set _ZN12_GLOBAL__N_127rocblas_gemm_batched_kernelIfLi16ELi16ELi64ELi64ELi4ELi64ELi4ELi4ELi64ELc67ELc78EKPKfS3_KPfEEvlllT_PT11_llS8_llS6_PT12_llPT13_lli.numbered_sgpr, 36
	.set _ZN12_GLOBAL__N_127rocblas_gemm_batched_kernelIfLi16ELi16ELi64ELi64ELi4ELi64ELi4ELi4ELi64ELc67ELc78EKPKfS3_KPfEEvlllT_PT11_llS8_llS6_PT12_llPT13_lli.num_named_barrier, 0
	.set _ZN12_GLOBAL__N_127rocblas_gemm_batched_kernelIfLi16ELi16ELi64ELi64ELi4ELi64ELi4ELi4ELi64ELc67ELc78EKPKfS3_KPfEEvlllT_PT11_llS8_llS6_PT12_llPT13_lli.private_seg_size, 0
	.set _ZN12_GLOBAL__N_127rocblas_gemm_batched_kernelIfLi16ELi16ELi64ELi64ELi4ELi64ELi4ELi4ELi64ELc67ELc78EKPKfS3_KPfEEvlllT_PT11_llS8_llS6_PT12_llPT13_lli.uses_vcc, 1
	.set _ZN12_GLOBAL__N_127rocblas_gemm_batched_kernelIfLi16ELi16ELi64ELi64ELi4ELi64ELi4ELi4ELi64ELc67ELc78EKPKfS3_KPfEEvlllT_PT11_llS8_llS6_PT12_llPT13_lli.uses_flat_scratch, 0
	.set _ZN12_GLOBAL__N_127rocblas_gemm_batched_kernelIfLi16ELi16ELi64ELi64ELi4ELi64ELi4ELi4ELi64ELc67ELc78EKPKfS3_KPfEEvlllT_PT11_llS8_llS6_PT12_llPT13_lli.has_dyn_sized_stack, 0
	.set _ZN12_GLOBAL__N_127rocblas_gemm_batched_kernelIfLi16ELi16ELi64ELi64ELi4ELi64ELi4ELi4ELi64ELc67ELc78EKPKfS3_KPfEEvlllT_PT11_llS8_llS6_PT12_llPT13_lli.has_recursion, 0
	.set _ZN12_GLOBAL__N_127rocblas_gemm_batched_kernelIfLi16ELi16ELi64ELi64ELi4ELi64ELi4ELi4ELi64ELc67ELc78EKPKfS3_KPfEEvlllT_PT11_llS8_llS6_PT12_llPT13_lli.has_indirect_call, 0
	.section	.AMDGPU.csdata,"",@progbits
; Kernel info:
; codeLenInByte = 2332
; TotalNumSgprs: 38
; NumVgprs: 58
; ScratchSize: 0
; MemoryBound: 0
; FloatMode: 240
; IeeeMode: 1
; LDSByteSize: 2048 bytes/workgroup (compile time only)
; SGPRBlocks: 0
; VGPRBlocks: 7
; NumSGPRsForWavesPerEU: 38
; NumVGPRsForWavesPerEU: 58
; Occupancy: 16
; WaveLimiterHint : 1
; COMPUTE_PGM_RSRC2:SCRATCH_EN: 0
; COMPUTE_PGM_RSRC2:USER_SGPR: 6
; COMPUTE_PGM_RSRC2:TRAP_HANDLER: 0
; COMPUTE_PGM_RSRC2:TGID_X_EN: 1
; COMPUTE_PGM_RSRC2:TGID_Y_EN: 1
; COMPUTE_PGM_RSRC2:TGID_Z_EN: 1
; COMPUTE_PGM_RSRC2:TIDIG_COMP_CNT: 1
	.section	.text._ZN12_GLOBAL__N_127rocblas_gemm_batched_kernelIfLi16ELi16ELi64ELi64ELi4ELi64ELi4ELi4ELi64ELc67ELc84EKPKfS3_KPfEEvlllT_PT11_llS8_llS6_PT12_llPT13_lli,"axG",@progbits,_ZN12_GLOBAL__N_127rocblas_gemm_batched_kernelIfLi16ELi16ELi64ELi64ELi4ELi64ELi4ELi4ELi64ELc67ELc84EKPKfS3_KPfEEvlllT_PT11_llS8_llS6_PT12_llPT13_lli,comdat
	.globl	_ZN12_GLOBAL__N_127rocblas_gemm_batched_kernelIfLi16ELi16ELi64ELi64ELi4ELi64ELi4ELi4ELi64ELc67ELc84EKPKfS3_KPfEEvlllT_PT11_llS8_llS6_PT12_llPT13_lli ; -- Begin function _ZN12_GLOBAL__N_127rocblas_gemm_batched_kernelIfLi16ELi16ELi64ELi64ELi4ELi64ELi4ELi4ELi64ELc67ELc84EKPKfS3_KPfEEvlllT_PT11_llS8_llS6_PT12_llPT13_lli
	.p2align	8
	.type	_ZN12_GLOBAL__N_127rocblas_gemm_batched_kernelIfLi16ELi16ELi64ELi64ELi4ELi64ELi4ELi4ELi64ELc67ELc84EKPKfS3_KPfEEvlllT_PT11_llS8_llS6_PT12_llPT13_lli,@function
_ZN12_GLOBAL__N_127rocblas_gemm_batched_kernelIfLi16ELi16ELi64ELi64ELi4ELi64ELi4ELi4ELi64ELc67ELc84EKPKfS3_KPfEEvlllT_PT11_llS8_llS6_PT12_llPT13_lli: ; @_ZN12_GLOBAL__N_127rocblas_gemm_batched_kernelIfLi16ELi16ELi64ELi64ELi4ELi64ELi4ELi4ELi64ELc67ELc84EKPKfS3_KPfEEvlllT_PT11_llS8_llS6_PT12_llPT13_lli
; %bb.0:
	s_clause 0x1
	s_load_dwordx8 s[12:19], s[4:5], 0x58
	s_load_dwordx2 s[28:29], s[4:5], 0x10
	s_mov_b32 s9, 0
	s_mov_b32 s0, s7
	s_lshl_b64 s[34:35], s[8:9], 3
	s_load_dwordx4 s[8:11], s[4:5], 0x78
	v_mov_b32_e32 v18, 0
	v_mov_b32_e32 v21, 0
	;; [unrolled: 1-line block ×14, first 2 shown]
	s_waitcnt lgkmcnt(0)
	s_add_u32 s2, s12, s34
	s_addc_u32 s3, s13, s35
	s_add_u32 s18, s18, s34
	s_addc_u32 s19, s19, s35
	s_load_dwordx2 s[12:13], s[2:3], 0x0
	s_load_dwordx2 s[18:19], s[18:19], 0x0
	v_cmp_lt_i64_e64 s20, s[28:29], 1
	v_mov_b32_e32 v2, 0
	v_mov_b32_e32 v3, 0
	s_ashr_i32 s7, s6, 31
	s_ashr_i32 s1, s0, 31
	s_lshl_b64 s[6:7], s[6:7], 6
	s_and_b32 vcc_lo, exec_lo, s20
	s_lshl_b64 s[30:31], s[0:1], 6
	s_cbranch_vccnz .LBB182_3
; %bb.1:
	s_clause 0x1
	s_load_dwordx8 s[20:27], s[4:5], 0x20
	s_load_dwordx4 s[0:3], s[4:5], 0x40
	v_lshlrev_b32_e32 v8, 4, v1
	v_and_b32_e32 v10, 3, v0
	v_mov_b32_e32 v3, 0
	v_lshlrev_b32_e32 v22, 2, v0
	v_add_nc_u32_e32 v9, v8, v0
	v_lshlrev_b32_e32 v12, 2, v10
	v_add_nc_u32_e32 v23, 0x400, v8
	v_mov_b32_e32 v16, v3
	v_mov_b32_e32 v17, v3
	v_and_b32_e32 v11, 63, v9
	v_lshrrev_b32_e32 v2, 2, v9
	v_lshrrev_b32_e32 v9, 6, v9
	v_mov_b32_e32 v19, v3
	v_mov_b32_e32 v20, v3
	v_add_co_u32 v6, s33, s6, v11
	v_add_co_ci_u32_e64 v7, null, s7, 0, s33
	s_waitcnt lgkmcnt(0)
	s_add_u32 s20, s20, s34
	s_addc_u32 s21, s21, s35
	s_add_u32 s26, s26, s34
	s_addc_u32 s27, s27, s35
	v_mad_u64_u32 v[4:5], null, s0, v10, v[2:3]
	s_load_dwordx2 s[26:27], s[26:27], 0x0
	v_mul_lo_u32 v13, s23, v6
	v_mul_lo_u32 v14, s22, v7
	v_mad_u64_u32 v[6:7], null, s22, v6, 0
	v_lshlrev_b32_e32 v11, 2, v11
	v_lshl_or_b32 v12, v2, 4, v12
	v_mov_b32_e32 v2, v5
	v_lshlrev_b32_e32 v15, 2, v9
	s_load_dwordx2 s[20:21], s[20:21], 0x0
	v_lshl_or_b32 v24, v9, 8, v11
	v_add3_u32 v7, v7, v14, v13
	v_mad_u64_u32 v[8:9], null, s1, v10, v[2:3]
	s_lshl_b64 s[2:3], s[2:3], 2
	v_add_nc_u32_e32 v25, 0x400, v12
	v_lshlrev_b64 v[5:6], 2, v[6:7]
	v_add_co_u32 v7, vcc_lo, v4, s30
	v_mov_b32_e32 v9, v3
	v_add_co_ci_u32_e64 v8, null, s31, v8, vcc_lo
	s_waitcnt lgkmcnt(0)
	s_add_u32 s22, s26, s2
	s_addc_u32 s23, s27, s3
	s_lshl_b64 s[2:3], s[24:25], 2
	v_mov_b32_e32 v10, v3
	v_add_co_u32 v2, vcc_lo, v5, s2
	v_add_co_ci_u32_e64 v6, null, s3, v6, vcc_lo
	v_lshlrev_b64 v[4:5], 2, v[7:8]
	v_add_co_u32 v2, vcc_lo, v2, v15
	v_add_co_ci_u32_e64 v7, null, 0, v6, vcc_lo
	v_mov_b32_e32 v8, v3
	v_add_co_u32 v4, vcc_lo, s22, v4
	v_add_co_ci_u32_e64 v5, null, s23, v5, vcc_lo
	v_add_co_u32 v6, vcc_lo, s20, v2
	v_add_co_ci_u32_e64 v7, null, s21, v7, vcc_lo
	v_mov_b32_e32 v2, v3
	v_mov_b32_e32 v11, v3
	;; [unrolled: 1-line block ×8, first 2 shown]
	s_lshl_b64 s[2:3], s[0:1], 4
	s_mov_b64 s[20:21], 0
.LBB182_2:                              ; =>This Inner Loop Header: Depth=1
	flat_load_dword v26, v[6:7]
	s_add_u32 s20, s20, 4
	s_addc_u32 s21, s21, 0
	v_add_co_u32 v6, vcc_lo, v6, 16
	v_cmp_lt_i64_e64 s0, s[20:21], s[28:29]
	v_add_co_ci_u32_e64 v7, null, 0, v7, vcc_lo
	s_and_b32 vcc_lo, exec_lo, s0
	s_waitcnt vmcnt(0) lgkmcnt(0)
	ds_write_b32 v24, v26
	flat_load_dword v26, v[4:5]
	v_add_co_u32 v4, s0, v4, s2
	v_add_co_ci_u32_e64 v5, null, s3, v5, s0
	s_waitcnt vmcnt(0) lgkmcnt(0)
	ds_write_b32 v25, v26
	s_waitcnt lgkmcnt(0)
	s_barrier
	buffer_gl0_inv
	ds_read_b128 v[26:29], v23
	ds_read2_b32 v[42:43], v22 offset1:16
	ds_read2_b32 v[44:45], v22 offset0:32 offset1:48
	ds_read_b128 v[30:33], v23 offset:256
	ds_read_b128 v[34:37], v23 offset:512
	;; [unrolled: 1-line block ×3, first 2 shown]
	ds_read2_b32 v[46:47], v22 offset0:64 offset1:80
	ds_read2_b32 v[48:49], v22 offset0:96 offset1:112
	;; [unrolled: 1-line block ×6, first 2 shown]
	s_waitcnt lgkmcnt(0)
	s_barrier
	buffer_gl0_inv
	v_fmac_f32_e32 v18, v42, v26
	v_fmac_f32_e32 v21, v43, v26
	;; [unrolled: 1-line block ×64, first 2 shown]
	s_cbranch_vccnz .LBB182_2
.LBB182_3:
	s_clause 0x1
	s_load_dword s0, s[4:5], 0x50
	s_load_dword s1, s[4:5], 0x18
	v_add_co_u32 v4, s4, s30, v1
	v_add_co_ci_u32_e64 v7, null, s31, 0, s4
	v_add_co_u32 v0, s4, s6, v0
	v_add_co_ci_u32_e64 v1, null, s7, 0, s4
	v_mul_lo_u32 v5, v7, s8
	v_mul_lo_u32 v6, v4, s9
	s_lshl_b64 s[2:3], s[10:11], 2
	v_lshlrev_b64 v[0:1], 2, v[0:1]
	s_waitcnt lgkmcnt(0)
	s_add_u32 s2, s18, s2
	s_addc_u32 s3, s19, s3
	v_cmp_neq_f32_e64 s4, s0, 0
	s_and_b32 vcc_lo, exec_lo, s4
	s_mov_b32 s4, 0
	s_cbranch_vccnz .LBB182_7
; %bb.4:
	v_mad_u64_u32 v[22:23], null, v4, s8, 0
	s_lshl_b64 s[6:7], s[8:9], 6
	v_mul_f32_e32 v26, s1, v18
	v_mul_f32_e32 v27, s1, v21
	;; [unrolled: 1-line block ×5, first 2 shown]
	v_add3_u32 v23, v23, v6, v5
	v_mul_f32_e32 v31, s1, v16
	v_mul_f32_e32 v32, s1, v15
	;; [unrolled: 1-line block ×3, first 2 shown]
	v_lshlrev_b64 v[22:23], 2, v[22:23]
	v_add_co_u32 v22, vcc_lo, s2, v22
	v_add_co_ci_u32_e64 v23, null, s3, v23, vcc_lo
	v_add_co_u32 v34, vcc_lo, v22, s6
	v_add_co_ci_u32_e64 v35, null, s7, v23, vcc_lo
	;; [unrolled: 2-line block ×4, first 2 shown]
	flat_store_dword v[22:23], v26
	flat_store_dword v[22:23], v27 offset:64
	flat_store_dword v[22:23], v28 offset:128
	;; [unrolled: 1-line block ×3, first 2 shown]
	flat_store_dword v[24:25], v30
	flat_store_dword v[24:25], v31 offset:64
	v_add_co_u32 v26, vcc_lo, v34, s6
	v_add_co_ci_u32_e64 v27, null, s7, v35, vcc_lo
	v_mul_f32_e32 v28, s1, v13
	v_add_co_u32 v22, vcc_lo, v26, v0
	v_add_co_ci_u32_e64 v23, null, v27, v1, vcc_lo
	v_mul_f32_e32 v29, s1, v12
	v_mul_f32_e32 v30, s1, v11
	flat_store_dword v[24:25], v32 offset:128
	flat_store_dword v[24:25], v33 offset:192
	flat_store_dword v[22:23], v28
	flat_store_dword v[22:23], v29 offset:64
	flat_store_dword v[22:23], v30 offset:128
	v_add_co_u32 v24, vcc_lo, v26, s6
	v_add_co_ci_u32_e64 v25, null, s7, v27, vcc_lo
	v_mul_f32_e32 v28, s1, v10
	v_add_co_u32 v24, vcc_lo, v24, v0
	v_mul_f32_e32 v26, s1, v9
	v_add_co_ci_u32_e64 v25, null, v25, v1, vcc_lo
	v_mul_f32_e32 v27, s1, v8
	v_mul_f32_e32 v29, s1, v2
	;; [unrolled: 1-line block ×3, first 2 shown]
	flat_store_dword v[22:23], v28 offset:192
	flat_store_dword v[24:25], v26
	flat_store_dword v[24:25], v27 offset:64
	flat_store_dword v[24:25], v29 offset:128
	flat_store_dword v[24:25], v30 offset:192
	s_andn2_b32 vcc_lo, exec_lo, s4
	s_cbranch_vccnz .LBB182_6
.LBB182_5:
	v_mul_lo_u32 v7, v7, s14
	v_mul_lo_u32 v24, v4, s15
	v_mad_u64_u32 v[22:23], null, v4, s14, 0
	s_lshl_b64 s[4:5], s[16:17], 2
	s_add_u32 s4, s12, s4
	s_addc_u32 s5, s13, s5
	v_add3_u32 v23, v23, v24, v7
	v_mad_u64_u32 v[24:25], null, v4, s8, 0
	v_lshlrev_b64 v[22:23], 2, v[22:23]
	v_add3_u32 v25, v25, v6, v5
	v_add_co_u32 v7, vcc_lo, s4, v22
	v_add_co_ci_u32_e64 v26, null, s5, v23, vcc_lo
	v_lshlrev_b64 v[4:5], 2, v[24:25]
	v_add_co_u32 v22, vcc_lo, v7, v0
	v_add_co_ci_u32_e64 v23, null, v26, v1, vcc_lo
	s_lshl_b64 s[4:5], s[8:9], 6
	v_add_co_u32 v24, vcc_lo, s2, v4
	flat_load_dword v27, v[22:23]
	v_add_co_ci_u32_e64 v25, null, s3, v5, vcc_lo
	v_add_co_u32 v4, vcc_lo, v24, v0
	s_lshl_b64 s[2:3], s[14:15], 6
	v_add_co_ci_u32_e64 v5, null, v25, v1, vcc_lo
	s_waitcnt vmcnt(0) lgkmcnt(0)
	v_mul_f32_e32 v6, s0, v27
	v_fmac_f32_e32 v6, s1, v18
	flat_store_dword v[4:5], v6
	flat_load_dword v6, v[22:23] offset:64
	s_waitcnt vmcnt(0) lgkmcnt(0)
	v_mul_f32_e32 v6, s0, v6
	v_fmac_f32_e32 v6, s1, v21
	flat_store_dword v[4:5], v6 offset:64
	flat_load_dword v6, v[22:23] offset:128
	s_waitcnt vmcnt(0) lgkmcnt(0)
	v_mul_f32_e32 v6, s0, v6
	v_fmac_f32_e32 v6, s1, v20
	v_add_co_u32 v20, vcc_lo, v7, s2
	v_add_co_ci_u32_e64 v21, null, s3, v26, vcc_lo
	flat_store_dword v[4:5], v6 offset:128
	flat_load_dword v6, v[22:23] offset:192
	s_waitcnt vmcnt(0) lgkmcnt(0)
	v_mul_f32_e32 v18, s0, v6
	v_add_co_u32 v6, vcc_lo, v20, v0
	v_add_co_ci_u32_e64 v7, null, v21, v1, vcc_lo
	v_fmac_f32_e32 v18, s1, v19
	flat_store_dword v[4:5], v18 offset:192
	flat_load_dword v4, v[6:7]
	v_add_co_u32 v18, vcc_lo, v24, s4
	v_add_co_ci_u32_e64 v19, null, s5, v25, vcc_lo
	s_waitcnt vmcnt(0) lgkmcnt(0)
	v_mul_f32_e32 v22, s0, v4
	v_add_co_u32 v4, vcc_lo, v18, v0
	v_add_co_ci_u32_e64 v5, null, v19, v1, vcc_lo
	v_fmac_f32_e32 v22, s1, v17
	flat_store_dword v[4:5], v22
	flat_load_dword v17, v[6:7] offset:64
	s_waitcnt vmcnt(0) lgkmcnt(0)
	v_mul_f32_e32 v17, s0, v17
	v_fmac_f32_e32 v17, s1, v16
	flat_store_dword v[4:5], v17 offset:64
	flat_load_dword v16, v[6:7] offset:128
	s_waitcnt vmcnt(0) lgkmcnt(0)
	v_mul_f32_e32 v16, s0, v16
	v_fmac_f32_e32 v16, s1, v15
	flat_store_dword v[4:5], v16 offset:128
	flat_load_dword v6, v[6:7] offset:192
	v_add_co_u32 v16, vcc_lo, v20, s2
	v_add_co_ci_u32_e64 v17, null, s3, v21, vcc_lo
	s_waitcnt vmcnt(0) lgkmcnt(0)
	v_mul_f32_e32 v15, s0, v6
	v_add_co_u32 v6, vcc_lo, v16, v0
	v_add_co_ci_u32_e64 v7, null, v17, v1, vcc_lo
	v_fmac_f32_e32 v15, s1, v14
	v_add_co_u32 v14, vcc_lo, v18, s4
	flat_store_dword v[4:5], v15 offset:192
	flat_load_dword v4, v[6:7]
	v_add_co_ci_u32_e64 v15, null, s5, v19, vcc_lo
	s_waitcnt vmcnt(0) lgkmcnt(0)
	v_mul_f32_e32 v18, s0, v4
	v_add_co_u32 v4, vcc_lo, v14, v0
	v_add_co_ci_u32_e64 v5, null, v15, v1, vcc_lo
	v_fmac_f32_e32 v18, s1, v13
	flat_store_dword v[4:5], v18
	flat_load_dword v13, v[6:7] offset:64
	s_waitcnt vmcnt(0) lgkmcnt(0)
	v_mul_f32_e32 v13, s0, v13
	v_fmac_f32_e32 v13, s1, v12
	flat_store_dword v[4:5], v13 offset:64
	flat_load_dword v12, v[6:7] offset:128
	s_waitcnt vmcnt(0) lgkmcnt(0)
	v_mul_f32_e32 v12, s0, v12
	v_fmac_f32_e32 v12, s1, v11
	flat_store_dword v[4:5], v12 offset:128
	flat_load_dword v6, v[6:7] offset:192
	s_waitcnt vmcnt(0) lgkmcnt(0)
	v_mul_f32_e32 v11, s0, v6
	v_add_co_u32 v6, vcc_lo, v16, s2
	v_add_co_ci_u32_e64 v7, null, s3, v17, vcc_lo
	v_fmac_f32_e32 v11, s1, v10
	v_add_co_u32 v6, vcc_lo, v6, v0
	v_add_co_ci_u32_e64 v7, null, v7, v1, vcc_lo
	flat_store_dword v[4:5], v11 offset:192
	v_add_co_u32 v5, vcc_lo, v14, s4
	flat_load_dword v4, v[6:7]
	v_add_co_ci_u32_e64 v10, null, s5, v15, vcc_lo
	v_add_co_u32 v0, vcc_lo, v5, v0
	v_add_co_ci_u32_e64 v1, null, v10, v1, vcc_lo
	s_waitcnt vmcnt(0) lgkmcnt(0)
	v_mul_f32_e32 v4, s0, v4
	v_fmac_f32_e32 v4, s1, v9
	flat_store_dword v[0:1], v4
	flat_load_dword v4, v[6:7] offset:64
	s_waitcnt vmcnt(0) lgkmcnt(0)
	v_mul_f32_e32 v4, s0, v4
	v_fmac_f32_e32 v4, s1, v8
	flat_store_dword v[0:1], v4 offset:64
	flat_load_dword v4, v[6:7] offset:128
	s_waitcnt vmcnt(0) lgkmcnt(0)
	v_mul_f32_e32 v4, s0, v4
	v_fmac_f32_e32 v4, s1, v2
	flat_store_dword v[0:1], v4 offset:128
	;; [unrolled: 5-line block ×3, first 2 shown]
.LBB182_6:
	s_endpgm
.LBB182_7:
	s_branch .LBB182_5
	.section	.rodata,"a",@progbits
	.p2align	6, 0x0
	.amdhsa_kernel _ZN12_GLOBAL__N_127rocblas_gemm_batched_kernelIfLi16ELi16ELi64ELi64ELi4ELi64ELi4ELi4ELi64ELc67ELc84EKPKfS3_KPfEEvlllT_PT11_llS8_llS6_PT12_llPT13_lli
		.amdhsa_group_segment_fixed_size 2048
		.amdhsa_private_segment_fixed_size 0
		.amdhsa_kernarg_size 140
		.amdhsa_user_sgpr_count 6
		.amdhsa_user_sgpr_private_segment_buffer 1
		.amdhsa_user_sgpr_dispatch_ptr 0
		.amdhsa_user_sgpr_queue_ptr 0
		.amdhsa_user_sgpr_kernarg_segment_ptr 1
		.amdhsa_user_sgpr_dispatch_id 0
		.amdhsa_user_sgpr_flat_scratch_init 0
		.amdhsa_user_sgpr_private_segment_size 0
		.amdhsa_wavefront_size32 1
		.amdhsa_uses_dynamic_stack 0
		.amdhsa_system_sgpr_private_segment_wavefront_offset 0
		.amdhsa_system_sgpr_workgroup_id_x 1
		.amdhsa_system_sgpr_workgroup_id_y 1
		.amdhsa_system_sgpr_workgroup_id_z 1
		.amdhsa_system_sgpr_workgroup_info 0
		.amdhsa_system_vgpr_workitem_id 1
		.amdhsa_next_free_vgpr 58
		.amdhsa_next_free_sgpr 36
		.amdhsa_reserve_vcc 1
		.amdhsa_reserve_flat_scratch 0
		.amdhsa_float_round_mode_32 0
		.amdhsa_float_round_mode_16_64 0
		.amdhsa_float_denorm_mode_32 3
		.amdhsa_float_denorm_mode_16_64 3
		.amdhsa_dx10_clamp 1
		.amdhsa_ieee_mode 1
		.amdhsa_fp16_overflow 0
		.amdhsa_workgroup_processor_mode 1
		.amdhsa_memory_ordered 1
		.amdhsa_forward_progress 1
		.amdhsa_shared_vgpr_count 0
		.amdhsa_exception_fp_ieee_invalid_op 0
		.amdhsa_exception_fp_denorm_src 0
		.amdhsa_exception_fp_ieee_div_zero 0
		.amdhsa_exception_fp_ieee_overflow 0
		.amdhsa_exception_fp_ieee_underflow 0
		.amdhsa_exception_fp_ieee_inexact 0
		.amdhsa_exception_int_div_zero 0
	.end_amdhsa_kernel
	.section	.text._ZN12_GLOBAL__N_127rocblas_gemm_batched_kernelIfLi16ELi16ELi64ELi64ELi4ELi64ELi4ELi4ELi64ELc67ELc84EKPKfS3_KPfEEvlllT_PT11_llS8_llS6_PT12_llPT13_lli,"axG",@progbits,_ZN12_GLOBAL__N_127rocblas_gemm_batched_kernelIfLi16ELi16ELi64ELi64ELi4ELi64ELi4ELi4ELi64ELc67ELc84EKPKfS3_KPfEEvlllT_PT11_llS8_llS6_PT12_llPT13_lli,comdat
.Lfunc_end182:
	.size	_ZN12_GLOBAL__N_127rocblas_gemm_batched_kernelIfLi16ELi16ELi64ELi64ELi4ELi64ELi4ELi4ELi64ELc67ELc84EKPKfS3_KPfEEvlllT_PT11_llS8_llS6_PT12_llPT13_lli, .Lfunc_end182-_ZN12_GLOBAL__N_127rocblas_gemm_batched_kernelIfLi16ELi16ELi64ELi64ELi4ELi64ELi4ELi4ELi64ELc67ELc84EKPKfS3_KPfEEvlllT_PT11_llS8_llS6_PT12_llPT13_lli
                                        ; -- End function
	.set _ZN12_GLOBAL__N_127rocblas_gemm_batched_kernelIfLi16ELi16ELi64ELi64ELi4ELi64ELi4ELi4ELi64ELc67ELc84EKPKfS3_KPfEEvlllT_PT11_llS8_llS6_PT12_llPT13_lli.num_vgpr, 58
	.set _ZN12_GLOBAL__N_127rocblas_gemm_batched_kernelIfLi16ELi16ELi64ELi64ELi4ELi64ELi4ELi4ELi64ELc67ELc84EKPKfS3_KPfEEvlllT_PT11_llS8_llS6_PT12_llPT13_lli.num_agpr, 0
	.set _ZN12_GLOBAL__N_127rocblas_gemm_batched_kernelIfLi16ELi16ELi64ELi64ELi4ELi64ELi4ELi4ELi64ELc67ELc84EKPKfS3_KPfEEvlllT_PT11_llS8_llS6_PT12_llPT13_lli.numbered_sgpr, 36
	.set _ZN12_GLOBAL__N_127rocblas_gemm_batched_kernelIfLi16ELi16ELi64ELi64ELi4ELi64ELi4ELi4ELi64ELc67ELc84EKPKfS3_KPfEEvlllT_PT11_llS8_llS6_PT12_llPT13_lli.num_named_barrier, 0
	.set _ZN12_GLOBAL__N_127rocblas_gemm_batched_kernelIfLi16ELi16ELi64ELi64ELi4ELi64ELi4ELi4ELi64ELc67ELc84EKPKfS3_KPfEEvlllT_PT11_llS8_llS6_PT12_llPT13_lli.private_seg_size, 0
	.set _ZN12_GLOBAL__N_127rocblas_gemm_batched_kernelIfLi16ELi16ELi64ELi64ELi4ELi64ELi4ELi4ELi64ELc67ELc84EKPKfS3_KPfEEvlllT_PT11_llS8_llS6_PT12_llPT13_lli.uses_vcc, 1
	.set _ZN12_GLOBAL__N_127rocblas_gemm_batched_kernelIfLi16ELi16ELi64ELi64ELi4ELi64ELi4ELi4ELi64ELc67ELc84EKPKfS3_KPfEEvlllT_PT11_llS8_llS6_PT12_llPT13_lli.uses_flat_scratch, 0
	.set _ZN12_GLOBAL__N_127rocblas_gemm_batched_kernelIfLi16ELi16ELi64ELi64ELi4ELi64ELi4ELi4ELi64ELc67ELc84EKPKfS3_KPfEEvlllT_PT11_llS8_llS6_PT12_llPT13_lli.has_dyn_sized_stack, 0
	.set _ZN12_GLOBAL__N_127rocblas_gemm_batched_kernelIfLi16ELi16ELi64ELi64ELi4ELi64ELi4ELi4ELi64ELc67ELc84EKPKfS3_KPfEEvlllT_PT11_llS8_llS6_PT12_llPT13_lli.has_recursion, 0
	.set _ZN12_GLOBAL__N_127rocblas_gemm_batched_kernelIfLi16ELi16ELi64ELi64ELi4ELi64ELi4ELi4ELi64ELc67ELc84EKPKfS3_KPfEEvlllT_PT11_llS8_llS6_PT12_llPT13_lli.has_indirect_call, 0
	.section	.AMDGPU.csdata,"",@progbits
; Kernel info:
; codeLenInByte = 2300
; TotalNumSgprs: 38
; NumVgprs: 58
; ScratchSize: 0
; MemoryBound: 0
; FloatMode: 240
; IeeeMode: 1
; LDSByteSize: 2048 bytes/workgroup (compile time only)
; SGPRBlocks: 0
; VGPRBlocks: 7
; NumSGPRsForWavesPerEU: 38
; NumVGPRsForWavesPerEU: 58
; Occupancy: 16
; WaveLimiterHint : 1
; COMPUTE_PGM_RSRC2:SCRATCH_EN: 0
; COMPUTE_PGM_RSRC2:USER_SGPR: 6
; COMPUTE_PGM_RSRC2:TRAP_HANDLER: 0
; COMPUTE_PGM_RSRC2:TGID_X_EN: 1
; COMPUTE_PGM_RSRC2:TGID_Y_EN: 1
; COMPUTE_PGM_RSRC2:TGID_Z_EN: 1
; COMPUTE_PGM_RSRC2:TIDIG_COMP_CNT: 1
	.section	.text._ZN12_GLOBAL__N_127rocblas_gemm_batched_kernelIfLi16ELi16ELi64ELi64ELi4ELi64ELi4ELi4ELi64ELc78ELc67EKPKfS3_KPfEEvlllT_PT11_llS8_llS6_PT12_llPT13_lli,"axG",@progbits,_ZN12_GLOBAL__N_127rocblas_gemm_batched_kernelIfLi16ELi16ELi64ELi64ELi4ELi64ELi4ELi4ELi64ELc78ELc67EKPKfS3_KPfEEvlllT_PT11_llS8_llS6_PT12_llPT13_lli,comdat
	.globl	_ZN12_GLOBAL__N_127rocblas_gemm_batched_kernelIfLi16ELi16ELi64ELi64ELi4ELi64ELi4ELi4ELi64ELc78ELc67EKPKfS3_KPfEEvlllT_PT11_llS8_llS6_PT12_llPT13_lli ; -- Begin function _ZN12_GLOBAL__N_127rocblas_gemm_batched_kernelIfLi16ELi16ELi64ELi64ELi4ELi64ELi4ELi4ELi64ELc78ELc67EKPKfS3_KPfEEvlllT_PT11_llS8_llS6_PT12_llPT13_lli
	.p2align	8
	.type	_ZN12_GLOBAL__N_127rocblas_gemm_batched_kernelIfLi16ELi16ELi64ELi64ELi4ELi64ELi4ELi4ELi64ELc78ELc67EKPKfS3_KPfEEvlllT_PT11_llS8_llS6_PT12_llPT13_lli,@function
_ZN12_GLOBAL__N_127rocblas_gemm_batched_kernelIfLi16ELi16ELi64ELi64ELi4ELi64ELi4ELi4ELi64ELc78ELc67EKPKfS3_KPfEEvlllT_PT11_llS8_llS6_PT12_llPT13_lli: ; @_ZN12_GLOBAL__N_127rocblas_gemm_batched_kernelIfLi16ELi16ELi64ELi64ELi4ELi64ELi4ELi4ELi64ELc78ELc67EKPKfS3_KPfEEvlllT_PT11_llS8_llS6_PT12_llPT13_lli
; %bb.0:
	s_clause 0x1
	s_load_dwordx8 s[12:19], s[4:5], 0x58
	s_load_dwordx2 s[28:29], s[4:5], 0x10
	s_mov_b32 s9, 0
	s_mov_b32 s0, s7
	s_lshl_b64 s[34:35], s[8:9], 3
	s_load_dwordx4 s[8:11], s[4:5], 0x78
	v_mov_b32_e32 v18, 0
	v_mov_b32_e32 v21, 0
	;; [unrolled: 1-line block ×14, first 2 shown]
	s_waitcnt lgkmcnt(0)
	s_add_u32 s2, s12, s34
	s_addc_u32 s3, s13, s35
	s_add_u32 s18, s18, s34
	s_addc_u32 s19, s19, s35
	s_load_dwordx2 s[12:13], s[2:3], 0x0
	s_load_dwordx2 s[18:19], s[18:19], 0x0
	v_cmp_lt_i64_e64 s20, s[28:29], 1
	v_mov_b32_e32 v2, 0
	v_mov_b32_e32 v3, 0
	s_ashr_i32 s7, s6, 31
	s_ashr_i32 s1, s0, 31
	s_lshl_b64 s[6:7], s[6:7], 6
	s_and_b32 vcc_lo, exec_lo, s20
	s_lshl_b64 s[30:31], s[0:1], 6
	s_cbranch_vccnz .LBB183_3
; %bb.1:
	s_clause 0x1
	s_load_dwordx8 s[20:27], s[4:5], 0x20
	s_load_dwordx4 s[0:3], s[4:5], 0x40
	v_lshlrev_b32_e32 v8, 4, v1
	v_and_b32_e32 v9, 3, v0
	v_mov_b32_e32 v3, 0
	v_lshlrev_b32_e32 v22, 2, v0
	v_add_nc_u32_e32 v4, v8, v0
	v_lshlrev_b32_e32 v11, 2, v9
	v_add_nc_u32_e32 v23, 0x400, v8
	v_mov_b32_e32 v14, v3
	v_mov_b32_e32 v15, v3
	v_lshrrev_b32_e32 v2, 2, v4
	v_lshrrev_b32_e32 v12, 6, v4
	v_and_b32_e32 v10, 63, v4
	v_mov_b32_e32 v16, v3
	v_mov_b32_e32 v17, v3
	v_lshl_or_b32 v11, v2, 4, v11
	v_mov_b32_e32 v19, v3
	v_lshlrev_b32_e32 v13, 2, v10
	s_waitcnt lgkmcnt(0)
	v_mad_u64_u32 v[6:7], null, s22, v12, s[6:7]
	v_mad_u64_u32 v[4:5], null, s0, v9, v[2:3]
	s_add_u32 s20, s20, s34
	s_addc_u32 s21, s21, s35
	s_add_u32 s26, s26, s34
	s_addc_u32 s27, s27, s35
	s_load_dwordx2 s[20:21], s[20:21], 0x0
	s_load_dwordx2 s[26:27], s[26:27], 0x0
	v_mov_b32_e32 v2, v5
	v_mov_b32_e32 v5, v7
	v_add_co_u32 v4, vcc_lo, v4, s30
	s_lshl_b64 s[2:3], s[2:3], 2
	v_mad_u64_u32 v[7:8], null, s1, v9, v[2:3]
	v_mad_u64_u32 v[8:9], null, s23, v12, v[5:6]
	v_lshl_or_b32 v24, v12, 8, v13
	v_add_nc_u32_e32 v25, 0x400, v11
	v_mov_b32_e32 v2, v3
	v_mov_b32_e32 v9, v3
	v_add_co_ci_u32_e64 v5, null, s31, v7, vcc_lo
	v_add_co_u32 v6, vcc_lo, v6, v10
	v_add_co_ci_u32_e64 v7, null, 0, v8, vcc_lo
	v_lshlrev_b64 v[4:5], 2, v[4:5]
	s_waitcnt lgkmcnt(0)
	s_add_u32 s26, s26, s2
	s_addc_u32 s27, s27, s3
	v_lshlrev_b64 v[6:7], 2, v[6:7]
	s_lshl_b64 s[2:3], s[0:1], 4
	s_lshl_b64 s[0:1], s[24:25], 2
	v_add_co_u32 v4, vcc_lo, s26, v4
	s_add_u32 s0, s20, s0
	s_addc_u32 s1, s21, s1
	v_add_co_ci_u32_e64 v5, null, s27, v5, vcc_lo
	v_add_co_u32 v6, vcc_lo, s0, v6
	v_add_co_ci_u32_e64 v7, null, s1, v7, vcc_lo
	v_mov_b32_e32 v8, v3
	v_mov_b32_e32 v10, v3
	;; [unrolled: 1-line block ×8, first 2 shown]
	s_lshl_b64 s[20:21], s[22:23], 4
	s_mov_b64 s[22:23], 0
.LBB183_2:                              ; =>This Inner Loop Header: Depth=1
	flat_load_dword v26, v[6:7]
	s_add_u32 s22, s22, 4
	s_addc_u32 s23, s23, 0
	v_add_co_u32 v6, vcc_lo, v6, s20
	v_cmp_lt_i64_e64 s0, s[22:23], s[28:29]
	v_add_co_ci_u32_e64 v7, null, s21, v7, vcc_lo
	s_and_b32 vcc_lo, exec_lo, s0
	s_waitcnt vmcnt(0) lgkmcnt(0)
	ds_write_b32 v24, v26
	flat_load_dword v26, v[4:5]
	v_add_co_u32 v4, s0, v4, s2
	v_add_co_ci_u32_e64 v5, null, s3, v5, s0
	s_waitcnt vmcnt(0) lgkmcnt(0)
	ds_write_b32 v25, v26
	s_waitcnt lgkmcnt(0)
	s_barrier
	buffer_gl0_inv
	ds_read_b128 v[26:29], v23
	ds_read2_b32 v[42:43], v22 offset1:16
	ds_read2_b32 v[44:45], v22 offset0:32 offset1:48
	ds_read_b128 v[30:33], v23 offset:256
	ds_read_b128 v[34:37], v23 offset:512
	;; [unrolled: 1-line block ×3, first 2 shown]
	ds_read2_b32 v[46:47], v22 offset0:64 offset1:80
	ds_read2_b32 v[48:49], v22 offset0:96 offset1:112
	ds_read2_b32 v[50:51], v22 offset0:128 offset1:144
	ds_read2_b32 v[52:53], v22 offset0:160 offset1:176
	ds_read2_b32 v[54:55], v22 offset0:192 offset1:208
	ds_read2_b32 v[56:57], v22 offset0:224 offset1:240
	s_waitcnt lgkmcnt(0)
	s_barrier
	buffer_gl0_inv
	v_fmac_f32_e32 v18, v42, v26
	v_fmac_f32_e32 v21, v43, v26
	;; [unrolled: 1-line block ×64, first 2 shown]
	s_cbranch_vccnz .LBB183_2
.LBB183_3:
	s_clause 0x1
	s_load_dword s0, s[4:5], 0x50
	s_load_dword s1, s[4:5], 0x18
	v_add_co_u32 v4, s4, s30, v1
	v_add_co_ci_u32_e64 v7, null, s31, 0, s4
	v_add_co_u32 v0, s4, s6, v0
	v_add_co_ci_u32_e64 v1, null, s7, 0, s4
	v_mul_lo_u32 v5, v7, s8
	v_mul_lo_u32 v6, v4, s9
	s_lshl_b64 s[2:3], s[10:11], 2
	v_lshlrev_b64 v[0:1], 2, v[0:1]
	s_waitcnt lgkmcnt(0)
	s_add_u32 s2, s18, s2
	s_addc_u32 s3, s19, s3
	v_cmp_neq_f32_e64 s4, s0, 0
	s_and_b32 vcc_lo, exec_lo, s4
	s_mov_b32 s4, 0
	s_cbranch_vccnz .LBB183_7
; %bb.4:
	v_mad_u64_u32 v[22:23], null, v4, s8, 0
	s_lshl_b64 s[6:7], s[8:9], 6
	v_mul_f32_e32 v26, s1, v18
	v_mul_f32_e32 v27, s1, v21
	;; [unrolled: 1-line block ×5, first 2 shown]
	v_add3_u32 v23, v23, v6, v5
	v_mul_f32_e32 v31, s1, v16
	v_mul_f32_e32 v32, s1, v15
	;; [unrolled: 1-line block ×3, first 2 shown]
	v_lshlrev_b64 v[22:23], 2, v[22:23]
	v_add_co_u32 v22, vcc_lo, s2, v22
	v_add_co_ci_u32_e64 v23, null, s3, v23, vcc_lo
	v_add_co_u32 v34, vcc_lo, v22, s6
	v_add_co_ci_u32_e64 v35, null, s7, v23, vcc_lo
	;; [unrolled: 2-line block ×4, first 2 shown]
	flat_store_dword v[22:23], v26
	flat_store_dword v[22:23], v27 offset:64
	flat_store_dword v[22:23], v28 offset:128
	;; [unrolled: 1-line block ×3, first 2 shown]
	flat_store_dword v[24:25], v30
	flat_store_dword v[24:25], v31 offset:64
	v_add_co_u32 v26, vcc_lo, v34, s6
	v_add_co_ci_u32_e64 v27, null, s7, v35, vcc_lo
	v_mul_f32_e32 v28, s1, v13
	v_add_co_u32 v22, vcc_lo, v26, v0
	v_add_co_ci_u32_e64 v23, null, v27, v1, vcc_lo
	v_mul_f32_e32 v29, s1, v12
	v_mul_f32_e32 v30, s1, v11
	flat_store_dword v[24:25], v32 offset:128
	flat_store_dword v[24:25], v33 offset:192
	flat_store_dword v[22:23], v28
	flat_store_dword v[22:23], v29 offset:64
	flat_store_dword v[22:23], v30 offset:128
	v_add_co_u32 v24, vcc_lo, v26, s6
	v_add_co_ci_u32_e64 v25, null, s7, v27, vcc_lo
	v_mul_f32_e32 v28, s1, v10
	v_add_co_u32 v24, vcc_lo, v24, v0
	v_mul_f32_e32 v26, s1, v9
	v_add_co_ci_u32_e64 v25, null, v25, v1, vcc_lo
	v_mul_f32_e32 v27, s1, v8
	v_mul_f32_e32 v29, s1, v2
	;; [unrolled: 1-line block ×3, first 2 shown]
	flat_store_dword v[22:23], v28 offset:192
	flat_store_dword v[24:25], v26
	flat_store_dword v[24:25], v27 offset:64
	flat_store_dword v[24:25], v29 offset:128
	flat_store_dword v[24:25], v30 offset:192
	s_andn2_b32 vcc_lo, exec_lo, s4
	s_cbranch_vccnz .LBB183_6
.LBB183_5:
	v_mul_lo_u32 v7, v7, s14
	v_mul_lo_u32 v24, v4, s15
	v_mad_u64_u32 v[22:23], null, v4, s14, 0
	s_lshl_b64 s[4:5], s[16:17], 2
	s_add_u32 s4, s12, s4
	s_addc_u32 s5, s13, s5
	v_add3_u32 v23, v23, v24, v7
	v_mad_u64_u32 v[24:25], null, v4, s8, 0
	v_lshlrev_b64 v[22:23], 2, v[22:23]
	v_add3_u32 v25, v25, v6, v5
	v_add_co_u32 v7, vcc_lo, s4, v22
	v_add_co_ci_u32_e64 v26, null, s5, v23, vcc_lo
	v_lshlrev_b64 v[4:5], 2, v[24:25]
	v_add_co_u32 v22, vcc_lo, v7, v0
	v_add_co_ci_u32_e64 v23, null, v26, v1, vcc_lo
	s_lshl_b64 s[4:5], s[8:9], 6
	v_add_co_u32 v24, vcc_lo, s2, v4
	flat_load_dword v27, v[22:23]
	v_add_co_ci_u32_e64 v25, null, s3, v5, vcc_lo
	v_add_co_u32 v4, vcc_lo, v24, v0
	s_lshl_b64 s[2:3], s[14:15], 6
	v_add_co_ci_u32_e64 v5, null, v25, v1, vcc_lo
	s_waitcnt vmcnt(0) lgkmcnt(0)
	v_mul_f32_e32 v6, s0, v27
	v_fmac_f32_e32 v6, s1, v18
	flat_store_dword v[4:5], v6
	flat_load_dword v6, v[22:23] offset:64
	s_waitcnt vmcnt(0) lgkmcnt(0)
	v_mul_f32_e32 v6, s0, v6
	v_fmac_f32_e32 v6, s1, v21
	flat_store_dword v[4:5], v6 offset:64
	flat_load_dword v6, v[22:23] offset:128
	s_waitcnt vmcnt(0) lgkmcnt(0)
	v_mul_f32_e32 v6, s0, v6
	v_fmac_f32_e32 v6, s1, v20
	v_add_co_u32 v20, vcc_lo, v7, s2
	v_add_co_ci_u32_e64 v21, null, s3, v26, vcc_lo
	flat_store_dword v[4:5], v6 offset:128
	flat_load_dword v6, v[22:23] offset:192
	s_waitcnt vmcnt(0) lgkmcnt(0)
	v_mul_f32_e32 v18, s0, v6
	v_add_co_u32 v6, vcc_lo, v20, v0
	v_add_co_ci_u32_e64 v7, null, v21, v1, vcc_lo
	v_fmac_f32_e32 v18, s1, v19
	flat_store_dword v[4:5], v18 offset:192
	flat_load_dword v4, v[6:7]
	v_add_co_u32 v18, vcc_lo, v24, s4
	v_add_co_ci_u32_e64 v19, null, s5, v25, vcc_lo
	s_waitcnt vmcnt(0) lgkmcnt(0)
	v_mul_f32_e32 v22, s0, v4
	v_add_co_u32 v4, vcc_lo, v18, v0
	v_add_co_ci_u32_e64 v5, null, v19, v1, vcc_lo
	v_fmac_f32_e32 v22, s1, v17
	flat_store_dword v[4:5], v22
	flat_load_dword v17, v[6:7] offset:64
	s_waitcnt vmcnt(0) lgkmcnt(0)
	v_mul_f32_e32 v17, s0, v17
	v_fmac_f32_e32 v17, s1, v16
	flat_store_dword v[4:5], v17 offset:64
	flat_load_dword v16, v[6:7] offset:128
	s_waitcnt vmcnt(0) lgkmcnt(0)
	v_mul_f32_e32 v16, s0, v16
	v_fmac_f32_e32 v16, s1, v15
	flat_store_dword v[4:5], v16 offset:128
	flat_load_dword v6, v[6:7] offset:192
	v_add_co_u32 v16, vcc_lo, v20, s2
	v_add_co_ci_u32_e64 v17, null, s3, v21, vcc_lo
	s_waitcnt vmcnt(0) lgkmcnt(0)
	v_mul_f32_e32 v15, s0, v6
	v_add_co_u32 v6, vcc_lo, v16, v0
	v_add_co_ci_u32_e64 v7, null, v17, v1, vcc_lo
	v_fmac_f32_e32 v15, s1, v14
	v_add_co_u32 v14, vcc_lo, v18, s4
	flat_store_dword v[4:5], v15 offset:192
	flat_load_dword v4, v[6:7]
	v_add_co_ci_u32_e64 v15, null, s5, v19, vcc_lo
	s_waitcnt vmcnt(0) lgkmcnt(0)
	v_mul_f32_e32 v18, s0, v4
	v_add_co_u32 v4, vcc_lo, v14, v0
	v_add_co_ci_u32_e64 v5, null, v15, v1, vcc_lo
	v_fmac_f32_e32 v18, s1, v13
	flat_store_dword v[4:5], v18
	flat_load_dword v13, v[6:7] offset:64
	s_waitcnt vmcnt(0) lgkmcnt(0)
	v_mul_f32_e32 v13, s0, v13
	v_fmac_f32_e32 v13, s1, v12
	flat_store_dword v[4:5], v13 offset:64
	flat_load_dword v12, v[6:7] offset:128
	s_waitcnt vmcnt(0) lgkmcnt(0)
	v_mul_f32_e32 v12, s0, v12
	v_fmac_f32_e32 v12, s1, v11
	flat_store_dword v[4:5], v12 offset:128
	flat_load_dword v6, v[6:7] offset:192
	s_waitcnt vmcnt(0) lgkmcnt(0)
	v_mul_f32_e32 v11, s0, v6
	v_add_co_u32 v6, vcc_lo, v16, s2
	v_add_co_ci_u32_e64 v7, null, s3, v17, vcc_lo
	v_fmac_f32_e32 v11, s1, v10
	v_add_co_u32 v6, vcc_lo, v6, v0
	v_add_co_ci_u32_e64 v7, null, v7, v1, vcc_lo
	flat_store_dword v[4:5], v11 offset:192
	v_add_co_u32 v5, vcc_lo, v14, s4
	flat_load_dword v4, v[6:7]
	v_add_co_ci_u32_e64 v10, null, s5, v15, vcc_lo
	v_add_co_u32 v0, vcc_lo, v5, v0
	v_add_co_ci_u32_e64 v1, null, v10, v1, vcc_lo
	s_waitcnt vmcnt(0) lgkmcnt(0)
	v_mul_f32_e32 v4, s0, v4
	v_fmac_f32_e32 v4, s1, v9
	flat_store_dword v[0:1], v4
	flat_load_dword v4, v[6:7] offset:64
	s_waitcnt vmcnt(0) lgkmcnt(0)
	v_mul_f32_e32 v4, s0, v4
	v_fmac_f32_e32 v4, s1, v8
	flat_store_dword v[0:1], v4 offset:64
	flat_load_dword v4, v[6:7] offset:128
	s_waitcnt vmcnt(0) lgkmcnt(0)
	v_mul_f32_e32 v4, s0, v4
	v_fmac_f32_e32 v4, s1, v2
	flat_store_dword v[0:1], v4 offset:128
	flat_load_dword v2, v[6:7] offset:192
	s_waitcnt vmcnt(0) lgkmcnt(0)
	v_mul_f32_e32 v2, s0, v2
	v_fmac_f32_e32 v2, s1, v3
	flat_store_dword v[0:1], v2 offset:192
.LBB183_6:
	s_endpgm
.LBB183_7:
	s_branch .LBB183_5
	.section	.rodata,"a",@progbits
	.p2align	6, 0x0
	.amdhsa_kernel _ZN12_GLOBAL__N_127rocblas_gemm_batched_kernelIfLi16ELi16ELi64ELi64ELi4ELi64ELi4ELi4ELi64ELc78ELc67EKPKfS3_KPfEEvlllT_PT11_llS8_llS6_PT12_llPT13_lli
		.amdhsa_group_segment_fixed_size 2048
		.amdhsa_private_segment_fixed_size 0
		.amdhsa_kernarg_size 140
		.amdhsa_user_sgpr_count 6
		.amdhsa_user_sgpr_private_segment_buffer 1
		.amdhsa_user_sgpr_dispatch_ptr 0
		.amdhsa_user_sgpr_queue_ptr 0
		.amdhsa_user_sgpr_kernarg_segment_ptr 1
		.amdhsa_user_sgpr_dispatch_id 0
		.amdhsa_user_sgpr_flat_scratch_init 0
		.amdhsa_user_sgpr_private_segment_size 0
		.amdhsa_wavefront_size32 1
		.amdhsa_uses_dynamic_stack 0
		.amdhsa_system_sgpr_private_segment_wavefront_offset 0
		.amdhsa_system_sgpr_workgroup_id_x 1
		.amdhsa_system_sgpr_workgroup_id_y 1
		.amdhsa_system_sgpr_workgroup_id_z 1
		.amdhsa_system_sgpr_workgroup_info 0
		.amdhsa_system_vgpr_workitem_id 1
		.amdhsa_next_free_vgpr 58
		.amdhsa_next_free_sgpr 36
		.amdhsa_reserve_vcc 1
		.amdhsa_reserve_flat_scratch 0
		.amdhsa_float_round_mode_32 0
		.amdhsa_float_round_mode_16_64 0
		.amdhsa_float_denorm_mode_32 3
		.amdhsa_float_denorm_mode_16_64 3
		.amdhsa_dx10_clamp 1
		.amdhsa_ieee_mode 1
		.amdhsa_fp16_overflow 0
		.amdhsa_workgroup_processor_mode 1
		.amdhsa_memory_ordered 1
		.amdhsa_forward_progress 1
		.amdhsa_shared_vgpr_count 0
		.amdhsa_exception_fp_ieee_invalid_op 0
		.amdhsa_exception_fp_denorm_src 0
		.amdhsa_exception_fp_ieee_div_zero 0
		.amdhsa_exception_fp_ieee_overflow 0
		.amdhsa_exception_fp_ieee_underflow 0
		.amdhsa_exception_fp_ieee_inexact 0
		.amdhsa_exception_int_div_zero 0
	.end_amdhsa_kernel
	.section	.text._ZN12_GLOBAL__N_127rocblas_gemm_batched_kernelIfLi16ELi16ELi64ELi64ELi4ELi64ELi4ELi4ELi64ELc78ELc67EKPKfS3_KPfEEvlllT_PT11_llS8_llS6_PT12_llPT13_lli,"axG",@progbits,_ZN12_GLOBAL__N_127rocblas_gemm_batched_kernelIfLi16ELi16ELi64ELi64ELi4ELi64ELi4ELi4ELi64ELc78ELc67EKPKfS3_KPfEEvlllT_PT11_llS8_llS6_PT12_llPT13_lli,comdat
.Lfunc_end183:
	.size	_ZN12_GLOBAL__N_127rocblas_gemm_batched_kernelIfLi16ELi16ELi64ELi64ELi4ELi64ELi4ELi4ELi64ELc78ELc67EKPKfS3_KPfEEvlllT_PT11_llS8_llS6_PT12_llPT13_lli, .Lfunc_end183-_ZN12_GLOBAL__N_127rocblas_gemm_batched_kernelIfLi16ELi16ELi64ELi64ELi4ELi64ELi4ELi4ELi64ELc78ELc67EKPKfS3_KPfEEvlllT_PT11_llS8_llS6_PT12_llPT13_lli
                                        ; -- End function
	.set _ZN12_GLOBAL__N_127rocblas_gemm_batched_kernelIfLi16ELi16ELi64ELi64ELi4ELi64ELi4ELi4ELi64ELc78ELc67EKPKfS3_KPfEEvlllT_PT11_llS8_llS6_PT12_llPT13_lli.num_vgpr, 58
	.set _ZN12_GLOBAL__N_127rocblas_gemm_batched_kernelIfLi16ELi16ELi64ELi64ELi4ELi64ELi4ELi4ELi64ELc78ELc67EKPKfS3_KPfEEvlllT_PT11_llS8_llS6_PT12_llPT13_lli.num_agpr, 0
	.set _ZN12_GLOBAL__N_127rocblas_gemm_batched_kernelIfLi16ELi16ELi64ELi64ELi4ELi64ELi4ELi4ELi64ELc78ELc67EKPKfS3_KPfEEvlllT_PT11_llS8_llS6_PT12_llPT13_lli.numbered_sgpr, 36
	.set _ZN12_GLOBAL__N_127rocblas_gemm_batched_kernelIfLi16ELi16ELi64ELi64ELi4ELi64ELi4ELi4ELi64ELc78ELc67EKPKfS3_KPfEEvlllT_PT11_llS8_llS6_PT12_llPT13_lli.num_named_barrier, 0
	.set _ZN12_GLOBAL__N_127rocblas_gemm_batched_kernelIfLi16ELi16ELi64ELi64ELi4ELi64ELi4ELi4ELi64ELc78ELc67EKPKfS3_KPfEEvlllT_PT11_llS8_llS6_PT12_llPT13_lli.private_seg_size, 0
	.set _ZN12_GLOBAL__N_127rocblas_gemm_batched_kernelIfLi16ELi16ELi64ELi64ELi4ELi64ELi4ELi4ELi64ELc78ELc67EKPKfS3_KPfEEvlllT_PT11_llS8_llS6_PT12_llPT13_lli.uses_vcc, 1
	.set _ZN12_GLOBAL__N_127rocblas_gemm_batched_kernelIfLi16ELi16ELi64ELi64ELi4ELi64ELi4ELi4ELi64ELc78ELc67EKPKfS3_KPfEEvlllT_PT11_llS8_llS6_PT12_llPT13_lli.uses_flat_scratch, 0
	.set _ZN12_GLOBAL__N_127rocblas_gemm_batched_kernelIfLi16ELi16ELi64ELi64ELi4ELi64ELi4ELi4ELi64ELc78ELc67EKPKfS3_KPfEEvlllT_PT11_llS8_llS6_PT12_llPT13_lli.has_dyn_sized_stack, 0
	.set _ZN12_GLOBAL__N_127rocblas_gemm_batched_kernelIfLi16ELi16ELi64ELi64ELi4ELi64ELi4ELi4ELi64ELc78ELc67EKPKfS3_KPfEEvlllT_PT11_llS8_llS6_PT12_llPT13_lli.has_recursion, 0
	.set _ZN12_GLOBAL__N_127rocblas_gemm_batched_kernelIfLi16ELi16ELi64ELi64ELi4ELi64ELi4ELi4ELi64ELc78ELc67EKPKfS3_KPfEEvlllT_PT11_llS8_llS6_PT12_llPT13_lli.has_indirect_call, 0
	.section	.AMDGPU.csdata,"",@progbits
; Kernel info:
; codeLenInByte = 2264
; TotalNumSgprs: 38
; NumVgprs: 58
; ScratchSize: 0
; MemoryBound: 0
; FloatMode: 240
; IeeeMode: 1
; LDSByteSize: 2048 bytes/workgroup (compile time only)
; SGPRBlocks: 0
; VGPRBlocks: 7
; NumSGPRsForWavesPerEU: 38
; NumVGPRsForWavesPerEU: 58
; Occupancy: 16
; WaveLimiterHint : 1
; COMPUTE_PGM_RSRC2:SCRATCH_EN: 0
; COMPUTE_PGM_RSRC2:USER_SGPR: 6
; COMPUTE_PGM_RSRC2:TRAP_HANDLER: 0
; COMPUTE_PGM_RSRC2:TGID_X_EN: 1
; COMPUTE_PGM_RSRC2:TGID_Y_EN: 1
; COMPUTE_PGM_RSRC2:TGID_Z_EN: 1
; COMPUTE_PGM_RSRC2:TIDIG_COMP_CNT: 1
	.section	.text._ZN12_GLOBAL__N_127rocblas_gemm_batched_kernelIfLi16ELi16ELi64ELi64ELi4ELi64ELi4ELi4ELi64ELc84ELc67EKPKfS3_KPfEEvlllT_PT11_llS8_llS6_PT12_llPT13_lli,"axG",@progbits,_ZN12_GLOBAL__N_127rocblas_gemm_batched_kernelIfLi16ELi16ELi64ELi64ELi4ELi64ELi4ELi4ELi64ELc84ELc67EKPKfS3_KPfEEvlllT_PT11_llS8_llS6_PT12_llPT13_lli,comdat
	.globl	_ZN12_GLOBAL__N_127rocblas_gemm_batched_kernelIfLi16ELi16ELi64ELi64ELi4ELi64ELi4ELi4ELi64ELc84ELc67EKPKfS3_KPfEEvlllT_PT11_llS8_llS6_PT12_llPT13_lli ; -- Begin function _ZN12_GLOBAL__N_127rocblas_gemm_batched_kernelIfLi16ELi16ELi64ELi64ELi4ELi64ELi4ELi4ELi64ELc84ELc67EKPKfS3_KPfEEvlllT_PT11_llS8_llS6_PT12_llPT13_lli
	.p2align	8
	.type	_ZN12_GLOBAL__N_127rocblas_gemm_batched_kernelIfLi16ELi16ELi64ELi64ELi4ELi64ELi4ELi4ELi64ELc84ELc67EKPKfS3_KPfEEvlllT_PT11_llS8_llS6_PT12_llPT13_lli,@function
_ZN12_GLOBAL__N_127rocblas_gemm_batched_kernelIfLi16ELi16ELi64ELi64ELi4ELi64ELi4ELi4ELi64ELc84ELc67EKPKfS3_KPfEEvlllT_PT11_llS8_llS6_PT12_llPT13_lli: ; @_ZN12_GLOBAL__N_127rocblas_gemm_batched_kernelIfLi16ELi16ELi64ELi64ELi4ELi64ELi4ELi4ELi64ELc84ELc67EKPKfS3_KPfEEvlllT_PT11_llS8_llS6_PT12_llPT13_lli
; %bb.0:
	s_clause 0x1
	s_load_dwordx8 s[12:19], s[4:5], 0x58
	s_load_dwordx2 s[28:29], s[4:5], 0x10
	s_mov_b32 s9, 0
	s_mov_b32 s0, s7
	s_lshl_b64 s[34:35], s[8:9], 3
	s_load_dwordx4 s[8:11], s[4:5], 0x78
	v_mov_b32_e32 v18, 0
	v_mov_b32_e32 v21, 0
	;; [unrolled: 1-line block ×14, first 2 shown]
	s_waitcnt lgkmcnt(0)
	s_add_u32 s2, s12, s34
	s_addc_u32 s3, s13, s35
	s_add_u32 s18, s18, s34
	s_addc_u32 s19, s19, s35
	s_load_dwordx2 s[12:13], s[2:3], 0x0
	s_load_dwordx2 s[18:19], s[18:19], 0x0
	v_cmp_lt_i64_e64 s20, s[28:29], 1
	v_mov_b32_e32 v2, 0
	v_mov_b32_e32 v3, 0
	s_ashr_i32 s7, s6, 31
	s_ashr_i32 s1, s0, 31
	s_lshl_b64 s[6:7], s[6:7], 6
	s_and_b32 vcc_lo, exec_lo, s20
	s_lshl_b64 s[30:31], s[0:1], 6
	s_cbranch_vccnz .LBB184_3
; %bb.1:
	s_clause 0x1
	s_load_dwordx8 s[20:27], s[4:5], 0x20
	s_load_dwordx4 s[0:3], s[4:5], 0x40
	v_lshlrev_b32_e32 v8, 4, v1
	v_and_b32_e32 v10, 3, v0
	v_mov_b32_e32 v3, 0
	v_lshlrev_b32_e32 v22, 2, v0
	v_add_nc_u32_e32 v9, v8, v0
	v_lshlrev_b32_e32 v12, 2, v10
	v_add_nc_u32_e32 v23, 0x400, v8
	v_mov_b32_e32 v16, v3
	v_mov_b32_e32 v17, v3
	v_and_b32_e32 v11, 63, v9
	v_lshrrev_b32_e32 v2, 2, v9
	v_lshrrev_b32_e32 v9, 6, v9
	v_mov_b32_e32 v19, v3
	v_mov_b32_e32 v20, v3
	v_add_co_u32 v6, s33, s6, v11
	v_add_co_ci_u32_e64 v7, null, s7, 0, s33
	s_waitcnt lgkmcnt(0)
	s_add_u32 s20, s20, s34
	s_addc_u32 s21, s21, s35
	s_add_u32 s26, s26, s34
	s_addc_u32 s27, s27, s35
	v_mad_u64_u32 v[4:5], null, s0, v10, v[2:3]
	s_load_dwordx2 s[26:27], s[26:27], 0x0
	v_mul_lo_u32 v13, s23, v6
	v_mul_lo_u32 v14, s22, v7
	v_mad_u64_u32 v[6:7], null, s22, v6, 0
	v_lshlrev_b32_e32 v11, 2, v11
	v_lshl_or_b32 v12, v2, 4, v12
	v_mov_b32_e32 v2, v5
	v_lshlrev_b32_e32 v15, 2, v9
	s_load_dwordx2 s[20:21], s[20:21], 0x0
	v_lshl_or_b32 v24, v9, 8, v11
	v_add3_u32 v7, v7, v14, v13
	v_mad_u64_u32 v[8:9], null, s1, v10, v[2:3]
	s_lshl_b64 s[2:3], s[2:3], 2
	v_add_nc_u32_e32 v25, 0x400, v12
	v_lshlrev_b64 v[5:6], 2, v[6:7]
	v_add_co_u32 v7, vcc_lo, v4, s30
	v_mov_b32_e32 v9, v3
	v_add_co_ci_u32_e64 v8, null, s31, v8, vcc_lo
	s_waitcnt lgkmcnt(0)
	s_add_u32 s22, s26, s2
	s_addc_u32 s23, s27, s3
	s_lshl_b64 s[2:3], s[24:25], 2
	v_mov_b32_e32 v10, v3
	v_add_co_u32 v2, vcc_lo, v5, s2
	v_add_co_ci_u32_e64 v6, null, s3, v6, vcc_lo
	v_lshlrev_b64 v[4:5], 2, v[7:8]
	v_add_co_u32 v2, vcc_lo, v2, v15
	v_add_co_ci_u32_e64 v7, null, 0, v6, vcc_lo
	v_mov_b32_e32 v8, v3
	v_add_co_u32 v4, vcc_lo, s22, v4
	v_add_co_ci_u32_e64 v5, null, s23, v5, vcc_lo
	v_add_co_u32 v6, vcc_lo, s20, v2
	v_add_co_ci_u32_e64 v7, null, s21, v7, vcc_lo
	v_mov_b32_e32 v2, v3
	v_mov_b32_e32 v11, v3
	;; [unrolled: 1-line block ×8, first 2 shown]
	s_lshl_b64 s[2:3], s[0:1], 4
	s_mov_b64 s[20:21], 0
.LBB184_2:                              ; =>This Inner Loop Header: Depth=1
	flat_load_dword v26, v[6:7]
	s_add_u32 s20, s20, 4
	s_addc_u32 s21, s21, 0
	v_add_co_u32 v6, vcc_lo, v6, 16
	v_cmp_lt_i64_e64 s0, s[20:21], s[28:29]
	v_add_co_ci_u32_e64 v7, null, 0, v7, vcc_lo
	s_and_b32 vcc_lo, exec_lo, s0
	s_waitcnt vmcnt(0) lgkmcnt(0)
	ds_write_b32 v24, v26
	flat_load_dword v26, v[4:5]
	v_add_co_u32 v4, s0, v4, s2
	v_add_co_ci_u32_e64 v5, null, s3, v5, s0
	s_waitcnt vmcnt(0) lgkmcnt(0)
	ds_write_b32 v25, v26
	s_waitcnt lgkmcnt(0)
	s_barrier
	buffer_gl0_inv
	ds_read_b128 v[26:29], v23
	ds_read2_b32 v[42:43], v22 offset1:16
	ds_read2_b32 v[44:45], v22 offset0:32 offset1:48
	ds_read_b128 v[30:33], v23 offset:256
	ds_read_b128 v[34:37], v23 offset:512
	;; [unrolled: 1-line block ×3, first 2 shown]
	ds_read2_b32 v[46:47], v22 offset0:64 offset1:80
	ds_read2_b32 v[48:49], v22 offset0:96 offset1:112
	;; [unrolled: 1-line block ×6, first 2 shown]
	s_waitcnt lgkmcnt(0)
	s_barrier
	buffer_gl0_inv
	v_fmac_f32_e32 v18, v42, v26
	v_fmac_f32_e32 v21, v43, v26
	;; [unrolled: 1-line block ×64, first 2 shown]
	s_cbranch_vccnz .LBB184_2
.LBB184_3:
	s_clause 0x1
	s_load_dword s0, s[4:5], 0x50
	s_load_dword s1, s[4:5], 0x18
	v_add_co_u32 v4, s4, s30, v1
	v_add_co_ci_u32_e64 v7, null, s31, 0, s4
	v_add_co_u32 v0, s4, s6, v0
	v_add_co_ci_u32_e64 v1, null, s7, 0, s4
	v_mul_lo_u32 v5, v7, s8
	v_mul_lo_u32 v6, v4, s9
	s_lshl_b64 s[2:3], s[10:11], 2
	v_lshlrev_b64 v[0:1], 2, v[0:1]
	s_waitcnt lgkmcnt(0)
	s_add_u32 s2, s18, s2
	s_addc_u32 s3, s19, s3
	v_cmp_neq_f32_e64 s4, s0, 0
	s_and_b32 vcc_lo, exec_lo, s4
	s_mov_b32 s4, 0
	s_cbranch_vccnz .LBB184_7
; %bb.4:
	v_mad_u64_u32 v[22:23], null, v4, s8, 0
	s_lshl_b64 s[6:7], s[8:9], 6
	v_mul_f32_e32 v26, s1, v18
	v_mul_f32_e32 v27, s1, v21
	;; [unrolled: 1-line block ×5, first 2 shown]
	v_add3_u32 v23, v23, v6, v5
	v_mul_f32_e32 v31, s1, v16
	v_mul_f32_e32 v32, s1, v15
	;; [unrolled: 1-line block ×3, first 2 shown]
	v_lshlrev_b64 v[22:23], 2, v[22:23]
	v_add_co_u32 v22, vcc_lo, s2, v22
	v_add_co_ci_u32_e64 v23, null, s3, v23, vcc_lo
	v_add_co_u32 v34, vcc_lo, v22, s6
	v_add_co_ci_u32_e64 v35, null, s7, v23, vcc_lo
	;; [unrolled: 2-line block ×4, first 2 shown]
	flat_store_dword v[22:23], v26
	flat_store_dword v[22:23], v27 offset:64
	flat_store_dword v[22:23], v28 offset:128
	;; [unrolled: 1-line block ×3, first 2 shown]
	flat_store_dword v[24:25], v30
	flat_store_dword v[24:25], v31 offset:64
	v_add_co_u32 v26, vcc_lo, v34, s6
	v_add_co_ci_u32_e64 v27, null, s7, v35, vcc_lo
	v_mul_f32_e32 v28, s1, v13
	v_add_co_u32 v22, vcc_lo, v26, v0
	v_add_co_ci_u32_e64 v23, null, v27, v1, vcc_lo
	v_mul_f32_e32 v29, s1, v12
	v_mul_f32_e32 v30, s1, v11
	flat_store_dword v[24:25], v32 offset:128
	flat_store_dword v[24:25], v33 offset:192
	flat_store_dword v[22:23], v28
	flat_store_dword v[22:23], v29 offset:64
	flat_store_dword v[22:23], v30 offset:128
	v_add_co_u32 v24, vcc_lo, v26, s6
	v_add_co_ci_u32_e64 v25, null, s7, v27, vcc_lo
	v_mul_f32_e32 v28, s1, v10
	v_add_co_u32 v24, vcc_lo, v24, v0
	v_mul_f32_e32 v26, s1, v9
	v_add_co_ci_u32_e64 v25, null, v25, v1, vcc_lo
	v_mul_f32_e32 v27, s1, v8
	v_mul_f32_e32 v29, s1, v2
	;; [unrolled: 1-line block ×3, first 2 shown]
	flat_store_dword v[22:23], v28 offset:192
	flat_store_dword v[24:25], v26
	flat_store_dword v[24:25], v27 offset:64
	flat_store_dword v[24:25], v29 offset:128
	;; [unrolled: 1-line block ×3, first 2 shown]
	s_andn2_b32 vcc_lo, exec_lo, s4
	s_cbranch_vccnz .LBB184_6
.LBB184_5:
	v_mul_lo_u32 v7, v7, s14
	v_mul_lo_u32 v24, v4, s15
	v_mad_u64_u32 v[22:23], null, v4, s14, 0
	s_lshl_b64 s[4:5], s[16:17], 2
	s_add_u32 s4, s12, s4
	s_addc_u32 s5, s13, s5
	v_add3_u32 v23, v23, v24, v7
	v_mad_u64_u32 v[24:25], null, v4, s8, 0
	v_lshlrev_b64 v[22:23], 2, v[22:23]
	v_add3_u32 v25, v25, v6, v5
	v_add_co_u32 v7, vcc_lo, s4, v22
	v_add_co_ci_u32_e64 v26, null, s5, v23, vcc_lo
	v_lshlrev_b64 v[4:5], 2, v[24:25]
	v_add_co_u32 v22, vcc_lo, v7, v0
	v_add_co_ci_u32_e64 v23, null, v26, v1, vcc_lo
	s_lshl_b64 s[4:5], s[8:9], 6
	v_add_co_u32 v24, vcc_lo, s2, v4
	flat_load_dword v27, v[22:23]
	v_add_co_ci_u32_e64 v25, null, s3, v5, vcc_lo
	v_add_co_u32 v4, vcc_lo, v24, v0
	s_lshl_b64 s[2:3], s[14:15], 6
	v_add_co_ci_u32_e64 v5, null, v25, v1, vcc_lo
	s_waitcnt vmcnt(0) lgkmcnt(0)
	v_mul_f32_e32 v6, s0, v27
	v_fmac_f32_e32 v6, s1, v18
	flat_store_dword v[4:5], v6
	flat_load_dword v6, v[22:23] offset:64
	s_waitcnt vmcnt(0) lgkmcnt(0)
	v_mul_f32_e32 v6, s0, v6
	v_fmac_f32_e32 v6, s1, v21
	flat_store_dword v[4:5], v6 offset:64
	flat_load_dword v6, v[22:23] offset:128
	s_waitcnt vmcnt(0) lgkmcnt(0)
	v_mul_f32_e32 v6, s0, v6
	v_fmac_f32_e32 v6, s1, v20
	v_add_co_u32 v20, vcc_lo, v7, s2
	v_add_co_ci_u32_e64 v21, null, s3, v26, vcc_lo
	flat_store_dword v[4:5], v6 offset:128
	flat_load_dword v6, v[22:23] offset:192
	s_waitcnt vmcnt(0) lgkmcnt(0)
	v_mul_f32_e32 v18, s0, v6
	v_add_co_u32 v6, vcc_lo, v20, v0
	v_add_co_ci_u32_e64 v7, null, v21, v1, vcc_lo
	v_fmac_f32_e32 v18, s1, v19
	flat_store_dword v[4:5], v18 offset:192
	flat_load_dword v4, v[6:7]
	v_add_co_u32 v18, vcc_lo, v24, s4
	v_add_co_ci_u32_e64 v19, null, s5, v25, vcc_lo
	s_waitcnt vmcnt(0) lgkmcnt(0)
	v_mul_f32_e32 v22, s0, v4
	v_add_co_u32 v4, vcc_lo, v18, v0
	v_add_co_ci_u32_e64 v5, null, v19, v1, vcc_lo
	v_fmac_f32_e32 v22, s1, v17
	flat_store_dword v[4:5], v22
	flat_load_dword v17, v[6:7] offset:64
	s_waitcnt vmcnt(0) lgkmcnt(0)
	v_mul_f32_e32 v17, s0, v17
	v_fmac_f32_e32 v17, s1, v16
	flat_store_dword v[4:5], v17 offset:64
	flat_load_dword v16, v[6:7] offset:128
	s_waitcnt vmcnt(0) lgkmcnt(0)
	v_mul_f32_e32 v16, s0, v16
	v_fmac_f32_e32 v16, s1, v15
	flat_store_dword v[4:5], v16 offset:128
	flat_load_dword v6, v[6:7] offset:192
	v_add_co_u32 v16, vcc_lo, v20, s2
	v_add_co_ci_u32_e64 v17, null, s3, v21, vcc_lo
	s_waitcnt vmcnt(0) lgkmcnt(0)
	v_mul_f32_e32 v15, s0, v6
	v_add_co_u32 v6, vcc_lo, v16, v0
	v_add_co_ci_u32_e64 v7, null, v17, v1, vcc_lo
	v_fmac_f32_e32 v15, s1, v14
	v_add_co_u32 v14, vcc_lo, v18, s4
	flat_store_dword v[4:5], v15 offset:192
	flat_load_dword v4, v[6:7]
	v_add_co_ci_u32_e64 v15, null, s5, v19, vcc_lo
	s_waitcnt vmcnt(0) lgkmcnt(0)
	v_mul_f32_e32 v18, s0, v4
	v_add_co_u32 v4, vcc_lo, v14, v0
	v_add_co_ci_u32_e64 v5, null, v15, v1, vcc_lo
	v_fmac_f32_e32 v18, s1, v13
	flat_store_dword v[4:5], v18
	flat_load_dword v13, v[6:7] offset:64
	s_waitcnt vmcnt(0) lgkmcnt(0)
	v_mul_f32_e32 v13, s0, v13
	v_fmac_f32_e32 v13, s1, v12
	flat_store_dword v[4:5], v13 offset:64
	flat_load_dword v12, v[6:7] offset:128
	s_waitcnt vmcnt(0) lgkmcnt(0)
	v_mul_f32_e32 v12, s0, v12
	v_fmac_f32_e32 v12, s1, v11
	flat_store_dword v[4:5], v12 offset:128
	flat_load_dword v6, v[6:7] offset:192
	s_waitcnt vmcnt(0) lgkmcnt(0)
	v_mul_f32_e32 v11, s0, v6
	v_add_co_u32 v6, vcc_lo, v16, s2
	v_add_co_ci_u32_e64 v7, null, s3, v17, vcc_lo
	v_fmac_f32_e32 v11, s1, v10
	v_add_co_u32 v6, vcc_lo, v6, v0
	v_add_co_ci_u32_e64 v7, null, v7, v1, vcc_lo
	flat_store_dword v[4:5], v11 offset:192
	v_add_co_u32 v5, vcc_lo, v14, s4
	flat_load_dword v4, v[6:7]
	v_add_co_ci_u32_e64 v10, null, s5, v15, vcc_lo
	v_add_co_u32 v0, vcc_lo, v5, v0
	v_add_co_ci_u32_e64 v1, null, v10, v1, vcc_lo
	s_waitcnt vmcnt(0) lgkmcnt(0)
	v_mul_f32_e32 v4, s0, v4
	v_fmac_f32_e32 v4, s1, v9
	flat_store_dword v[0:1], v4
	flat_load_dword v4, v[6:7] offset:64
	s_waitcnt vmcnt(0) lgkmcnt(0)
	v_mul_f32_e32 v4, s0, v4
	v_fmac_f32_e32 v4, s1, v8
	flat_store_dword v[0:1], v4 offset:64
	flat_load_dword v4, v[6:7] offset:128
	s_waitcnt vmcnt(0) lgkmcnt(0)
	v_mul_f32_e32 v4, s0, v4
	v_fmac_f32_e32 v4, s1, v2
	flat_store_dword v[0:1], v4 offset:128
	;; [unrolled: 5-line block ×3, first 2 shown]
.LBB184_6:
	s_endpgm
.LBB184_7:
	s_branch .LBB184_5
	.section	.rodata,"a",@progbits
	.p2align	6, 0x0
	.amdhsa_kernel _ZN12_GLOBAL__N_127rocblas_gemm_batched_kernelIfLi16ELi16ELi64ELi64ELi4ELi64ELi4ELi4ELi64ELc84ELc67EKPKfS3_KPfEEvlllT_PT11_llS8_llS6_PT12_llPT13_lli
		.amdhsa_group_segment_fixed_size 2048
		.amdhsa_private_segment_fixed_size 0
		.amdhsa_kernarg_size 140
		.amdhsa_user_sgpr_count 6
		.amdhsa_user_sgpr_private_segment_buffer 1
		.amdhsa_user_sgpr_dispatch_ptr 0
		.amdhsa_user_sgpr_queue_ptr 0
		.amdhsa_user_sgpr_kernarg_segment_ptr 1
		.amdhsa_user_sgpr_dispatch_id 0
		.amdhsa_user_sgpr_flat_scratch_init 0
		.amdhsa_user_sgpr_private_segment_size 0
		.amdhsa_wavefront_size32 1
		.amdhsa_uses_dynamic_stack 0
		.amdhsa_system_sgpr_private_segment_wavefront_offset 0
		.amdhsa_system_sgpr_workgroup_id_x 1
		.amdhsa_system_sgpr_workgroup_id_y 1
		.amdhsa_system_sgpr_workgroup_id_z 1
		.amdhsa_system_sgpr_workgroup_info 0
		.amdhsa_system_vgpr_workitem_id 1
		.amdhsa_next_free_vgpr 58
		.amdhsa_next_free_sgpr 36
		.amdhsa_reserve_vcc 1
		.amdhsa_reserve_flat_scratch 0
		.amdhsa_float_round_mode_32 0
		.amdhsa_float_round_mode_16_64 0
		.amdhsa_float_denorm_mode_32 3
		.amdhsa_float_denorm_mode_16_64 3
		.amdhsa_dx10_clamp 1
		.amdhsa_ieee_mode 1
		.amdhsa_fp16_overflow 0
		.amdhsa_workgroup_processor_mode 1
		.amdhsa_memory_ordered 1
		.amdhsa_forward_progress 1
		.amdhsa_shared_vgpr_count 0
		.amdhsa_exception_fp_ieee_invalid_op 0
		.amdhsa_exception_fp_denorm_src 0
		.amdhsa_exception_fp_ieee_div_zero 0
		.amdhsa_exception_fp_ieee_overflow 0
		.amdhsa_exception_fp_ieee_underflow 0
		.amdhsa_exception_fp_ieee_inexact 0
		.amdhsa_exception_int_div_zero 0
	.end_amdhsa_kernel
	.section	.text._ZN12_GLOBAL__N_127rocblas_gemm_batched_kernelIfLi16ELi16ELi64ELi64ELi4ELi64ELi4ELi4ELi64ELc84ELc67EKPKfS3_KPfEEvlllT_PT11_llS8_llS6_PT12_llPT13_lli,"axG",@progbits,_ZN12_GLOBAL__N_127rocblas_gemm_batched_kernelIfLi16ELi16ELi64ELi64ELi4ELi64ELi4ELi4ELi64ELc84ELc67EKPKfS3_KPfEEvlllT_PT11_llS8_llS6_PT12_llPT13_lli,comdat
.Lfunc_end184:
	.size	_ZN12_GLOBAL__N_127rocblas_gemm_batched_kernelIfLi16ELi16ELi64ELi64ELi4ELi64ELi4ELi4ELi64ELc84ELc67EKPKfS3_KPfEEvlllT_PT11_llS8_llS6_PT12_llPT13_lli, .Lfunc_end184-_ZN12_GLOBAL__N_127rocblas_gemm_batched_kernelIfLi16ELi16ELi64ELi64ELi4ELi64ELi4ELi4ELi64ELc84ELc67EKPKfS3_KPfEEvlllT_PT11_llS8_llS6_PT12_llPT13_lli
                                        ; -- End function
	.set _ZN12_GLOBAL__N_127rocblas_gemm_batched_kernelIfLi16ELi16ELi64ELi64ELi4ELi64ELi4ELi4ELi64ELc84ELc67EKPKfS3_KPfEEvlllT_PT11_llS8_llS6_PT12_llPT13_lli.num_vgpr, 58
	.set _ZN12_GLOBAL__N_127rocblas_gemm_batched_kernelIfLi16ELi16ELi64ELi64ELi4ELi64ELi4ELi4ELi64ELc84ELc67EKPKfS3_KPfEEvlllT_PT11_llS8_llS6_PT12_llPT13_lli.num_agpr, 0
	.set _ZN12_GLOBAL__N_127rocblas_gemm_batched_kernelIfLi16ELi16ELi64ELi64ELi4ELi64ELi4ELi4ELi64ELc84ELc67EKPKfS3_KPfEEvlllT_PT11_llS8_llS6_PT12_llPT13_lli.numbered_sgpr, 36
	.set _ZN12_GLOBAL__N_127rocblas_gemm_batched_kernelIfLi16ELi16ELi64ELi64ELi4ELi64ELi4ELi4ELi64ELc84ELc67EKPKfS3_KPfEEvlllT_PT11_llS8_llS6_PT12_llPT13_lli.num_named_barrier, 0
	.set _ZN12_GLOBAL__N_127rocblas_gemm_batched_kernelIfLi16ELi16ELi64ELi64ELi4ELi64ELi4ELi4ELi64ELc84ELc67EKPKfS3_KPfEEvlllT_PT11_llS8_llS6_PT12_llPT13_lli.private_seg_size, 0
	.set _ZN12_GLOBAL__N_127rocblas_gemm_batched_kernelIfLi16ELi16ELi64ELi64ELi4ELi64ELi4ELi4ELi64ELc84ELc67EKPKfS3_KPfEEvlllT_PT11_llS8_llS6_PT12_llPT13_lli.uses_vcc, 1
	.set _ZN12_GLOBAL__N_127rocblas_gemm_batched_kernelIfLi16ELi16ELi64ELi64ELi4ELi64ELi4ELi4ELi64ELc84ELc67EKPKfS3_KPfEEvlllT_PT11_llS8_llS6_PT12_llPT13_lli.uses_flat_scratch, 0
	.set _ZN12_GLOBAL__N_127rocblas_gemm_batched_kernelIfLi16ELi16ELi64ELi64ELi4ELi64ELi4ELi4ELi64ELc84ELc67EKPKfS3_KPfEEvlllT_PT11_llS8_llS6_PT12_llPT13_lli.has_dyn_sized_stack, 0
	.set _ZN12_GLOBAL__N_127rocblas_gemm_batched_kernelIfLi16ELi16ELi64ELi64ELi4ELi64ELi4ELi4ELi64ELc84ELc67EKPKfS3_KPfEEvlllT_PT11_llS8_llS6_PT12_llPT13_lli.has_recursion, 0
	.set _ZN12_GLOBAL__N_127rocblas_gemm_batched_kernelIfLi16ELi16ELi64ELi64ELi4ELi64ELi4ELi4ELi64ELc84ELc67EKPKfS3_KPfEEvlllT_PT11_llS8_llS6_PT12_llPT13_lli.has_indirect_call, 0
	.section	.AMDGPU.csdata,"",@progbits
; Kernel info:
; codeLenInByte = 2300
; TotalNumSgprs: 38
; NumVgprs: 58
; ScratchSize: 0
; MemoryBound: 0
; FloatMode: 240
; IeeeMode: 1
; LDSByteSize: 2048 bytes/workgroup (compile time only)
; SGPRBlocks: 0
; VGPRBlocks: 7
; NumSGPRsForWavesPerEU: 38
; NumVGPRsForWavesPerEU: 58
; Occupancy: 16
; WaveLimiterHint : 1
; COMPUTE_PGM_RSRC2:SCRATCH_EN: 0
; COMPUTE_PGM_RSRC2:USER_SGPR: 6
; COMPUTE_PGM_RSRC2:TRAP_HANDLER: 0
; COMPUTE_PGM_RSRC2:TGID_X_EN: 1
; COMPUTE_PGM_RSRC2:TGID_Y_EN: 1
; COMPUTE_PGM_RSRC2:TGID_Z_EN: 1
; COMPUTE_PGM_RSRC2:TIDIG_COMP_CNT: 1
	.section	.text._ZN12_GLOBAL__N_127rocblas_gemm_batched_kernelIfLi16ELi16ELi32ELi32ELi8ELi32ELi8ELi8ELi32ELc78ELc78EKPKfS3_KPfEEvlllT_PT11_llS8_llS6_PT12_llPT13_lli,"axG",@progbits,_ZN12_GLOBAL__N_127rocblas_gemm_batched_kernelIfLi16ELi16ELi32ELi32ELi8ELi32ELi8ELi8ELi32ELc78ELc78EKPKfS3_KPfEEvlllT_PT11_llS8_llS6_PT12_llPT13_lli,comdat
	.globl	_ZN12_GLOBAL__N_127rocblas_gemm_batched_kernelIfLi16ELi16ELi32ELi32ELi8ELi32ELi8ELi8ELi32ELc78ELc78EKPKfS3_KPfEEvlllT_PT11_llS8_llS6_PT12_llPT13_lli ; -- Begin function _ZN12_GLOBAL__N_127rocblas_gemm_batched_kernelIfLi16ELi16ELi32ELi32ELi8ELi32ELi8ELi8ELi32ELc78ELc78EKPKfS3_KPfEEvlllT_PT11_llS8_llS6_PT12_llPT13_lli
	.p2align	8
	.type	_ZN12_GLOBAL__N_127rocblas_gemm_batched_kernelIfLi16ELi16ELi32ELi32ELi8ELi32ELi8ELi8ELi32ELc78ELc78EKPKfS3_KPfEEvlllT_PT11_llS8_llS6_PT12_llPT13_lli,@function
_ZN12_GLOBAL__N_127rocblas_gemm_batched_kernelIfLi16ELi16ELi32ELi32ELi8ELi32ELi8ELi8ELi32ELc78ELc78EKPKfS3_KPfEEvlllT_PT11_llS8_llS6_PT12_llPT13_lli: ; @_ZN12_GLOBAL__N_127rocblas_gemm_batched_kernelIfLi16ELi16ELi32ELi32ELi8ELi32ELi8ELi8ELi32ELc78ELc78EKPKfS3_KPfEEvlllT_PT11_llS8_llS6_PT12_llPT13_lli
; %bb.0:
	s_clause 0x1
	s_load_dwordx8 s[12:19], s[4:5], 0x58
	s_load_dwordx2 s[28:29], s[4:5], 0x10
	s_mov_b32 s9, 0
	s_mov_b32 s0, s7
	s_lshl_b64 s[34:35], s[8:9], 3
	s_load_dwordx4 s[8:11], s[4:5], 0x78
	v_mov_b32_e32 v9, 0
	v_mov_b32_e32 v8, 0
	;; [unrolled: 1-line block ×4, first 2 shown]
	s_waitcnt lgkmcnt(0)
	s_add_u32 s2, s12, s34
	s_addc_u32 s3, s13, s35
	s_add_u32 s18, s18, s34
	s_addc_u32 s19, s19, s35
	s_load_dwordx2 s[12:13], s[2:3], 0x0
	s_load_dwordx2 s[18:19], s[18:19], 0x0
	v_cmp_lt_i64_e64 s2, s[28:29], 1
	s_ashr_i32 s7, s6, 31
	s_ashr_i32 s1, s0, 31
	s_lshl_b64 s[6:7], s[6:7], 5
	s_lshl_b64 s[30:31], s[0:1], 5
	s_and_b32 vcc_lo, exec_lo, s2
	s_cbranch_vccnz .LBB185_3
; %bb.1:
	s_load_dwordx4 s[0:3], s[4:5], 0x40
	v_lshl_add_u32 v2, v1, 4, v0
	s_load_dwordx8 s[20:27], s[4:5], 0x20
	v_and_b32_e32 v3, 7, v0
	v_mov_b32_e32 v6, 0
	v_lshlrev_b32_e32 v10, 2, v0
	v_lshrrev_b32_e32 v4, 3, v2
	v_and_b32_e32 v9, 31, v2
	v_lshrrev_b32_e32 v8, 5, v2
	v_lshlrev_b32_e32 v14, 2, v3
	v_lshl_add_u32 v11, v1, 5, 0x400
	v_add_co_u32 v5, s33, v4, s30
	v_add_co_ci_u32_e64 v7, null, 0, s31, s33
	v_lshl_or_b32 v15, v4, 5, v14
	v_lshlrev_b32_e32 v12, 2, v9
	s_waitcnt lgkmcnt(0)
	v_mul_lo_u32 v13, s1, v5
	v_mul_lo_u32 v7, s0, v7
	v_mad_u64_u32 v[2:3], null, s0, v5, 0
	v_mad_u64_u32 v[4:5], null, s22, v8, s[6:7]
	s_add_u32 s0, s20, s34
	s_addc_u32 s1, s21, s35
	s_add_u32 s20, s26, s34
	s_addc_u32 s21, s27, s35
	v_add3_u32 v3, v3, v7, v13
	s_load_dwordx2 s[20:21], s[20:21], 0x0
	s_load_dwordx2 s[0:1], s[0:1], 0x0
	v_lshl_or_b32 v12, v8, 7, v12
	v_mad_u64_u32 v[7:8], null, s23, v8, v[5:6]
	v_lshlrev_b64 v[2:3], 2, v[2:3]
	s_lshl_b64 s[2:3], s[2:3], 2
	v_add_nc_u32_e32 v13, 0x400, v15
	v_add_co_u32 v5, vcc_lo, v2, s2
	v_add_co_ci_u32_e64 v8, null, s3, v3, vcc_lo
	v_add_co_u32 v2, vcc_lo, v4, v9
	v_add_co_ci_u32_e64 v3, null, 0, v7, vcc_lo
	;; [unrolled: 2-line block ×3, first 2 shown]
	v_lshlrev_b64 v[4:5], 2, v[2:3]
	s_lshl_b64 s[2:3], s[24:25], 2
	s_waitcnt lgkmcnt(0)
	v_add_co_u32 v2, vcc_lo, s20, v7
	s_add_u32 s0, s0, s2
	v_add_co_ci_u32_e64 v3, null, s21, v8, vcc_lo
	s_addc_u32 s1, s1, s3
	v_add_co_u32 v4, vcc_lo, s0, v4
	v_add_co_ci_u32_e64 v5, null, s1, v5, vcc_lo
	v_mov_b32_e32 v7, 0
	v_mov_b32_e32 v8, 0
	;; [unrolled: 1-line block ×3, first 2 shown]
	s_lshl_b64 s[2:3], s[22:23], 5
	s_mov_b64 s[20:21], 0
.LBB185_2:                              ; =>This Inner Loop Header: Depth=1
	flat_load_dword v14, v[4:5]
	s_add_u32 s20, s20, 8
	s_addc_u32 s21, s21, 0
	v_add_co_u32 v4, vcc_lo, v4, s2
	v_cmp_lt_i64_e64 s0, s[20:21], s[28:29]
	v_add_co_ci_u32_e64 v5, null, s3, v5, vcc_lo
	s_and_b32 vcc_lo, exec_lo, s0
	s_waitcnt vmcnt(0) lgkmcnt(0)
	ds_write_b32 v12, v14
	flat_load_dword v14, v[2:3]
	v_add_co_u32 v2, s0, v2, 32
	v_add_co_ci_u32_e64 v3, null, 0, v3, s0
	s_waitcnt vmcnt(0) lgkmcnt(0)
	ds_write_b32 v13, v14
	s_waitcnt lgkmcnt(0)
	s_barrier
	buffer_gl0_inv
	ds_read_b128 v[14:17], v11
	ds_read2_b32 v[30:31], v10 offset1:16
	ds_read_b128 v[18:21], v11 offset:512
	ds_read2_b32 v[32:33], v10 offset0:32 offset1:48
	ds_read2_b32 v[34:35], v10 offset0:64 offset1:80
	ds_read_b128 v[22:25], v11 offset:16
	ds_read2_b32 v[36:37], v10 offset0:96 offset1:112
	ds_read2_b32 v[38:39], v10 offset0:128 offset1:144
	;; [unrolled: 3-line block ×3, first 2 shown]
	ds_read2_b32 v[44:45], v10 offset0:224 offset1:240
	s_waitcnt lgkmcnt(0)
	s_barrier
	buffer_gl0_inv
	v_fmac_f32_e32 v9, v30, v14
	v_fmac_f32_e32 v8, v31, v14
	v_fmac_f32_e32 v7, v30, v18
	v_fmac_f32_e32 v6, v31, v18
	v_fmac_f32_e32 v9, v32, v15
	v_fmac_f32_e32 v8, v33, v15
	v_fmac_f32_e32 v7, v32, v19
	v_fmac_f32_e32 v6, v33, v19
	v_fmac_f32_e32 v9, v34, v16
	v_fmac_f32_e32 v8, v35, v16
	v_fmac_f32_e32 v7, v34, v20
	v_fmac_f32_e32 v6, v35, v20
	v_fmac_f32_e32 v9, v36, v17
	v_fmac_f32_e32 v8, v37, v17
	v_fmac_f32_e32 v7, v36, v21
	v_fmac_f32_e32 v6, v37, v21
	v_fmac_f32_e32 v9, v38, v22
	v_fmac_f32_e32 v8, v39, v22
	v_fmac_f32_e32 v7, v38, v26
	v_fmac_f32_e32 v6, v39, v26
	v_fmac_f32_e32 v9, v40, v23
	v_fmac_f32_e32 v8, v41, v23
	v_fmac_f32_e32 v7, v40, v27
	v_fmac_f32_e32 v6, v41, v27
	v_fmac_f32_e32 v9, v42, v24
	v_fmac_f32_e32 v8, v43, v24
	v_fmac_f32_e32 v7, v42, v28
	v_fmac_f32_e32 v6, v43, v28
	v_fmac_f32_e32 v9, v44, v25
	v_fmac_f32_e32 v8, v45, v25
	v_fmac_f32_e32 v7, v44, v29
	v_fmac_f32_e32 v6, v45, v29
	s_cbranch_vccnz .LBB185_2
.LBB185_3:
	s_clause 0x1
	s_load_dword s0, s[4:5], 0x50
	s_load_dword s1, s[4:5], 0x18
	v_add_co_u32 v2, s4, s30, v1
	v_add_co_ci_u32_e64 v5, null, s31, 0, s4
	v_add_co_u32 v0, s4, s6, v0
	v_add_co_ci_u32_e64 v1, null, s7, 0, s4
	v_mul_lo_u32 v3, v5, s8
	v_mul_lo_u32 v4, v2, s9
	s_lshl_b64 s[2:3], s[10:11], 2
	v_lshlrev_b64 v[0:1], 2, v[0:1]
	s_waitcnt lgkmcnt(0)
	s_add_u32 s2, s18, s2
	s_addc_u32 s3, s19, s3
	v_cmp_neq_f32_e64 s4, s0, 0
	s_and_b32 vcc_lo, exec_lo, s4
	s_mov_b32 s4, 0
	s_cbranch_vccnz .LBB185_7
; %bb.4:
	v_mad_u64_u32 v[10:11], null, v2, s8, 0
	s_lshl_b64 s[6:7], s[8:9], 6
	v_mul_f32_e32 v14, s1, v9
	v_mul_f32_e32 v15, s1, v8
	;; [unrolled: 1-line block ×4, first 2 shown]
	v_add3_u32 v11, v11, v4, v3
	v_lshlrev_b64 v[10:11], 2, v[10:11]
	v_add_co_u32 v10, vcc_lo, s2, v10
	v_add_co_ci_u32_e64 v11, null, s3, v11, vcc_lo
	v_add_co_u32 v12, vcc_lo, v10, s6
	v_add_co_ci_u32_e64 v13, null, s7, v11, vcc_lo
	;; [unrolled: 2-line block ×4, first 2 shown]
	flat_store_dword v[10:11], v14
	flat_store_dword v[10:11], v15 offset:64
	flat_store_dword v[12:13], v16
	flat_store_dword v[12:13], v17 offset:64
	s_andn2_b32 vcc_lo, exec_lo, s4
	s_cbranch_vccnz .LBB185_6
.LBB185_5:
	v_mul_lo_u32 v5, v5, s14
	v_mul_lo_u32 v12, v2, s15
	v_mad_u64_u32 v[10:11], null, v2, s14, 0
	s_lshl_b64 s[4:5], s[16:17], 2
	s_add_u32 s4, s12, s4
	s_addc_u32 s5, s13, s5
	v_add3_u32 v11, v11, v12, v5
	v_mad_u64_u32 v[12:13], null, v2, s8, 0
	v_lshlrev_b64 v[10:11], 2, v[10:11]
	v_add3_u32 v13, v13, v4, v3
	v_add_co_u32 v5, vcc_lo, s4, v10
	v_add_co_ci_u32_e64 v14, null, s5, v11, vcc_lo
	v_lshlrev_b64 v[2:3], 2, v[12:13]
	v_add_co_u32 v10, vcc_lo, v5, v0
	v_add_co_ci_u32_e64 v11, null, v14, v1, vcc_lo
	v_add_co_u32 v12, vcc_lo, s2, v2
	flat_load_dword v15, v[10:11]
	v_add_co_ci_u32_e64 v13, null, s3, v3, vcc_lo
	v_add_co_u32 v2, vcc_lo, v12, v0
	s_lshl_b64 s[2:3], s[14:15], 6
	v_add_co_ci_u32_e64 v3, null, v13, v1, vcc_lo
	s_waitcnt vmcnt(0) lgkmcnt(0)
	v_mul_f32_e32 v4, s0, v15
	v_fmac_f32_e32 v4, s1, v9
	flat_store_dword v[2:3], v4
	flat_load_dword v4, v[10:11] offset:64
	s_waitcnt vmcnt(0) lgkmcnt(0)
	v_mul_f32_e32 v9, s0, v4
	v_add_co_u32 v4, vcc_lo, v5, s2
	v_add_co_ci_u32_e64 v5, null, s3, v14, vcc_lo
	v_fmac_f32_e32 v9, s1, v8
	v_add_co_u32 v4, vcc_lo, v4, v0
	v_add_co_ci_u32_e64 v5, null, v5, v1, vcc_lo
	flat_store_dword v[2:3], v9 offset:64
	s_lshl_b64 s[2:3], s[8:9], 6
	flat_load_dword v2, v[4:5]
	v_add_co_u32 v3, vcc_lo, v12, s2
	v_add_co_ci_u32_e64 v8, null, s3, v13, vcc_lo
	v_add_co_u32 v0, vcc_lo, v3, v0
	v_add_co_ci_u32_e64 v1, null, v8, v1, vcc_lo
	s_waitcnt vmcnt(0) lgkmcnt(0)
	v_mul_f32_e32 v2, s0, v2
	v_fmac_f32_e32 v2, s1, v7
	flat_store_dword v[0:1], v2
	flat_load_dword v2, v[4:5] offset:64
	s_waitcnt vmcnt(0) lgkmcnt(0)
	v_mul_f32_e32 v2, s0, v2
	v_fmac_f32_e32 v2, s1, v6
	flat_store_dword v[0:1], v2 offset:64
.LBB185_6:
	s_endpgm
.LBB185_7:
	s_branch .LBB185_5
	.section	.rodata,"a",@progbits
	.p2align	6, 0x0
	.amdhsa_kernel _ZN12_GLOBAL__N_127rocblas_gemm_batched_kernelIfLi16ELi16ELi32ELi32ELi8ELi32ELi8ELi8ELi32ELc78ELc78EKPKfS3_KPfEEvlllT_PT11_llS8_llS6_PT12_llPT13_lli
		.amdhsa_group_segment_fixed_size 2048
		.amdhsa_private_segment_fixed_size 0
		.amdhsa_kernarg_size 140
		.amdhsa_user_sgpr_count 6
		.amdhsa_user_sgpr_private_segment_buffer 1
		.amdhsa_user_sgpr_dispatch_ptr 0
		.amdhsa_user_sgpr_queue_ptr 0
		.amdhsa_user_sgpr_kernarg_segment_ptr 1
		.amdhsa_user_sgpr_dispatch_id 0
		.amdhsa_user_sgpr_flat_scratch_init 0
		.amdhsa_user_sgpr_private_segment_size 0
		.amdhsa_wavefront_size32 1
		.amdhsa_uses_dynamic_stack 0
		.amdhsa_system_sgpr_private_segment_wavefront_offset 0
		.amdhsa_system_sgpr_workgroup_id_x 1
		.amdhsa_system_sgpr_workgroup_id_y 1
		.amdhsa_system_sgpr_workgroup_id_z 1
		.amdhsa_system_sgpr_workgroup_info 0
		.amdhsa_system_vgpr_workitem_id 1
		.amdhsa_next_free_vgpr 46
		.amdhsa_next_free_sgpr 36
		.amdhsa_reserve_vcc 1
		.amdhsa_reserve_flat_scratch 0
		.amdhsa_float_round_mode_32 0
		.amdhsa_float_round_mode_16_64 0
		.amdhsa_float_denorm_mode_32 3
		.amdhsa_float_denorm_mode_16_64 3
		.amdhsa_dx10_clamp 1
		.amdhsa_ieee_mode 1
		.amdhsa_fp16_overflow 0
		.amdhsa_workgroup_processor_mode 1
		.amdhsa_memory_ordered 1
		.amdhsa_forward_progress 1
		.amdhsa_shared_vgpr_count 0
		.amdhsa_exception_fp_ieee_invalid_op 0
		.amdhsa_exception_fp_denorm_src 0
		.amdhsa_exception_fp_ieee_div_zero 0
		.amdhsa_exception_fp_ieee_overflow 0
		.amdhsa_exception_fp_ieee_underflow 0
		.amdhsa_exception_fp_ieee_inexact 0
		.amdhsa_exception_int_div_zero 0
	.end_amdhsa_kernel
	.section	.text._ZN12_GLOBAL__N_127rocblas_gemm_batched_kernelIfLi16ELi16ELi32ELi32ELi8ELi32ELi8ELi8ELi32ELc78ELc78EKPKfS3_KPfEEvlllT_PT11_llS8_llS6_PT12_llPT13_lli,"axG",@progbits,_ZN12_GLOBAL__N_127rocblas_gemm_batched_kernelIfLi16ELi16ELi32ELi32ELi8ELi32ELi8ELi8ELi32ELc78ELc78EKPKfS3_KPfEEvlllT_PT11_llS8_llS6_PT12_llPT13_lli,comdat
.Lfunc_end185:
	.size	_ZN12_GLOBAL__N_127rocblas_gemm_batched_kernelIfLi16ELi16ELi32ELi32ELi8ELi32ELi8ELi8ELi32ELc78ELc78EKPKfS3_KPfEEvlllT_PT11_llS8_llS6_PT12_llPT13_lli, .Lfunc_end185-_ZN12_GLOBAL__N_127rocblas_gemm_batched_kernelIfLi16ELi16ELi32ELi32ELi8ELi32ELi8ELi8ELi32ELc78ELc78EKPKfS3_KPfEEvlllT_PT11_llS8_llS6_PT12_llPT13_lli
                                        ; -- End function
	.set _ZN12_GLOBAL__N_127rocblas_gemm_batched_kernelIfLi16ELi16ELi32ELi32ELi8ELi32ELi8ELi8ELi32ELc78ELc78EKPKfS3_KPfEEvlllT_PT11_llS8_llS6_PT12_llPT13_lli.num_vgpr, 46
	.set _ZN12_GLOBAL__N_127rocblas_gemm_batched_kernelIfLi16ELi16ELi32ELi32ELi8ELi32ELi8ELi8ELi32ELc78ELc78EKPKfS3_KPfEEvlllT_PT11_llS8_llS6_PT12_llPT13_lli.num_agpr, 0
	.set _ZN12_GLOBAL__N_127rocblas_gemm_batched_kernelIfLi16ELi16ELi32ELi32ELi8ELi32ELi8ELi8ELi32ELc78ELc78EKPKfS3_KPfEEvlllT_PT11_llS8_llS6_PT12_llPT13_lli.numbered_sgpr, 36
	.set _ZN12_GLOBAL__N_127rocblas_gemm_batched_kernelIfLi16ELi16ELi32ELi32ELi8ELi32ELi8ELi8ELi32ELc78ELc78EKPKfS3_KPfEEvlllT_PT11_llS8_llS6_PT12_llPT13_lli.num_named_barrier, 0
	.set _ZN12_GLOBAL__N_127rocblas_gemm_batched_kernelIfLi16ELi16ELi32ELi32ELi8ELi32ELi8ELi8ELi32ELc78ELc78EKPKfS3_KPfEEvlllT_PT11_llS8_llS6_PT12_llPT13_lli.private_seg_size, 0
	.set _ZN12_GLOBAL__N_127rocblas_gemm_batched_kernelIfLi16ELi16ELi32ELi32ELi8ELi32ELi8ELi8ELi32ELc78ELc78EKPKfS3_KPfEEvlllT_PT11_llS8_llS6_PT12_llPT13_lli.uses_vcc, 1
	.set _ZN12_GLOBAL__N_127rocblas_gemm_batched_kernelIfLi16ELi16ELi32ELi32ELi8ELi32ELi8ELi8ELi32ELc78ELc78EKPKfS3_KPfEEvlllT_PT11_llS8_llS6_PT12_llPT13_lli.uses_flat_scratch, 0
	.set _ZN12_GLOBAL__N_127rocblas_gemm_batched_kernelIfLi16ELi16ELi32ELi32ELi8ELi32ELi8ELi8ELi32ELc78ELc78EKPKfS3_KPfEEvlllT_PT11_llS8_llS6_PT12_llPT13_lli.has_dyn_sized_stack, 0
	.set _ZN12_GLOBAL__N_127rocblas_gemm_batched_kernelIfLi16ELi16ELi32ELi32ELi8ELi32ELi8ELi8ELi32ELc78ELc78EKPKfS3_KPfEEvlllT_PT11_llS8_llS6_PT12_llPT13_lli.has_recursion, 0
	.set _ZN12_GLOBAL__N_127rocblas_gemm_batched_kernelIfLi16ELi16ELi32ELi32ELi8ELi32ELi8ELi8ELi32ELc78ELc78EKPKfS3_KPfEEvlllT_PT11_llS8_llS6_PT12_llPT13_lli.has_indirect_call, 0
	.section	.AMDGPU.csdata,"",@progbits
; Kernel info:
; codeLenInByte = 1396
; TotalNumSgprs: 38
; NumVgprs: 46
; ScratchSize: 0
; MemoryBound: 0
; FloatMode: 240
; IeeeMode: 1
; LDSByteSize: 2048 bytes/workgroup (compile time only)
; SGPRBlocks: 0
; VGPRBlocks: 5
; NumSGPRsForWavesPerEU: 38
; NumVGPRsForWavesPerEU: 46
; Occupancy: 16
; WaveLimiterHint : 1
; COMPUTE_PGM_RSRC2:SCRATCH_EN: 0
; COMPUTE_PGM_RSRC2:USER_SGPR: 6
; COMPUTE_PGM_RSRC2:TRAP_HANDLER: 0
; COMPUTE_PGM_RSRC2:TGID_X_EN: 1
; COMPUTE_PGM_RSRC2:TGID_Y_EN: 1
; COMPUTE_PGM_RSRC2:TGID_Z_EN: 1
; COMPUTE_PGM_RSRC2:TIDIG_COMP_CNT: 1
	.section	.text._ZN12_GLOBAL__N_127rocblas_gemm_batched_kernelIfLi16ELi16ELi32ELi32ELi8ELi32ELi8ELi8ELi32ELc84ELc78EKPKfS3_KPfEEvlllT_PT11_llS8_llS6_PT12_llPT13_lli,"axG",@progbits,_ZN12_GLOBAL__N_127rocblas_gemm_batched_kernelIfLi16ELi16ELi32ELi32ELi8ELi32ELi8ELi8ELi32ELc84ELc78EKPKfS3_KPfEEvlllT_PT11_llS8_llS6_PT12_llPT13_lli,comdat
	.globl	_ZN12_GLOBAL__N_127rocblas_gemm_batched_kernelIfLi16ELi16ELi32ELi32ELi8ELi32ELi8ELi8ELi32ELc84ELc78EKPKfS3_KPfEEvlllT_PT11_llS8_llS6_PT12_llPT13_lli ; -- Begin function _ZN12_GLOBAL__N_127rocblas_gemm_batched_kernelIfLi16ELi16ELi32ELi32ELi8ELi32ELi8ELi8ELi32ELc84ELc78EKPKfS3_KPfEEvlllT_PT11_llS8_llS6_PT12_llPT13_lli
	.p2align	8
	.type	_ZN12_GLOBAL__N_127rocblas_gemm_batched_kernelIfLi16ELi16ELi32ELi32ELi8ELi32ELi8ELi8ELi32ELc84ELc78EKPKfS3_KPfEEvlllT_PT11_llS8_llS6_PT12_llPT13_lli,@function
_ZN12_GLOBAL__N_127rocblas_gemm_batched_kernelIfLi16ELi16ELi32ELi32ELi8ELi32ELi8ELi8ELi32ELc84ELc78EKPKfS3_KPfEEvlllT_PT11_llS8_llS6_PT12_llPT13_lli: ; @_ZN12_GLOBAL__N_127rocblas_gemm_batched_kernelIfLi16ELi16ELi32ELi32ELi8ELi32ELi8ELi8ELi32ELc84ELc78EKPKfS3_KPfEEvlllT_PT11_llS8_llS6_PT12_llPT13_lli
; %bb.0:
	s_clause 0x1
	s_load_dwordx8 s[12:19], s[4:5], 0x58
	s_load_dwordx2 s[28:29], s[4:5], 0x10
	s_mov_b32 s9, 0
	s_mov_b32 s0, s7
	s_lshl_b64 s[34:35], s[8:9], 3
	s_load_dwordx4 s[8:11], s[4:5], 0x78
	v_mov_b32_e32 v9, 0
	v_mov_b32_e32 v8, 0
	;; [unrolled: 1-line block ×4, first 2 shown]
	s_waitcnt lgkmcnt(0)
	s_add_u32 s2, s12, s34
	s_addc_u32 s3, s13, s35
	s_add_u32 s18, s18, s34
	s_addc_u32 s19, s19, s35
	s_load_dwordx2 s[12:13], s[2:3], 0x0
	s_load_dwordx2 s[18:19], s[18:19], 0x0
	v_cmp_lt_i64_e64 s2, s[28:29], 1
	s_ashr_i32 s7, s6, 31
	s_ashr_i32 s1, s0, 31
	s_lshl_b64 s[6:7], s[6:7], 5
	s_lshl_b64 s[30:31], s[0:1], 5
	s_and_b32 vcc_lo, exec_lo, s2
	s_cbranch_vccnz .LBB186_3
; %bb.1:
	s_clause 0x1
	s_load_dwordx8 s[20:27], s[4:5], 0x20
	s_load_dwordx4 s[0:3], s[4:5], 0x40
	v_lshl_add_u32 v2, v1, 4, v0
	v_and_b32_e32 v3, 7, v0
	v_lshrrev_b32_e32 v6, 3, v2
	v_and_b32_e32 v7, 31, v2
	v_lshrrev_b32_e32 v8, 5, v2
	v_lshlrev_b32_e32 v9, 2, v3
	v_add_co_u32 v2, s33, v6, s30
	v_add_co_ci_u32_e64 v3, null, 0, s31, s33
	v_add_co_u32 v4, s33, s6, v7
	v_add_co_ci_u32_e64 v5, null, s7, 0, s33
	s_waitcnt lgkmcnt(0)
	s_add_u32 s20, s20, s34
	v_mul_lo_u32 v10, s1, v2
	v_mul_lo_u32 v11, s0, v3
	v_mad_u64_u32 v[2:3], null, s0, v2, 0
	v_mul_lo_u32 v12, s23, v4
	v_mul_lo_u32 v13, s22, v5
	v_mad_u64_u32 v[4:5], null, s22, v4, 0
	s_addc_u32 s21, s21, s35
	s_add_u32 s26, s26, s34
	v_add3_u32 v3, v3, v11, v10
	s_addc_u32 s27, s27, s35
	s_load_dwordx2 s[20:21], s[20:21], 0x0
	s_load_dwordx2 s[0:1], s[26:27], 0x0
	v_add3_u32 v5, v5, v13, v12
	v_lshlrev_b64 v[2:3], 2, v[2:3]
	s_lshl_b64 s[2:3], s[2:3], 2
	v_lshlrev_b32_e32 v7, 2, v7
	v_lshl_or_b32 v14, v6, 5, v9
	v_lshlrev_b64 v[4:5], 2, v[4:5]
	v_mov_b32_e32 v6, 0
	v_add_co_u32 v2, vcc_lo, v2, s2
	v_add_co_ci_u32_e64 v3, null, s3, v3, vcc_lo
	s_lshl_b64 s[2:3], s[24:25], 2
	v_lshl_or_b32 v10, v8, 7, v7
	v_add_co_u32 v4, vcc_lo, v4, s2
	v_lshlrev_b32_e32 v7, 2, v8
	v_add_co_ci_u32_e64 v5, null, s3, v5, vcc_lo
	v_add_co_u32 v2, vcc_lo, v2, v9
	v_add_co_ci_u32_e64 v3, null, 0, v3, vcc_lo
	v_add_co_u32 v4, vcc_lo, v4, v7
	v_add_co_ci_u32_e64 v5, null, 0, v5, vcc_lo
	s_waitcnt lgkmcnt(0)
	v_add_co_u32 v2, vcc_lo, s0, v2
	v_add_co_ci_u32_e64 v3, null, s1, v3, vcc_lo
	v_add_co_u32 v4, vcc_lo, s20, v4
	v_add_nc_u32_e32 v11, 0x400, v14
	v_lshlrev_b32_e32 v12, 2, v0
	v_lshl_add_u32 v13, v1, 5, 0x400
	v_add_co_ci_u32_e64 v5, null, s21, v5, vcc_lo
	v_mov_b32_e32 v7, 0
	v_mov_b32_e32 v8, 0
	;; [unrolled: 1-line block ×3, first 2 shown]
	s_mov_b64 s[2:3], 0
.LBB186_2:                              ; =>This Inner Loop Header: Depth=1
	flat_load_dword v14, v[4:5]
	s_add_u32 s2, s2, 8
	s_addc_u32 s3, s3, 0
	v_add_co_u32 v4, vcc_lo, v4, 32
	v_cmp_lt_i64_e64 s0, s[2:3], s[28:29]
	v_add_co_ci_u32_e64 v5, null, 0, v5, vcc_lo
	s_and_b32 vcc_lo, exec_lo, s0
	s_waitcnt vmcnt(0) lgkmcnt(0)
	ds_write_b32 v10, v14
	flat_load_dword v14, v[2:3]
	v_add_co_u32 v2, s0, v2, 32
	v_add_co_ci_u32_e64 v3, null, 0, v3, s0
	s_waitcnt vmcnt(0) lgkmcnt(0)
	ds_write_b32 v11, v14
	s_waitcnt lgkmcnt(0)
	s_barrier
	buffer_gl0_inv
	ds_read_b128 v[14:17], v13
	ds_read2_b32 v[30:31], v12 offset1:16
	ds_read_b128 v[18:21], v13 offset:512
	ds_read2_b32 v[32:33], v12 offset0:32 offset1:48
	ds_read2_b32 v[34:35], v12 offset0:64 offset1:80
	ds_read_b128 v[22:25], v13 offset:16
	ds_read2_b32 v[36:37], v12 offset0:96 offset1:112
	ds_read2_b32 v[38:39], v12 offset0:128 offset1:144
	;; [unrolled: 3-line block ×3, first 2 shown]
	ds_read2_b32 v[44:45], v12 offset0:224 offset1:240
	s_waitcnt lgkmcnt(0)
	s_barrier
	buffer_gl0_inv
	v_fmac_f32_e32 v9, v30, v14
	v_fmac_f32_e32 v8, v31, v14
	;; [unrolled: 1-line block ×32, first 2 shown]
	s_cbranch_vccnz .LBB186_2
.LBB186_3:
	s_clause 0x1
	s_load_dword s0, s[4:5], 0x50
	s_load_dword s1, s[4:5], 0x18
	v_add_co_u32 v2, s4, s30, v1
	v_add_co_ci_u32_e64 v5, null, s31, 0, s4
	v_add_co_u32 v0, s4, s6, v0
	v_add_co_ci_u32_e64 v1, null, s7, 0, s4
	v_mul_lo_u32 v3, v5, s8
	v_mul_lo_u32 v4, v2, s9
	s_lshl_b64 s[2:3], s[10:11], 2
	v_lshlrev_b64 v[0:1], 2, v[0:1]
	s_waitcnt lgkmcnt(0)
	s_add_u32 s2, s18, s2
	s_addc_u32 s3, s19, s3
	v_cmp_neq_f32_e64 s4, s0, 0
	s_and_b32 vcc_lo, exec_lo, s4
	s_mov_b32 s4, 0
	s_cbranch_vccnz .LBB186_7
; %bb.4:
	v_mad_u64_u32 v[10:11], null, v2, s8, 0
	s_lshl_b64 s[6:7], s[8:9], 6
	v_mul_f32_e32 v14, s1, v9
	v_mul_f32_e32 v15, s1, v8
	;; [unrolled: 1-line block ×4, first 2 shown]
	v_add3_u32 v11, v11, v4, v3
	v_lshlrev_b64 v[10:11], 2, v[10:11]
	v_add_co_u32 v10, vcc_lo, s2, v10
	v_add_co_ci_u32_e64 v11, null, s3, v11, vcc_lo
	v_add_co_u32 v12, vcc_lo, v10, s6
	v_add_co_ci_u32_e64 v13, null, s7, v11, vcc_lo
	v_add_co_u32 v10, vcc_lo, v10, v0
	v_add_co_ci_u32_e64 v11, null, v11, v1, vcc_lo
	v_add_co_u32 v12, vcc_lo, v12, v0
	v_add_co_ci_u32_e64 v13, null, v13, v1, vcc_lo
	flat_store_dword v[10:11], v14
	flat_store_dword v[10:11], v15 offset:64
	flat_store_dword v[12:13], v16
	flat_store_dword v[12:13], v17 offset:64
	s_andn2_b32 vcc_lo, exec_lo, s4
	s_cbranch_vccnz .LBB186_6
.LBB186_5:
	v_mul_lo_u32 v5, v5, s14
	v_mul_lo_u32 v12, v2, s15
	v_mad_u64_u32 v[10:11], null, v2, s14, 0
	s_lshl_b64 s[4:5], s[16:17], 2
	s_add_u32 s4, s12, s4
	s_addc_u32 s5, s13, s5
	v_add3_u32 v11, v11, v12, v5
	v_mad_u64_u32 v[12:13], null, v2, s8, 0
	v_lshlrev_b64 v[10:11], 2, v[10:11]
	v_add3_u32 v13, v13, v4, v3
	v_add_co_u32 v5, vcc_lo, s4, v10
	v_add_co_ci_u32_e64 v14, null, s5, v11, vcc_lo
	v_lshlrev_b64 v[2:3], 2, v[12:13]
	v_add_co_u32 v10, vcc_lo, v5, v0
	v_add_co_ci_u32_e64 v11, null, v14, v1, vcc_lo
	v_add_co_u32 v12, vcc_lo, s2, v2
	flat_load_dword v15, v[10:11]
	v_add_co_ci_u32_e64 v13, null, s3, v3, vcc_lo
	v_add_co_u32 v2, vcc_lo, v12, v0
	s_lshl_b64 s[2:3], s[14:15], 6
	v_add_co_ci_u32_e64 v3, null, v13, v1, vcc_lo
	s_waitcnt vmcnt(0) lgkmcnt(0)
	v_mul_f32_e32 v4, s0, v15
	v_fmac_f32_e32 v4, s1, v9
	flat_store_dword v[2:3], v4
	flat_load_dword v4, v[10:11] offset:64
	s_waitcnt vmcnt(0) lgkmcnt(0)
	v_mul_f32_e32 v9, s0, v4
	v_add_co_u32 v4, vcc_lo, v5, s2
	v_add_co_ci_u32_e64 v5, null, s3, v14, vcc_lo
	v_fmac_f32_e32 v9, s1, v8
	v_add_co_u32 v4, vcc_lo, v4, v0
	v_add_co_ci_u32_e64 v5, null, v5, v1, vcc_lo
	flat_store_dword v[2:3], v9 offset:64
	s_lshl_b64 s[2:3], s[8:9], 6
	flat_load_dword v2, v[4:5]
	v_add_co_u32 v3, vcc_lo, v12, s2
	v_add_co_ci_u32_e64 v8, null, s3, v13, vcc_lo
	v_add_co_u32 v0, vcc_lo, v3, v0
	v_add_co_ci_u32_e64 v1, null, v8, v1, vcc_lo
	s_waitcnt vmcnt(0) lgkmcnt(0)
	v_mul_f32_e32 v2, s0, v2
	v_fmac_f32_e32 v2, s1, v7
	flat_store_dword v[0:1], v2
	flat_load_dword v2, v[4:5] offset:64
	s_waitcnt vmcnt(0) lgkmcnt(0)
	v_mul_f32_e32 v2, s0, v2
	v_fmac_f32_e32 v2, s1, v6
	flat_store_dword v[0:1], v2 offset:64
.LBB186_6:
	s_endpgm
.LBB186_7:
	s_branch .LBB186_5
	.section	.rodata,"a",@progbits
	.p2align	6, 0x0
	.amdhsa_kernel _ZN12_GLOBAL__N_127rocblas_gemm_batched_kernelIfLi16ELi16ELi32ELi32ELi8ELi32ELi8ELi8ELi32ELc84ELc78EKPKfS3_KPfEEvlllT_PT11_llS8_llS6_PT12_llPT13_lli
		.amdhsa_group_segment_fixed_size 2048
		.amdhsa_private_segment_fixed_size 0
		.amdhsa_kernarg_size 140
		.amdhsa_user_sgpr_count 6
		.amdhsa_user_sgpr_private_segment_buffer 1
		.amdhsa_user_sgpr_dispatch_ptr 0
		.amdhsa_user_sgpr_queue_ptr 0
		.amdhsa_user_sgpr_kernarg_segment_ptr 1
		.amdhsa_user_sgpr_dispatch_id 0
		.amdhsa_user_sgpr_flat_scratch_init 0
		.amdhsa_user_sgpr_private_segment_size 0
		.amdhsa_wavefront_size32 1
		.amdhsa_uses_dynamic_stack 0
		.amdhsa_system_sgpr_private_segment_wavefront_offset 0
		.amdhsa_system_sgpr_workgroup_id_x 1
		.amdhsa_system_sgpr_workgroup_id_y 1
		.amdhsa_system_sgpr_workgroup_id_z 1
		.amdhsa_system_sgpr_workgroup_info 0
		.amdhsa_system_vgpr_workitem_id 1
		.amdhsa_next_free_vgpr 46
		.amdhsa_next_free_sgpr 36
		.amdhsa_reserve_vcc 1
		.amdhsa_reserve_flat_scratch 0
		.amdhsa_float_round_mode_32 0
		.amdhsa_float_round_mode_16_64 0
		.amdhsa_float_denorm_mode_32 3
		.amdhsa_float_denorm_mode_16_64 3
		.amdhsa_dx10_clamp 1
		.amdhsa_ieee_mode 1
		.amdhsa_fp16_overflow 0
		.amdhsa_workgroup_processor_mode 1
		.amdhsa_memory_ordered 1
		.amdhsa_forward_progress 1
		.amdhsa_shared_vgpr_count 0
		.amdhsa_exception_fp_ieee_invalid_op 0
		.amdhsa_exception_fp_denorm_src 0
		.amdhsa_exception_fp_ieee_div_zero 0
		.amdhsa_exception_fp_ieee_overflow 0
		.amdhsa_exception_fp_ieee_underflow 0
		.amdhsa_exception_fp_ieee_inexact 0
		.amdhsa_exception_int_div_zero 0
	.end_amdhsa_kernel
	.section	.text._ZN12_GLOBAL__N_127rocblas_gemm_batched_kernelIfLi16ELi16ELi32ELi32ELi8ELi32ELi8ELi8ELi32ELc84ELc78EKPKfS3_KPfEEvlllT_PT11_llS8_llS6_PT12_llPT13_lli,"axG",@progbits,_ZN12_GLOBAL__N_127rocblas_gemm_batched_kernelIfLi16ELi16ELi32ELi32ELi8ELi32ELi8ELi8ELi32ELc84ELc78EKPKfS3_KPfEEvlllT_PT11_llS8_llS6_PT12_llPT13_lli,comdat
.Lfunc_end186:
	.size	_ZN12_GLOBAL__N_127rocblas_gemm_batched_kernelIfLi16ELi16ELi32ELi32ELi8ELi32ELi8ELi8ELi32ELc84ELc78EKPKfS3_KPfEEvlllT_PT11_llS8_llS6_PT12_llPT13_lli, .Lfunc_end186-_ZN12_GLOBAL__N_127rocblas_gemm_batched_kernelIfLi16ELi16ELi32ELi32ELi8ELi32ELi8ELi8ELi32ELc84ELc78EKPKfS3_KPfEEvlllT_PT11_llS8_llS6_PT12_llPT13_lli
                                        ; -- End function
	.set _ZN12_GLOBAL__N_127rocblas_gemm_batched_kernelIfLi16ELi16ELi32ELi32ELi8ELi32ELi8ELi8ELi32ELc84ELc78EKPKfS3_KPfEEvlllT_PT11_llS8_llS6_PT12_llPT13_lli.num_vgpr, 46
	.set _ZN12_GLOBAL__N_127rocblas_gemm_batched_kernelIfLi16ELi16ELi32ELi32ELi8ELi32ELi8ELi8ELi32ELc84ELc78EKPKfS3_KPfEEvlllT_PT11_llS8_llS6_PT12_llPT13_lli.num_agpr, 0
	.set _ZN12_GLOBAL__N_127rocblas_gemm_batched_kernelIfLi16ELi16ELi32ELi32ELi8ELi32ELi8ELi8ELi32ELc84ELc78EKPKfS3_KPfEEvlllT_PT11_llS8_llS6_PT12_llPT13_lli.numbered_sgpr, 36
	.set _ZN12_GLOBAL__N_127rocblas_gemm_batched_kernelIfLi16ELi16ELi32ELi32ELi8ELi32ELi8ELi8ELi32ELc84ELc78EKPKfS3_KPfEEvlllT_PT11_llS8_llS6_PT12_llPT13_lli.num_named_barrier, 0
	.set _ZN12_GLOBAL__N_127rocblas_gemm_batched_kernelIfLi16ELi16ELi32ELi32ELi8ELi32ELi8ELi8ELi32ELc84ELc78EKPKfS3_KPfEEvlllT_PT11_llS8_llS6_PT12_llPT13_lli.private_seg_size, 0
	.set _ZN12_GLOBAL__N_127rocblas_gemm_batched_kernelIfLi16ELi16ELi32ELi32ELi8ELi32ELi8ELi8ELi32ELc84ELc78EKPKfS3_KPfEEvlllT_PT11_llS8_llS6_PT12_llPT13_lli.uses_vcc, 1
	.set _ZN12_GLOBAL__N_127rocblas_gemm_batched_kernelIfLi16ELi16ELi32ELi32ELi8ELi32ELi8ELi8ELi32ELc84ELc78EKPKfS3_KPfEEvlllT_PT11_llS8_llS6_PT12_llPT13_lli.uses_flat_scratch, 0
	.set _ZN12_GLOBAL__N_127rocblas_gemm_batched_kernelIfLi16ELi16ELi32ELi32ELi8ELi32ELi8ELi8ELi32ELc84ELc78EKPKfS3_KPfEEvlllT_PT11_llS8_llS6_PT12_llPT13_lli.has_dyn_sized_stack, 0
	.set _ZN12_GLOBAL__N_127rocblas_gemm_batched_kernelIfLi16ELi16ELi32ELi32ELi8ELi32ELi8ELi8ELi32ELc84ELc78EKPKfS3_KPfEEvlllT_PT11_llS8_llS6_PT12_llPT13_lli.has_recursion, 0
	.set _ZN12_GLOBAL__N_127rocblas_gemm_batched_kernelIfLi16ELi16ELi32ELi32ELi8ELi32ELi8ELi8ELi32ELc84ELc78EKPKfS3_KPfEEvlllT_PT11_llS8_llS6_PT12_llPT13_lli.has_indirect_call, 0
	.section	.AMDGPU.csdata,"",@progbits
; Kernel info:
; codeLenInByte = 1440
; TotalNumSgprs: 38
; NumVgprs: 46
; ScratchSize: 0
; MemoryBound: 0
; FloatMode: 240
; IeeeMode: 1
; LDSByteSize: 2048 bytes/workgroup (compile time only)
; SGPRBlocks: 0
; VGPRBlocks: 5
; NumSGPRsForWavesPerEU: 38
; NumVGPRsForWavesPerEU: 46
; Occupancy: 16
; WaveLimiterHint : 1
; COMPUTE_PGM_RSRC2:SCRATCH_EN: 0
; COMPUTE_PGM_RSRC2:USER_SGPR: 6
; COMPUTE_PGM_RSRC2:TRAP_HANDLER: 0
; COMPUTE_PGM_RSRC2:TGID_X_EN: 1
; COMPUTE_PGM_RSRC2:TGID_Y_EN: 1
; COMPUTE_PGM_RSRC2:TGID_Z_EN: 1
; COMPUTE_PGM_RSRC2:TIDIG_COMP_CNT: 1
	.section	.text._ZN12_GLOBAL__N_127rocblas_gemm_batched_kernelIfLi16ELi16ELi32ELi32ELi8ELi32ELi8ELi8ELi32ELc78ELc84EKPKfS3_KPfEEvlllT_PT11_llS8_llS6_PT12_llPT13_lli,"axG",@progbits,_ZN12_GLOBAL__N_127rocblas_gemm_batched_kernelIfLi16ELi16ELi32ELi32ELi8ELi32ELi8ELi8ELi32ELc78ELc84EKPKfS3_KPfEEvlllT_PT11_llS8_llS6_PT12_llPT13_lli,comdat
	.globl	_ZN12_GLOBAL__N_127rocblas_gemm_batched_kernelIfLi16ELi16ELi32ELi32ELi8ELi32ELi8ELi8ELi32ELc78ELc84EKPKfS3_KPfEEvlllT_PT11_llS8_llS6_PT12_llPT13_lli ; -- Begin function _ZN12_GLOBAL__N_127rocblas_gemm_batched_kernelIfLi16ELi16ELi32ELi32ELi8ELi32ELi8ELi8ELi32ELc78ELc84EKPKfS3_KPfEEvlllT_PT11_llS8_llS6_PT12_llPT13_lli
	.p2align	8
	.type	_ZN12_GLOBAL__N_127rocblas_gemm_batched_kernelIfLi16ELi16ELi32ELi32ELi8ELi32ELi8ELi8ELi32ELc78ELc84EKPKfS3_KPfEEvlllT_PT11_llS8_llS6_PT12_llPT13_lli,@function
_ZN12_GLOBAL__N_127rocblas_gemm_batched_kernelIfLi16ELi16ELi32ELi32ELi8ELi32ELi8ELi8ELi32ELc78ELc84EKPKfS3_KPfEEvlllT_PT11_llS8_llS6_PT12_llPT13_lli: ; @_ZN12_GLOBAL__N_127rocblas_gemm_batched_kernelIfLi16ELi16ELi32ELi32ELi8ELi32ELi8ELi8ELi32ELc78ELc84EKPKfS3_KPfEEvlllT_PT11_llS8_llS6_PT12_llPT13_lli
; %bb.0:
	s_clause 0x1
	s_load_dwordx8 s[12:19], s[4:5], 0x58
	s_load_dwordx2 s[28:29], s[4:5], 0x10
	s_mov_b32 s9, 0
	s_mov_b32 s0, s7
	s_lshl_b64 s[34:35], s[8:9], 3
	s_load_dwordx4 s[8:11], s[4:5], 0x78
	v_mov_b32_e32 v9, 0
	v_mov_b32_e32 v8, 0
	;; [unrolled: 1-line block ×4, first 2 shown]
	s_waitcnt lgkmcnt(0)
	s_add_u32 s2, s12, s34
	s_addc_u32 s3, s13, s35
	s_add_u32 s18, s18, s34
	s_addc_u32 s19, s19, s35
	s_load_dwordx2 s[12:13], s[2:3], 0x0
	s_load_dwordx2 s[18:19], s[18:19], 0x0
	v_cmp_lt_i64_e64 s2, s[28:29], 1
	s_ashr_i32 s7, s6, 31
	s_ashr_i32 s1, s0, 31
	s_lshl_b64 s[6:7], s[6:7], 5
	s_lshl_b64 s[30:31], s[0:1], 5
	s_and_b32 vcc_lo, exec_lo, s2
	s_cbranch_vccnz .LBB187_3
; %bb.1:
	s_clause 0x1
	s_load_dwordx8 s[20:27], s[4:5], 0x20
	s_load_dwordx4 s[0:3], s[4:5], 0x40
	v_lshl_add_u32 v4, v1, 4, v0
	v_mov_b32_e32 v3, 0
	v_and_b32_e32 v8, 7, v0
	v_lshlrev_b32_e32 v10, 2, v0
	v_lshl_add_u32 v11, v1, 5, 0x400
	v_lshrrev_b32_e32 v2, 3, v4
	v_lshrrev_b32_e32 v9, 5, v4
	v_and_b32_e32 v14, 31, v4
	v_lshlrev_b32_e32 v12, 2, v8
	v_lshlrev_b32_e32 v13, 2, v14
	v_lshl_or_b32 v15, v2, 5, v12
	v_lshl_or_b32 v12, v9, 7, v13
	s_waitcnt lgkmcnt(0)
	v_mad_u64_u32 v[6:7], null, s22, v9, s[6:7]
	v_mad_u64_u32 v[4:5], null, s0, v8, v[2:3]
	s_add_u32 s20, s20, s34
	s_addc_u32 s21, s21, s35
	s_add_u32 s26, s26, s34
	s_addc_u32 s27, s27, s35
	s_load_dwordx2 s[20:21], s[20:21], 0x0
	s_load_dwordx2 s[26:27], s[26:27], 0x0
	v_mov_b32_e32 v2, v5
	v_mov_b32_e32 v5, v7
	v_add_co_u32 v4, vcc_lo, v4, s30
	s_lshl_b64 s[2:3], s[2:3], 2
	v_mad_u64_u32 v[7:8], null, s1, v8, v[2:3]
	v_mad_u64_u32 v[8:9], null, s23, v9, v[5:6]
	v_add_nc_u32_e32 v13, 0x400, v15
	v_mov_b32_e32 v2, v3
	v_mov_b32_e32 v9, v3
	v_add_co_ci_u32_e64 v5, null, s31, v7, vcc_lo
	v_add_co_u32 v6, vcc_lo, v6, v14
	v_add_co_ci_u32_e64 v7, null, 0, v8, vcc_lo
	v_lshlrev_b64 v[4:5], 2, v[4:5]
	s_waitcnt lgkmcnt(0)
	s_add_u32 s26, s26, s2
	s_addc_u32 s27, s27, s3
	v_lshlrev_b64 v[6:7], 2, v[6:7]
	s_lshl_b64 s[2:3], s[0:1], 5
	s_lshl_b64 s[0:1], s[24:25], 2
	v_add_co_u32 v4, vcc_lo, s26, v4
	s_add_u32 s0, s20, s0
	s_addc_u32 s1, s21, s1
	v_add_co_ci_u32_e64 v5, null, s27, v5, vcc_lo
	v_add_co_u32 v6, vcc_lo, s0, v6
	v_add_co_ci_u32_e64 v7, null, s1, v7, vcc_lo
	v_mov_b32_e32 v8, v3
	s_lshl_b64 s[20:21], s[22:23], 5
	s_mov_b64 s[22:23], 0
.LBB187_2:                              ; =>This Inner Loop Header: Depth=1
	flat_load_dword v14, v[6:7]
	s_add_u32 s22, s22, 8
	s_addc_u32 s23, s23, 0
	v_add_co_u32 v6, vcc_lo, v6, s20
	v_cmp_lt_i64_e64 s0, s[22:23], s[28:29]
	v_add_co_ci_u32_e64 v7, null, s21, v7, vcc_lo
	s_and_b32 vcc_lo, exec_lo, s0
	s_waitcnt vmcnt(0) lgkmcnt(0)
	ds_write_b32 v12, v14
	flat_load_dword v14, v[4:5]
	v_add_co_u32 v4, s0, v4, s2
	v_add_co_ci_u32_e64 v5, null, s3, v5, s0
	s_waitcnt vmcnt(0) lgkmcnt(0)
	ds_write_b32 v13, v14
	s_waitcnt lgkmcnt(0)
	s_barrier
	buffer_gl0_inv
	ds_read_b128 v[14:17], v11
	ds_read2_b32 v[30:31], v10 offset1:16
	ds_read_b128 v[18:21], v11 offset:512
	ds_read2_b32 v[32:33], v10 offset0:32 offset1:48
	ds_read2_b32 v[34:35], v10 offset0:64 offset1:80
	ds_read_b128 v[22:25], v11 offset:16
	ds_read2_b32 v[36:37], v10 offset0:96 offset1:112
	ds_read2_b32 v[38:39], v10 offset0:128 offset1:144
	;; [unrolled: 3-line block ×3, first 2 shown]
	ds_read2_b32 v[44:45], v10 offset0:224 offset1:240
	s_waitcnt lgkmcnt(0)
	s_barrier
	buffer_gl0_inv
	v_fmac_f32_e32 v9, v30, v14
	v_fmac_f32_e32 v8, v31, v14
	;; [unrolled: 1-line block ×32, first 2 shown]
	s_cbranch_vccnz .LBB187_2
.LBB187_3:
	s_clause 0x1
	s_load_dword s0, s[4:5], 0x50
	s_load_dword s1, s[4:5], 0x18
	v_add_co_u32 v4, s4, s30, v1
	v_add_co_ci_u32_e64 v7, null, s31, 0, s4
	v_add_co_u32 v0, s4, s6, v0
	v_add_co_ci_u32_e64 v1, null, s7, 0, s4
	v_mul_lo_u32 v5, v7, s8
	v_mul_lo_u32 v6, v4, s9
	s_lshl_b64 s[2:3], s[10:11], 2
	v_lshlrev_b64 v[0:1], 2, v[0:1]
	s_waitcnt lgkmcnt(0)
	s_add_u32 s2, s18, s2
	s_addc_u32 s3, s19, s3
	v_cmp_neq_f32_e64 s4, s0, 0
	s_and_b32 vcc_lo, exec_lo, s4
	s_mov_b32 s4, 0
	s_cbranch_vccnz .LBB187_7
; %bb.4:
	v_mad_u64_u32 v[10:11], null, v4, s8, 0
	s_lshl_b64 s[6:7], s[8:9], 6
	v_mul_f32_e32 v14, s1, v9
	v_mul_f32_e32 v15, s1, v8
	;; [unrolled: 1-line block ×4, first 2 shown]
	v_add3_u32 v11, v11, v6, v5
	v_lshlrev_b64 v[10:11], 2, v[10:11]
	v_add_co_u32 v10, vcc_lo, s2, v10
	v_add_co_ci_u32_e64 v11, null, s3, v11, vcc_lo
	v_add_co_u32 v12, vcc_lo, v10, s6
	v_add_co_ci_u32_e64 v13, null, s7, v11, vcc_lo
	;; [unrolled: 2-line block ×4, first 2 shown]
	flat_store_dword v[10:11], v14
	flat_store_dword v[10:11], v15 offset:64
	flat_store_dword v[12:13], v16
	flat_store_dword v[12:13], v17 offset:64
	s_andn2_b32 vcc_lo, exec_lo, s4
	s_cbranch_vccnz .LBB187_6
.LBB187_5:
	v_mul_lo_u32 v7, v7, s14
	v_mul_lo_u32 v12, v4, s15
	v_mad_u64_u32 v[10:11], null, v4, s14, 0
	s_lshl_b64 s[4:5], s[16:17], 2
	s_add_u32 s4, s12, s4
	s_addc_u32 s5, s13, s5
	v_add3_u32 v11, v11, v12, v7
	v_mad_u64_u32 v[12:13], null, v4, s8, 0
	v_lshlrev_b64 v[10:11], 2, v[10:11]
	v_add3_u32 v13, v13, v6, v5
	v_add_co_u32 v7, vcc_lo, s4, v10
	v_add_co_ci_u32_e64 v14, null, s5, v11, vcc_lo
	v_lshlrev_b64 v[4:5], 2, v[12:13]
	v_add_co_u32 v10, vcc_lo, v7, v0
	v_add_co_ci_u32_e64 v11, null, v14, v1, vcc_lo
	v_add_co_u32 v12, vcc_lo, s2, v4
	flat_load_dword v15, v[10:11]
	v_add_co_ci_u32_e64 v13, null, s3, v5, vcc_lo
	v_add_co_u32 v4, vcc_lo, v12, v0
	s_lshl_b64 s[2:3], s[14:15], 6
	v_add_co_ci_u32_e64 v5, null, v13, v1, vcc_lo
	s_waitcnt vmcnt(0) lgkmcnt(0)
	v_mul_f32_e32 v6, s0, v15
	v_fmac_f32_e32 v6, s1, v9
	flat_store_dword v[4:5], v6
	flat_load_dword v6, v[10:11] offset:64
	s_waitcnt vmcnt(0) lgkmcnt(0)
	v_mul_f32_e32 v9, s0, v6
	v_add_co_u32 v6, vcc_lo, v7, s2
	v_add_co_ci_u32_e64 v7, null, s3, v14, vcc_lo
	v_fmac_f32_e32 v9, s1, v8
	v_add_co_u32 v6, vcc_lo, v6, v0
	v_add_co_ci_u32_e64 v7, null, v7, v1, vcc_lo
	flat_store_dword v[4:5], v9 offset:64
	s_lshl_b64 s[2:3], s[8:9], 6
	flat_load_dword v4, v[6:7]
	v_add_co_u32 v5, vcc_lo, v12, s2
	v_add_co_ci_u32_e64 v8, null, s3, v13, vcc_lo
	v_add_co_u32 v0, vcc_lo, v5, v0
	v_add_co_ci_u32_e64 v1, null, v8, v1, vcc_lo
	s_waitcnt vmcnt(0) lgkmcnt(0)
	v_mul_f32_e32 v4, s0, v4
	v_fmac_f32_e32 v4, s1, v2
	flat_store_dword v[0:1], v4
	flat_load_dword v2, v[6:7] offset:64
	s_waitcnt vmcnt(0) lgkmcnt(0)
	v_mul_f32_e32 v2, s0, v2
	v_fmac_f32_e32 v2, s1, v3
	flat_store_dword v[0:1], v2 offset:64
.LBB187_6:
	s_endpgm
.LBB187_7:
	s_branch .LBB187_5
	.section	.rodata,"a",@progbits
	.p2align	6, 0x0
	.amdhsa_kernel _ZN12_GLOBAL__N_127rocblas_gemm_batched_kernelIfLi16ELi16ELi32ELi32ELi8ELi32ELi8ELi8ELi32ELc78ELc84EKPKfS3_KPfEEvlllT_PT11_llS8_llS6_PT12_llPT13_lli
		.amdhsa_group_segment_fixed_size 2048
		.amdhsa_private_segment_fixed_size 0
		.amdhsa_kernarg_size 140
		.amdhsa_user_sgpr_count 6
		.amdhsa_user_sgpr_private_segment_buffer 1
		.amdhsa_user_sgpr_dispatch_ptr 0
		.amdhsa_user_sgpr_queue_ptr 0
		.amdhsa_user_sgpr_kernarg_segment_ptr 1
		.amdhsa_user_sgpr_dispatch_id 0
		.amdhsa_user_sgpr_flat_scratch_init 0
		.amdhsa_user_sgpr_private_segment_size 0
		.amdhsa_wavefront_size32 1
		.amdhsa_uses_dynamic_stack 0
		.amdhsa_system_sgpr_private_segment_wavefront_offset 0
		.amdhsa_system_sgpr_workgroup_id_x 1
		.amdhsa_system_sgpr_workgroup_id_y 1
		.amdhsa_system_sgpr_workgroup_id_z 1
		.amdhsa_system_sgpr_workgroup_info 0
		.amdhsa_system_vgpr_workitem_id 1
		.amdhsa_next_free_vgpr 46
		.amdhsa_next_free_sgpr 36
		.amdhsa_reserve_vcc 1
		.amdhsa_reserve_flat_scratch 0
		.amdhsa_float_round_mode_32 0
		.amdhsa_float_round_mode_16_64 0
		.amdhsa_float_denorm_mode_32 3
		.amdhsa_float_denorm_mode_16_64 3
		.amdhsa_dx10_clamp 1
		.amdhsa_ieee_mode 1
		.amdhsa_fp16_overflow 0
		.amdhsa_workgroup_processor_mode 1
		.amdhsa_memory_ordered 1
		.amdhsa_forward_progress 1
		.amdhsa_shared_vgpr_count 0
		.amdhsa_exception_fp_ieee_invalid_op 0
		.amdhsa_exception_fp_denorm_src 0
		.amdhsa_exception_fp_ieee_div_zero 0
		.amdhsa_exception_fp_ieee_overflow 0
		.amdhsa_exception_fp_ieee_underflow 0
		.amdhsa_exception_fp_ieee_inexact 0
		.amdhsa_exception_int_div_zero 0
	.end_amdhsa_kernel
	.section	.text._ZN12_GLOBAL__N_127rocblas_gemm_batched_kernelIfLi16ELi16ELi32ELi32ELi8ELi32ELi8ELi8ELi32ELc78ELc84EKPKfS3_KPfEEvlllT_PT11_llS8_llS6_PT12_llPT13_lli,"axG",@progbits,_ZN12_GLOBAL__N_127rocblas_gemm_batched_kernelIfLi16ELi16ELi32ELi32ELi8ELi32ELi8ELi8ELi32ELc78ELc84EKPKfS3_KPfEEvlllT_PT11_llS8_llS6_PT12_llPT13_lli,comdat
.Lfunc_end187:
	.size	_ZN12_GLOBAL__N_127rocblas_gemm_batched_kernelIfLi16ELi16ELi32ELi32ELi8ELi32ELi8ELi8ELi32ELc78ELc84EKPKfS3_KPfEEvlllT_PT11_llS8_llS6_PT12_llPT13_lli, .Lfunc_end187-_ZN12_GLOBAL__N_127rocblas_gemm_batched_kernelIfLi16ELi16ELi32ELi32ELi8ELi32ELi8ELi8ELi32ELc78ELc84EKPKfS3_KPfEEvlllT_PT11_llS8_llS6_PT12_llPT13_lli
                                        ; -- End function
	.set _ZN12_GLOBAL__N_127rocblas_gemm_batched_kernelIfLi16ELi16ELi32ELi32ELi8ELi32ELi8ELi8ELi32ELc78ELc84EKPKfS3_KPfEEvlllT_PT11_llS8_llS6_PT12_llPT13_lli.num_vgpr, 46
	.set _ZN12_GLOBAL__N_127rocblas_gemm_batched_kernelIfLi16ELi16ELi32ELi32ELi8ELi32ELi8ELi8ELi32ELc78ELc84EKPKfS3_KPfEEvlllT_PT11_llS8_llS6_PT12_llPT13_lli.num_agpr, 0
	.set _ZN12_GLOBAL__N_127rocblas_gemm_batched_kernelIfLi16ELi16ELi32ELi32ELi8ELi32ELi8ELi8ELi32ELc78ELc84EKPKfS3_KPfEEvlllT_PT11_llS8_llS6_PT12_llPT13_lli.numbered_sgpr, 36
	.set _ZN12_GLOBAL__N_127rocblas_gemm_batched_kernelIfLi16ELi16ELi32ELi32ELi8ELi32ELi8ELi8ELi32ELc78ELc84EKPKfS3_KPfEEvlllT_PT11_llS8_llS6_PT12_llPT13_lli.num_named_barrier, 0
	.set _ZN12_GLOBAL__N_127rocblas_gemm_batched_kernelIfLi16ELi16ELi32ELi32ELi8ELi32ELi8ELi8ELi32ELc78ELc84EKPKfS3_KPfEEvlllT_PT11_llS8_llS6_PT12_llPT13_lli.private_seg_size, 0
	.set _ZN12_GLOBAL__N_127rocblas_gemm_batched_kernelIfLi16ELi16ELi32ELi32ELi8ELi32ELi8ELi8ELi32ELc78ELc84EKPKfS3_KPfEEvlllT_PT11_llS8_llS6_PT12_llPT13_lli.uses_vcc, 1
	.set _ZN12_GLOBAL__N_127rocblas_gemm_batched_kernelIfLi16ELi16ELi32ELi32ELi8ELi32ELi8ELi8ELi32ELc78ELc84EKPKfS3_KPfEEvlllT_PT11_llS8_llS6_PT12_llPT13_lli.uses_flat_scratch, 0
	.set _ZN12_GLOBAL__N_127rocblas_gemm_batched_kernelIfLi16ELi16ELi32ELi32ELi8ELi32ELi8ELi8ELi32ELc78ELc84EKPKfS3_KPfEEvlllT_PT11_llS8_llS6_PT12_llPT13_lli.has_dyn_sized_stack, 0
	.set _ZN12_GLOBAL__N_127rocblas_gemm_batched_kernelIfLi16ELi16ELi32ELi32ELi8ELi32ELi8ELi8ELi32ELc78ELc84EKPKfS3_KPfEEvlllT_PT11_llS8_llS6_PT12_llPT13_lli.has_recursion, 0
	.set _ZN12_GLOBAL__N_127rocblas_gemm_batched_kernelIfLi16ELi16ELi32ELi32ELi8ELi32ELi8ELi8ELi32ELc78ELc84EKPKfS3_KPfEEvlllT_PT11_llS8_llS6_PT12_llPT13_lli.has_indirect_call, 0
	.section	.AMDGPU.csdata,"",@progbits
; Kernel info:
; codeLenInByte = 1372
; TotalNumSgprs: 38
; NumVgprs: 46
; ScratchSize: 0
; MemoryBound: 0
; FloatMode: 240
; IeeeMode: 1
; LDSByteSize: 2048 bytes/workgroup (compile time only)
; SGPRBlocks: 0
; VGPRBlocks: 5
; NumSGPRsForWavesPerEU: 38
; NumVGPRsForWavesPerEU: 46
; Occupancy: 16
; WaveLimiterHint : 1
; COMPUTE_PGM_RSRC2:SCRATCH_EN: 0
; COMPUTE_PGM_RSRC2:USER_SGPR: 6
; COMPUTE_PGM_RSRC2:TRAP_HANDLER: 0
; COMPUTE_PGM_RSRC2:TGID_X_EN: 1
; COMPUTE_PGM_RSRC2:TGID_Y_EN: 1
; COMPUTE_PGM_RSRC2:TGID_Z_EN: 1
; COMPUTE_PGM_RSRC2:TIDIG_COMP_CNT: 1
	.section	.text._ZN12_GLOBAL__N_127rocblas_gemm_batched_kernelIfLi16ELi16ELi32ELi32ELi8ELi32ELi8ELi8ELi32ELc84ELc84EKPKfS3_KPfEEvlllT_PT11_llS8_llS6_PT12_llPT13_lli,"axG",@progbits,_ZN12_GLOBAL__N_127rocblas_gemm_batched_kernelIfLi16ELi16ELi32ELi32ELi8ELi32ELi8ELi8ELi32ELc84ELc84EKPKfS3_KPfEEvlllT_PT11_llS8_llS6_PT12_llPT13_lli,comdat
	.globl	_ZN12_GLOBAL__N_127rocblas_gemm_batched_kernelIfLi16ELi16ELi32ELi32ELi8ELi32ELi8ELi8ELi32ELc84ELc84EKPKfS3_KPfEEvlllT_PT11_llS8_llS6_PT12_llPT13_lli ; -- Begin function _ZN12_GLOBAL__N_127rocblas_gemm_batched_kernelIfLi16ELi16ELi32ELi32ELi8ELi32ELi8ELi8ELi32ELc84ELc84EKPKfS3_KPfEEvlllT_PT11_llS8_llS6_PT12_llPT13_lli
	.p2align	8
	.type	_ZN12_GLOBAL__N_127rocblas_gemm_batched_kernelIfLi16ELi16ELi32ELi32ELi8ELi32ELi8ELi8ELi32ELc84ELc84EKPKfS3_KPfEEvlllT_PT11_llS8_llS6_PT12_llPT13_lli,@function
_ZN12_GLOBAL__N_127rocblas_gemm_batched_kernelIfLi16ELi16ELi32ELi32ELi8ELi32ELi8ELi8ELi32ELc84ELc84EKPKfS3_KPfEEvlllT_PT11_llS8_llS6_PT12_llPT13_lli: ; @_ZN12_GLOBAL__N_127rocblas_gemm_batched_kernelIfLi16ELi16ELi32ELi32ELi8ELi32ELi8ELi8ELi32ELc84ELc84EKPKfS3_KPfEEvlllT_PT11_llS8_llS6_PT12_llPT13_lli
; %bb.0:
	s_clause 0x1
	s_load_dwordx8 s[12:19], s[4:5], 0x58
	s_load_dwordx2 s[28:29], s[4:5], 0x10
	s_mov_b32 s9, 0
	s_mov_b32 s0, s7
	s_lshl_b64 s[34:35], s[8:9], 3
	s_load_dwordx4 s[8:11], s[4:5], 0x78
	v_mov_b32_e32 v9, 0
	v_mov_b32_e32 v8, 0
	;; [unrolled: 1-line block ×4, first 2 shown]
	s_waitcnt lgkmcnt(0)
	s_add_u32 s2, s12, s34
	s_addc_u32 s3, s13, s35
	s_add_u32 s18, s18, s34
	s_addc_u32 s19, s19, s35
	s_load_dwordx2 s[12:13], s[2:3], 0x0
	s_load_dwordx2 s[18:19], s[18:19], 0x0
	v_cmp_lt_i64_e64 s2, s[28:29], 1
	s_ashr_i32 s7, s6, 31
	s_ashr_i32 s1, s0, 31
	s_lshl_b64 s[6:7], s[6:7], 5
	s_lshl_b64 s[30:31], s[0:1], 5
	s_and_b32 vcc_lo, exec_lo, s2
	s_cbranch_vccnz .LBB188_3
; %bb.1:
	s_clause 0x1
	s_load_dwordx8 s[20:27], s[4:5], 0x20
	s_load_dwordx4 s[0:3], s[4:5], 0x40
	v_lshl_add_u32 v8, v1, 4, v0
	v_and_b32_e32 v9, 7, v0
	v_mov_b32_e32 v3, 0
	v_lshlrev_b32_e32 v10, 2, v0
	v_and_b32_e32 v11, 31, v8
	v_lshrrev_b32_e32 v2, 3, v8
	v_lshlrev_b32_e32 v12, 2, v9
	v_lshrrev_b32_e32 v8, 5, v8
	v_add_co_u32 v6, s33, s6, v11
	v_add_co_ci_u32_e64 v7, null, s7, 0, s33
	v_lshlrev_b32_e32 v15, 2, v11
	v_lshl_or_b32 v16, v2, 5, v12
	v_lshlrev_b32_e32 v17, 2, v8
	v_lshl_add_u32 v11, v1, 5, 0x400
	s_waitcnt lgkmcnt(0)
	s_add_u32 s20, s20, s34
	s_addc_u32 s21, s21, s35
	s_add_u32 s26, s26, s34
	s_addc_u32 s27, s27, s35
	v_mad_u64_u32 v[4:5], null, s0, v9, v[2:3]
	s_load_dwordx2 s[26:27], s[26:27], 0x0
	v_mul_lo_u32 v13, s23, v6
	v_mul_lo_u32 v14, s22, v7
	v_mad_u64_u32 v[6:7], null, s22, v6, 0
	v_lshl_or_b32 v12, v8, 7, v15
	v_mov_b32_e32 v2, v5
	s_load_dwordx2 s[20:21], s[20:21], 0x0
	s_lshl_b64 s[2:3], s[2:3], 2
	v_add3_u32 v7, v7, v14, v13
	v_mad_u64_u32 v[8:9], null, s1, v9, v[2:3]
	v_add_nc_u32_e32 v13, 0x400, v16
	v_mov_b32_e32 v9, v3
	v_lshlrev_b64 v[5:6], 2, v[6:7]
	v_add_co_u32 v7, vcc_lo, v4, s30
	v_add_co_ci_u32_e64 v8, null, s31, v8, vcc_lo
	s_waitcnt lgkmcnt(0)
	s_add_u32 s22, s26, s2
	s_addc_u32 s23, s27, s3
	s_lshl_b64 s[2:3], s[24:25], 2
	v_add_co_u32 v2, vcc_lo, v5, s2
	v_add_co_ci_u32_e64 v6, null, s3, v6, vcc_lo
	v_lshlrev_b64 v[4:5], 2, v[7:8]
	v_add_co_u32 v2, vcc_lo, v2, v17
	v_add_co_ci_u32_e64 v7, null, 0, v6, vcc_lo
	v_mov_b32_e32 v8, v3
	v_add_co_u32 v4, vcc_lo, s22, v4
	v_add_co_ci_u32_e64 v5, null, s23, v5, vcc_lo
	v_add_co_u32 v6, vcc_lo, s20, v2
	v_add_co_ci_u32_e64 v7, null, s21, v7, vcc_lo
	v_mov_b32_e32 v2, v3
	s_lshl_b64 s[2:3], s[0:1], 5
	s_mov_b64 s[20:21], 0
.LBB188_2:                              ; =>This Inner Loop Header: Depth=1
	flat_load_dword v14, v[6:7]
	s_add_u32 s20, s20, 8
	s_addc_u32 s21, s21, 0
	v_add_co_u32 v6, vcc_lo, v6, 32
	v_cmp_lt_i64_e64 s0, s[20:21], s[28:29]
	v_add_co_ci_u32_e64 v7, null, 0, v7, vcc_lo
	s_and_b32 vcc_lo, exec_lo, s0
	s_waitcnt vmcnt(0) lgkmcnt(0)
	ds_write_b32 v12, v14
	flat_load_dword v14, v[4:5]
	v_add_co_u32 v4, s0, v4, s2
	v_add_co_ci_u32_e64 v5, null, s3, v5, s0
	s_waitcnt vmcnt(0) lgkmcnt(0)
	ds_write_b32 v13, v14
	s_waitcnt lgkmcnt(0)
	s_barrier
	buffer_gl0_inv
	ds_read_b128 v[14:17], v11
	ds_read2_b32 v[30:31], v10 offset1:16
	ds_read_b128 v[18:21], v11 offset:512
	ds_read2_b32 v[32:33], v10 offset0:32 offset1:48
	ds_read2_b32 v[34:35], v10 offset0:64 offset1:80
	ds_read_b128 v[22:25], v11 offset:16
	ds_read2_b32 v[36:37], v10 offset0:96 offset1:112
	ds_read2_b32 v[38:39], v10 offset0:128 offset1:144
	;; [unrolled: 3-line block ×3, first 2 shown]
	ds_read2_b32 v[44:45], v10 offset0:224 offset1:240
	s_waitcnt lgkmcnt(0)
	s_barrier
	buffer_gl0_inv
	v_fmac_f32_e32 v9, v30, v14
	v_fmac_f32_e32 v8, v31, v14
	;; [unrolled: 1-line block ×32, first 2 shown]
	s_cbranch_vccnz .LBB188_2
.LBB188_3:
	s_clause 0x1
	s_load_dword s0, s[4:5], 0x50
	s_load_dword s1, s[4:5], 0x18
	v_add_co_u32 v4, s4, s30, v1
	v_add_co_ci_u32_e64 v7, null, s31, 0, s4
	v_add_co_u32 v0, s4, s6, v0
	v_add_co_ci_u32_e64 v1, null, s7, 0, s4
	v_mul_lo_u32 v5, v7, s8
	v_mul_lo_u32 v6, v4, s9
	s_lshl_b64 s[2:3], s[10:11], 2
	v_lshlrev_b64 v[0:1], 2, v[0:1]
	s_waitcnt lgkmcnt(0)
	s_add_u32 s2, s18, s2
	s_addc_u32 s3, s19, s3
	v_cmp_neq_f32_e64 s4, s0, 0
	s_and_b32 vcc_lo, exec_lo, s4
	s_mov_b32 s4, 0
	s_cbranch_vccnz .LBB188_7
; %bb.4:
	v_mad_u64_u32 v[10:11], null, v4, s8, 0
	s_lshl_b64 s[6:7], s[8:9], 6
	v_mul_f32_e32 v14, s1, v9
	v_mul_f32_e32 v15, s1, v8
	v_mul_f32_e32 v16, s1, v2
	v_mul_f32_e32 v17, s1, v3
	v_add3_u32 v11, v11, v6, v5
	v_lshlrev_b64 v[10:11], 2, v[10:11]
	v_add_co_u32 v10, vcc_lo, s2, v10
	v_add_co_ci_u32_e64 v11, null, s3, v11, vcc_lo
	v_add_co_u32 v12, vcc_lo, v10, s6
	v_add_co_ci_u32_e64 v13, null, s7, v11, vcc_lo
	;; [unrolled: 2-line block ×4, first 2 shown]
	flat_store_dword v[10:11], v14
	flat_store_dword v[10:11], v15 offset:64
	flat_store_dword v[12:13], v16
	flat_store_dword v[12:13], v17 offset:64
	s_andn2_b32 vcc_lo, exec_lo, s4
	s_cbranch_vccnz .LBB188_6
.LBB188_5:
	v_mul_lo_u32 v7, v7, s14
	v_mul_lo_u32 v12, v4, s15
	v_mad_u64_u32 v[10:11], null, v4, s14, 0
	s_lshl_b64 s[4:5], s[16:17], 2
	s_add_u32 s4, s12, s4
	s_addc_u32 s5, s13, s5
	v_add3_u32 v11, v11, v12, v7
	v_mad_u64_u32 v[12:13], null, v4, s8, 0
	v_lshlrev_b64 v[10:11], 2, v[10:11]
	v_add3_u32 v13, v13, v6, v5
	v_add_co_u32 v7, vcc_lo, s4, v10
	v_add_co_ci_u32_e64 v14, null, s5, v11, vcc_lo
	v_lshlrev_b64 v[4:5], 2, v[12:13]
	v_add_co_u32 v10, vcc_lo, v7, v0
	v_add_co_ci_u32_e64 v11, null, v14, v1, vcc_lo
	v_add_co_u32 v12, vcc_lo, s2, v4
	flat_load_dword v15, v[10:11]
	v_add_co_ci_u32_e64 v13, null, s3, v5, vcc_lo
	v_add_co_u32 v4, vcc_lo, v12, v0
	s_lshl_b64 s[2:3], s[14:15], 6
	v_add_co_ci_u32_e64 v5, null, v13, v1, vcc_lo
	s_waitcnt vmcnt(0) lgkmcnt(0)
	v_mul_f32_e32 v6, s0, v15
	v_fmac_f32_e32 v6, s1, v9
	flat_store_dword v[4:5], v6
	flat_load_dword v6, v[10:11] offset:64
	s_waitcnt vmcnt(0) lgkmcnt(0)
	v_mul_f32_e32 v9, s0, v6
	v_add_co_u32 v6, vcc_lo, v7, s2
	v_add_co_ci_u32_e64 v7, null, s3, v14, vcc_lo
	v_fmac_f32_e32 v9, s1, v8
	v_add_co_u32 v6, vcc_lo, v6, v0
	v_add_co_ci_u32_e64 v7, null, v7, v1, vcc_lo
	flat_store_dword v[4:5], v9 offset:64
	s_lshl_b64 s[2:3], s[8:9], 6
	flat_load_dword v4, v[6:7]
	v_add_co_u32 v5, vcc_lo, v12, s2
	v_add_co_ci_u32_e64 v8, null, s3, v13, vcc_lo
	v_add_co_u32 v0, vcc_lo, v5, v0
	v_add_co_ci_u32_e64 v1, null, v8, v1, vcc_lo
	s_waitcnt vmcnt(0) lgkmcnt(0)
	v_mul_f32_e32 v4, s0, v4
	v_fmac_f32_e32 v4, s1, v2
	flat_store_dword v[0:1], v4
	flat_load_dword v2, v[6:7] offset:64
	s_waitcnt vmcnt(0) lgkmcnt(0)
	v_mul_f32_e32 v2, s0, v2
	v_fmac_f32_e32 v2, s1, v3
	flat_store_dword v[0:1], v2 offset:64
.LBB188_6:
	s_endpgm
.LBB188_7:
	s_branch .LBB188_5
	.section	.rodata,"a",@progbits
	.p2align	6, 0x0
	.amdhsa_kernel _ZN12_GLOBAL__N_127rocblas_gemm_batched_kernelIfLi16ELi16ELi32ELi32ELi8ELi32ELi8ELi8ELi32ELc84ELc84EKPKfS3_KPfEEvlllT_PT11_llS8_llS6_PT12_llPT13_lli
		.amdhsa_group_segment_fixed_size 2048
		.amdhsa_private_segment_fixed_size 0
		.amdhsa_kernarg_size 140
		.amdhsa_user_sgpr_count 6
		.amdhsa_user_sgpr_private_segment_buffer 1
		.amdhsa_user_sgpr_dispatch_ptr 0
		.amdhsa_user_sgpr_queue_ptr 0
		.amdhsa_user_sgpr_kernarg_segment_ptr 1
		.amdhsa_user_sgpr_dispatch_id 0
		.amdhsa_user_sgpr_flat_scratch_init 0
		.amdhsa_user_sgpr_private_segment_size 0
		.amdhsa_wavefront_size32 1
		.amdhsa_uses_dynamic_stack 0
		.amdhsa_system_sgpr_private_segment_wavefront_offset 0
		.amdhsa_system_sgpr_workgroup_id_x 1
		.amdhsa_system_sgpr_workgroup_id_y 1
		.amdhsa_system_sgpr_workgroup_id_z 1
		.amdhsa_system_sgpr_workgroup_info 0
		.amdhsa_system_vgpr_workitem_id 1
		.amdhsa_next_free_vgpr 46
		.amdhsa_next_free_sgpr 36
		.amdhsa_reserve_vcc 1
		.amdhsa_reserve_flat_scratch 0
		.amdhsa_float_round_mode_32 0
		.amdhsa_float_round_mode_16_64 0
		.amdhsa_float_denorm_mode_32 3
		.amdhsa_float_denorm_mode_16_64 3
		.amdhsa_dx10_clamp 1
		.amdhsa_ieee_mode 1
		.amdhsa_fp16_overflow 0
		.amdhsa_workgroup_processor_mode 1
		.amdhsa_memory_ordered 1
		.amdhsa_forward_progress 1
		.amdhsa_shared_vgpr_count 0
		.amdhsa_exception_fp_ieee_invalid_op 0
		.amdhsa_exception_fp_denorm_src 0
		.amdhsa_exception_fp_ieee_div_zero 0
		.amdhsa_exception_fp_ieee_overflow 0
		.amdhsa_exception_fp_ieee_underflow 0
		.amdhsa_exception_fp_ieee_inexact 0
		.amdhsa_exception_int_div_zero 0
	.end_amdhsa_kernel
	.section	.text._ZN12_GLOBAL__N_127rocblas_gemm_batched_kernelIfLi16ELi16ELi32ELi32ELi8ELi32ELi8ELi8ELi32ELc84ELc84EKPKfS3_KPfEEvlllT_PT11_llS8_llS6_PT12_llPT13_lli,"axG",@progbits,_ZN12_GLOBAL__N_127rocblas_gemm_batched_kernelIfLi16ELi16ELi32ELi32ELi8ELi32ELi8ELi8ELi32ELc84ELc84EKPKfS3_KPfEEvlllT_PT11_llS8_llS6_PT12_llPT13_lli,comdat
.Lfunc_end188:
	.size	_ZN12_GLOBAL__N_127rocblas_gemm_batched_kernelIfLi16ELi16ELi32ELi32ELi8ELi32ELi8ELi8ELi32ELc84ELc84EKPKfS3_KPfEEvlllT_PT11_llS8_llS6_PT12_llPT13_lli, .Lfunc_end188-_ZN12_GLOBAL__N_127rocblas_gemm_batched_kernelIfLi16ELi16ELi32ELi32ELi8ELi32ELi8ELi8ELi32ELc84ELc84EKPKfS3_KPfEEvlllT_PT11_llS8_llS6_PT12_llPT13_lli
                                        ; -- End function
	.set _ZN12_GLOBAL__N_127rocblas_gemm_batched_kernelIfLi16ELi16ELi32ELi32ELi8ELi32ELi8ELi8ELi32ELc84ELc84EKPKfS3_KPfEEvlllT_PT11_llS8_llS6_PT12_llPT13_lli.num_vgpr, 46
	.set _ZN12_GLOBAL__N_127rocblas_gemm_batched_kernelIfLi16ELi16ELi32ELi32ELi8ELi32ELi8ELi8ELi32ELc84ELc84EKPKfS3_KPfEEvlllT_PT11_llS8_llS6_PT12_llPT13_lli.num_agpr, 0
	.set _ZN12_GLOBAL__N_127rocblas_gemm_batched_kernelIfLi16ELi16ELi32ELi32ELi8ELi32ELi8ELi8ELi32ELc84ELc84EKPKfS3_KPfEEvlllT_PT11_llS8_llS6_PT12_llPT13_lli.numbered_sgpr, 36
	.set _ZN12_GLOBAL__N_127rocblas_gemm_batched_kernelIfLi16ELi16ELi32ELi32ELi8ELi32ELi8ELi8ELi32ELc84ELc84EKPKfS3_KPfEEvlllT_PT11_llS8_llS6_PT12_llPT13_lli.num_named_barrier, 0
	.set _ZN12_GLOBAL__N_127rocblas_gemm_batched_kernelIfLi16ELi16ELi32ELi32ELi8ELi32ELi8ELi8ELi32ELc84ELc84EKPKfS3_KPfEEvlllT_PT11_llS8_llS6_PT12_llPT13_lli.private_seg_size, 0
	.set _ZN12_GLOBAL__N_127rocblas_gemm_batched_kernelIfLi16ELi16ELi32ELi32ELi8ELi32ELi8ELi8ELi32ELc84ELc84EKPKfS3_KPfEEvlllT_PT11_llS8_llS6_PT12_llPT13_lli.uses_vcc, 1
	.set _ZN12_GLOBAL__N_127rocblas_gemm_batched_kernelIfLi16ELi16ELi32ELi32ELi8ELi32ELi8ELi8ELi32ELc84ELc84EKPKfS3_KPfEEvlllT_PT11_llS8_llS6_PT12_llPT13_lli.uses_flat_scratch, 0
	.set _ZN12_GLOBAL__N_127rocblas_gemm_batched_kernelIfLi16ELi16ELi32ELi32ELi8ELi32ELi8ELi8ELi32ELc84ELc84EKPKfS3_KPfEEvlllT_PT11_llS8_llS6_PT12_llPT13_lli.has_dyn_sized_stack, 0
	.set _ZN12_GLOBAL__N_127rocblas_gemm_batched_kernelIfLi16ELi16ELi32ELi32ELi8ELi32ELi8ELi8ELi32ELc84ELc84EKPKfS3_KPfEEvlllT_PT11_llS8_llS6_PT12_llPT13_lli.has_recursion, 0
	.set _ZN12_GLOBAL__N_127rocblas_gemm_batched_kernelIfLi16ELi16ELi32ELi32ELi8ELi32ELi8ELi8ELi32ELc84ELc84EKPKfS3_KPfEEvlllT_PT11_llS8_llS6_PT12_llPT13_lli.has_indirect_call, 0
	.section	.AMDGPU.csdata,"",@progbits
; Kernel info:
; codeLenInByte = 1408
; TotalNumSgprs: 38
; NumVgprs: 46
; ScratchSize: 0
; MemoryBound: 0
; FloatMode: 240
; IeeeMode: 1
; LDSByteSize: 2048 bytes/workgroup (compile time only)
; SGPRBlocks: 0
; VGPRBlocks: 5
; NumSGPRsForWavesPerEU: 38
; NumVGPRsForWavesPerEU: 46
; Occupancy: 16
; WaveLimiterHint : 1
; COMPUTE_PGM_RSRC2:SCRATCH_EN: 0
; COMPUTE_PGM_RSRC2:USER_SGPR: 6
; COMPUTE_PGM_RSRC2:TRAP_HANDLER: 0
; COMPUTE_PGM_RSRC2:TGID_X_EN: 1
; COMPUTE_PGM_RSRC2:TGID_Y_EN: 1
; COMPUTE_PGM_RSRC2:TGID_Z_EN: 1
; COMPUTE_PGM_RSRC2:TIDIG_COMP_CNT: 1
	.section	.text._ZN12_GLOBAL__N_127rocblas_gemm_batched_kernelIfLi16ELi16ELi32ELi32ELi8ELi32ELi8ELi8ELi32ELc67ELc67EKPKfS3_KPfEEvlllT_PT11_llS8_llS6_PT12_llPT13_lli,"axG",@progbits,_ZN12_GLOBAL__N_127rocblas_gemm_batched_kernelIfLi16ELi16ELi32ELi32ELi8ELi32ELi8ELi8ELi32ELc67ELc67EKPKfS3_KPfEEvlllT_PT11_llS8_llS6_PT12_llPT13_lli,comdat
	.globl	_ZN12_GLOBAL__N_127rocblas_gemm_batched_kernelIfLi16ELi16ELi32ELi32ELi8ELi32ELi8ELi8ELi32ELc67ELc67EKPKfS3_KPfEEvlllT_PT11_llS8_llS6_PT12_llPT13_lli ; -- Begin function _ZN12_GLOBAL__N_127rocblas_gemm_batched_kernelIfLi16ELi16ELi32ELi32ELi8ELi32ELi8ELi8ELi32ELc67ELc67EKPKfS3_KPfEEvlllT_PT11_llS8_llS6_PT12_llPT13_lli
	.p2align	8
	.type	_ZN12_GLOBAL__N_127rocblas_gemm_batched_kernelIfLi16ELi16ELi32ELi32ELi8ELi32ELi8ELi8ELi32ELc67ELc67EKPKfS3_KPfEEvlllT_PT11_llS8_llS6_PT12_llPT13_lli,@function
_ZN12_GLOBAL__N_127rocblas_gemm_batched_kernelIfLi16ELi16ELi32ELi32ELi8ELi32ELi8ELi8ELi32ELc67ELc67EKPKfS3_KPfEEvlllT_PT11_llS8_llS6_PT12_llPT13_lli: ; @_ZN12_GLOBAL__N_127rocblas_gemm_batched_kernelIfLi16ELi16ELi32ELi32ELi8ELi32ELi8ELi8ELi32ELc67ELc67EKPKfS3_KPfEEvlllT_PT11_llS8_llS6_PT12_llPT13_lli
; %bb.0:
	s_clause 0x1
	s_load_dwordx8 s[12:19], s[4:5], 0x58
	s_load_dwordx2 s[28:29], s[4:5], 0x10
	s_mov_b32 s9, 0
	s_mov_b32 s0, s7
	s_lshl_b64 s[34:35], s[8:9], 3
	s_load_dwordx4 s[8:11], s[4:5], 0x78
	v_mov_b32_e32 v9, 0
	v_mov_b32_e32 v8, 0
	;; [unrolled: 1-line block ×4, first 2 shown]
	s_waitcnt lgkmcnt(0)
	s_add_u32 s2, s12, s34
	s_addc_u32 s3, s13, s35
	s_add_u32 s18, s18, s34
	s_addc_u32 s19, s19, s35
	s_load_dwordx2 s[12:13], s[2:3], 0x0
	s_load_dwordx2 s[18:19], s[18:19], 0x0
	v_cmp_lt_i64_e64 s2, s[28:29], 1
	s_ashr_i32 s7, s6, 31
	s_ashr_i32 s1, s0, 31
	s_lshl_b64 s[6:7], s[6:7], 5
	s_lshl_b64 s[30:31], s[0:1], 5
	s_and_b32 vcc_lo, exec_lo, s2
	s_cbranch_vccnz .LBB189_3
; %bb.1:
	s_clause 0x1
	s_load_dwordx8 s[20:27], s[4:5], 0x20
	s_load_dwordx4 s[0:3], s[4:5], 0x40
	v_lshl_add_u32 v8, v1, 4, v0
	v_and_b32_e32 v9, 7, v0
	v_mov_b32_e32 v3, 0
	v_lshlrev_b32_e32 v10, 2, v0
	v_and_b32_e32 v11, 31, v8
	v_lshrrev_b32_e32 v2, 3, v8
	v_lshlrev_b32_e32 v12, 2, v9
	v_lshrrev_b32_e32 v8, 5, v8
	v_add_co_u32 v6, s33, s6, v11
	v_add_co_ci_u32_e64 v7, null, s7, 0, s33
	v_lshlrev_b32_e32 v15, 2, v11
	v_lshl_or_b32 v16, v2, 5, v12
	v_lshlrev_b32_e32 v17, 2, v8
	v_lshl_add_u32 v11, v1, 5, 0x400
	s_waitcnt lgkmcnt(0)
	s_add_u32 s20, s20, s34
	s_addc_u32 s21, s21, s35
	s_add_u32 s26, s26, s34
	s_addc_u32 s27, s27, s35
	v_mad_u64_u32 v[4:5], null, s0, v9, v[2:3]
	s_load_dwordx2 s[26:27], s[26:27], 0x0
	v_mul_lo_u32 v13, s23, v6
	v_mul_lo_u32 v14, s22, v7
	v_mad_u64_u32 v[6:7], null, s22, v6, 0
	v_lshl_or_b32 v12, v8, 7, v15
	v_mov_b32_e32 v2, v5
	s_load_dwordx2 s[20:21], s[20:21], 0x0
	s_lshl_b64 s[2:3], s[2:3], 2
	v_add3_u32 v7, v7, v14, v13
	v_mad_u64_u32 v[8:9], null, s1, v9, v[2:3]
	v_add_nc_u32_e32 v13, 0x400, v16
	v_mov_b32_e32 v9, v3
	v_lshlrev_b64 v[5:6], 2, v[6:7]
	v_add_co_u32 v7, vcc_lo, v4, s30
	v_add_co_ci_u32_e64 v8, null, s31, v8, vcc_lo
	s_waitcnt lgkmcnt(0)
	s_add_u32 s22, s26, s2
	s_addc_u32 s23, s27, s3
	s_lshl_b64 s[2:3], s[24:25], 2
	v_add_co_u32 v2, vcc_lo, v5, s2
	v_add_co_ci_u32_e64 v6, null, s3, v6, vcc_lo
	v_lshlrev_b64 v[4:5], 2, v[7:8]
	v_add_co_u32 v2, vcc_lo, v2, v17
	v_add_co_ci_u32_e64 v7, null, 0, v6, vcc_lo
	v_mov_b32_e32 v8, v3
	v_add_co_u32 v4, vcc_lo, s22, v4
	v_add_co_ci_u32_e64 v5, null, s23, v5, vcc_lo
	v_add_co_u32 v6, vcc_lo, s20, v2
	v_add_co_ci_u32_e64 v7, null, s21, v7, vcc_lo
	v_mov_b32_e32 v2, v3
	s_lshl_b64 s[2:3], s[0:1], 5
	s_mov_b64 s[20:21], 0
.LBB189_2:                              ; =>This Inner Loop Header: Depth=1
	flat_load_dword v14, v[6:7]
	s_add_u32 s20, s20, 8
	s_addc_u32 s21, s21, 0
	v_add_co_u32 v6, vcc_lo, v6, 32
	v_cmp_lt_i64_e64 s0, s[20:21], s[28:29]
	v_add_co_ci_u32_e64 v7, null, 0, v7, vcc_lo
	s_and_b32 vcc_lo, exec_lo, s0
	s_waitcnt vmcnt(0) lgkmcnt(0)
	ds_write_b32 v12, v14
	flat_load_dword v14, v[4:5]
	v_add_co_u32 v4, s0, v4, s2
	v_add_co_ci_u32_e64 v5, null, s3, v5, s0
	s_waitcnt vmcnt(0) lgkmcnt(0)
	ds_write_b32 v13, v14
	s_waitcnt lgkmcnt(0)
	s_barrier
	buffer_gl0_inv
	ds_read_b128 v[14:17], v11
	ds_read2_b32 v[30:31], v10 offset1:16
	ds_read_b128 v[18:21], v11 offset:512
	ds_read2_b32 v[32:33], v10 offset0:32 offset1:48
	ds_read2_b32 v[34:35], v10 offset0:64 offset1:80
	ds_read_b128 v[22:25], v11 offset:16
	ds_read2_b32 v[36:37], v10 offset0:96 offset1:112
	ds_read2_b32 v[38:39], v10 offset0:128 offset1:144
	;; [unrolled: 3-line block ×3, first 2 shown]
	ds_read2_b32 v[44:45], v10 offset0:224 offset1:240
	s_waitcnt lgkmcnt(0)
	s_barrier
	buffer_gl0_inv
	v_fmac_f32_e32 v9, v30, v14
	v_fmac_f32_e32 v8, v31, v14
	;; [unrolled: 1-line block ×32, first 2 shown]
	s_cbranch_vccnz .LBB189_2
.LBB189_3:
	s_clause 0x1
	s_load_dword s0, s[4:5], 0x50
	s_load_dword s1, s[4:5], 0x18
	v_add_co_u32 v4, s4, s30, v1
	v_add_co_ci_u32_e64 v7, null, s31, 0, s4
	v_add_co_u32 v0, s4, s6, v0
	v_add_co_ci_u32_e64 v1, null, s7, 0, s4
	v_mul_lo_u32 v5, v7, s8
	v_mul_lo_u32 v6, v4, s9
	s_lshl_b64 s[2:3], s[10:11], 2
	v_lshlrev_b64 v[0:1], 2, v[0:1]
	s_waitcnt lgkmcnt(0)
	s_add_u32 s2, s18, s2
	s_addc_u32 s3, s19, s3
	v_cmp_neq_f32_e64 s4, s0, 0
	s_and_b32 vcc_lo, exec_lo, s4
	s_mov_b32 s4, 0
	s_cbranch_vccnz .LBB189_7
; %bb.4:
	v_mad_u64_u32 v[10:11], null, v4, s8, 0
	s_lshl_b64 s[6:7], s[8:9], 6
	v_mul_f32_e32 v14, s1, v9
	v_mul_f32_e32 v15, s1, v8
	;; [unrolled: 1-line block ×4, first 2 shown]
	v_add3_u32 v11, v11, v6, v5
	v_lshlrev_b64 v[10:11], 2, v[10:11]
	v_add_co_u32 v10, vcc_lo, s2, v10
	v_add_co_ci_u32_e64 v11, null, s3, v11, vcc_lo
	v_add_co_u32 v12, vcc_lo, v10, s6
	v_add_co_ci_u32_e64 v13, null, s7, v11, vcc_lo
	;; [unrolled: 2-line block ×4, first 2 shown]
	flat_store_dword v[10:11], v14
	flat_store_dword v[10:11], v15 offset:64
	flat_store_dword v[12:13], v16
	flat_store_dword v[12:13], v17 offset:64
	s_andn2_b32 vcc_lo, exec_lo, s4
	s_cbranch_vccnz .LBB189_6
.LBB189_5:
	v_mul_lo_u32 v7, v7, s14
	v_mul_lo_u32 v12, v4, s15
	v_mad_u64_u32 v[10:11], null, v4, s14, 0
	s_lshl_b64 s[4:5], s[16:17], 2
	s_add_u32 s4, s12, s4
	s_addc_u32 s5, s13, s5
	v_add3_u32 v11, v11, v12, v7
	v_mad_u64_u32 v[12:13], null, v4, s8, 0
	v_lshlrev_b64 v[10:11], 2, v[10:11]
	v_add3_u32 v13, v13, v6, v5
	v_add_co_u32 v7, vcc_lo, s4, v10
	v_add_co_ci_u32_e64 v14, null, s5, v11, vcc_lo
	v_lshlrev_b64 v[4:5], 2, v[12:13]
	v_add_co_u32 v10, vcc_lo, v7, v0
	v_add_co_ci_u32_e64 v11, null, v14, v1, vcc_lo
	v_add_co_u32 v12, vcc_lo, s2, v4
	flat_load_dword v15, v[10:11]
	v_add_co_ci_u32_e64 v13, null, s3, v5, vcc_lo
	v_add_co_u32 v4, vcc_lo, v12, v0
	s_lshl_b64 s[2:3], s[14:15], 6
	v_add_co_ci_u32_e64 v5, null, v13, v1, vcc_lo
	s_waitcnt vmcnt(0) lgkmcnt(0)
	v_mul_f32_e32 v6, s0, v15
	v_fmac_f32_e32 v6, s1, v9
	flat_store_dword v[4:5], v6
	flat_load_dword v6, v[10:11] offset:64
	s_waitcnt vmcnt(0) lgkmcnt(0)
	v_mul_f32_e32 v9, s0, v6
	v_add_co_u32 v6, vcc_lo, v7, s2
	v_add_co_ci_u32_e64 v7, null, s3, v14, vcc_lo
	v_fmac_f32_e32 v9, s1, v8
	v_add_co_u32 v6, vcc_lo, v6, v0
	v_add_co_ci_u32_e64 v7, null, v7, v1, vcc_lo
	flat_store_dword v[4:5], v9 offset:64
	s_lshl_b64 s[2:3], s[8:9], 6
	flat_load_dword v4, v[6:7]
	v_add_co_u32 v5, vcc_lo, v12, s2
	v_add_co_ci_u32_e64 v8, null, s3, v13, vcc_lo
	v_add_co_u32 v0, vcc_lo, v5, v0
	v_add_co_ci_u32_e64 v1, null, v8, v1, vcc_lo
	s_waitcnt vmcnt(0) lgkmcnt(0)
	v_mul_f32_e32 v4, s0, v4
	v_fmac_f32_e32 v4, s1, v2
	flat_store_dword v[0:1], v4
	flat_load_dword v2, v[6:7] offset:64
	s_waitcnt vmcnt(0) lgkmcnt(0)
	v_mul_f32_e32 v2, s0, v2
	v_fmac_f32_e32 v2, s1, v3
	flat_store_dword v[0:1], v2 offset:64
.LBB189_6:
	s_endpgm
.LBB189_7:
	s_branch .LBB189_5
	.section	.rodata,"a",@progbits
	.p2align	6, 0x0
	.amdhsa_kernel _ZN12_GLOBAL__N_127rocblas_gemm_batched_kernelIfLi16ELi16ELi32ELi32ELi8ELi32ELi8ELi8ELi32ELc67ELc67EKPKfS3_KPfEEvlllT_PT11_llS8_llS6_PT12_llPT13_lli
		.amdhsa_group_segment_fixed_size 2048
		.amdhsa_private_segment_fixed_size 0
		.amdhsa_kernarg_size 140
		.amdhsa_user_sgpr_count 6
		.amdhsa_user_sgpr_private_segment_buffer 1
		.amdhsa_user_sgpr_dispatch_ptr 0
		.amdhsa_user_sgpr_queue_ptr 0
		.amdhsa_user_sgpr_kernarg_segment_ptr 1
		.amdhsa_user_sgpr_dispatch_id 0
		.amdhsa_user_sgpr_flat_scratch_init 0
		.amdhsa_user_sgpr_private_segment_size 0
		.amdhsa_wavefront_size32 1
		.amdhsa_uses_dynamic_stack 0
		.amdhsa_system_sgpr_private_segment_wavefront_offset 0
		.amdhsa_system_sgpr_workgroup_id_x 1
		.amdhsa_system_sgpr_workgroup_id_y 1
		.amdhsa_system_sgpr_workgroup_id_z 1
		.amdhsa_system_sgpr_workgroup_info 0
		.amdhsa_system_vgpr_workitem_id 1
		.amdhsa_next_free_vgpr 46
		.amdhsa_next_free_sgpr 36
		.amdhsa_reserve_vcc 1
		.amdhsa_reserve_flat_scratch 0
		.amdhsa_float_round_mode_32 0
		.amdhsa_float_round_mode_16_64 0
		.amdhsa_float_denorm_mode_32 3
		.amdhsa_float_denorm_mode_16_64 3
		.amdhsa_dx10_clamp 1
		.amdhsa_ieee_mode 1
		.amdhsa_fp16_overflow 0
		.amdhsa_workgroup_processor_mode 1
		.amdhsa_memory_ordered 1
		.amdhsa_forward_progress 1
		.amdhsa_shared_vgpr_count 0
		.amdhsa_exception_fp_ieee_invalid_op 0
		.amdhsa_exception_fp_denorm_src 0
		.amdhsa_exception_fp_ieee_div_zero 0
		.amdhsa_exception_fp_ieee_overflow 0
		.amdhsa_exception_fp_ieee_underflow 0
		.amdhsa_exception_fp_ieee_inexact 0
		.amdhsa_exception_int_div_zero 0
	.end_amdhsa_kernel
	.section	.text._ZN12_GLOBAL__N_127rocblas_gemm_batched_kernelIfLi16ELi16ELi32ELi32ELi8ELi32ELi8ELi8ELi32ELc67ELc67EKPKfS3_KPfEEvlllT_PT11_llS8_llS6_PT12_llPT13_lli,"axG",@progbits,_ZN12_GLOBAL__N_127rocblas_gemm_batched_kernelIfLi16ELi16ELi32ELi32ELi8ELi32ELi8ELi8ELi32ELc67ELc67EKPKfS3_KPfEEvlllT_PT11_llS8_llS6_PT12_llPT13_lli,comdat
.Lfunc_end189:
	.size	_ZN12_GLOBAL__N_127rocblas_gemm_batched_kernelIfLi16ELi16ELi32ELi32ELi8ELi32ELi8ELi8ELi32ELc67ELc67EKPKfS3_KPfEEvlllT_PT11_llS8_llS6_PT12_llPT13_lli, .Lfunc_end189-_ZN12_GLOBAL__N_127rocblas_gemm_batched_kernelIfLi16ELi16ELi32ELi32ELi8ELi32ELi8ELi8ELi32ELc67ELc67EKPKfS3_KPfEEvlllT_PT11_llS8_llS6_PT12_llPT13_lli
                                        ; -- End function
	.set _ZN12_GLOBAL__N_127rocblas_gemm_batched_kernelIfLi16ELi16ELi32ELi32ELi8ELi32ELi8ELi8ELi32ELc67ELc67EKPKfS3_KPfEEvlllT_PT11_llS8_llS6_PT12_llPT13_lli.num_vgpr, 46
	.set _ZN12_GLOBAL__N_127rocblas_gemm_batched_kernelIfLi16ELi16ELi32ELi32ELi8ELi32ELi8ELi8ELi32ELc67ELc67EKPKfS3_KPfEEvlllT_PT11_llS8_llS6_PT12_llPT13_lli.num_agpr, 0
	.set _ZN12_GLOBAL__N_127rocblas_gemm_batched_kernelIfLi16ELi16ELi32ELi32ELi8ELi32ELi8ELi8ELi32ELc67ELc67EKPKfS3_KPfEEvlllT_PT11_llS8_llS6_PT12_llPT13_lli.numbered_sgpr, 36
	.set _ZN12_GLOBAL__N_127rocblas_gemm_batched_kernelIfLi16ELi16ELi32ELi32ELi8ELi32ELi8ELi8ELi32ELc67ELc67EKPKfS3_KPfEEvlllT_PT11_llS8_llS6_PT12_llPT13_lli.num_named_barrier, 0
	.set _ZN12_GLOBAL__N_127rocblas_gemm_batched_kernelIfLi16ELi16ELi32ELi32ELi8ELi32ELi8ELi8ELi32ELc67ELc67EKPKfS3_KPfEEvlllT_PT11_llS8_llS6_PT12_llPT13_lli.private_seg_size, 0
	.set _ZN12_GLOBAL__N_127rocblas_gemm_batched_kernelIfLi16ELi16ELi32ELi32ELi8ELi32ELi8ELi8ELi32ELc67ELc67EKPKfS3_KPfEEvlllT_PT11_llS8_llS6_PT12_llPT13_lli.uses_vcc, 1
	.set _ZN12_GLOBAL__N_127rocblas_gemm_batched_kernelIfLi16ELi16ELi32ELi32ELi8ELi32ELi8ELi8ELi32ELc67ELc67EKPKfS3_KPfEEvlllT_PT11_llS8_llS6_PT12_llPT13_lli.uses_flat_scratch, 0
	.set _ZN12_GLOBAL__N_127rocblas_gemm_batched_kernelIfLi16ELi16ELi32ELi32ELi8ELi32ELi8ELi8ELi32ELc67ELc67EKPKfS3_KPfEEvlllT_PT11_llS8_llS6_PT12_llPT13_lli.has_dyn_sized_stack, 0
	.set _ZN12_GLOBAL__N_127rocblas_gemm_batched_kernelIfLi16ELi16ELi32ELi32ELi8ELi32ELi8ELi8ELi32ELc67ELc67EKPKfS3_KPfEEvlllT_PT11_llS8_llS6_PT12_llPT13_lli.has_recursion, 0
	.set _ZN12_GLOBAL__N_127rocblas_gemm_batched_kernelIfLi16ELi16ELi32ELi32ELi8ELi32ELi8ELi8ELi32ELc67ELc67EKPKfS3_KPfEEvlllT_PT11_llS8_llS6_PT12_llPT13_lli.has_indirect_call, 0
	.section	.AMDGPU.csdata,"",@progbits
; Kernel info:
; codeLenInByte = 1408
; TotalNumSgprs: 38
; NumVgprs: 46
; ScratchSize: 0
; MemoryBound: 0
; FloatMode: 240
; IeeeMode: 1
; LDSByteSize: 2048 bytes/workgroup (compile time only)
; SGPRBlocks: 0
; VGPRBlocks: 5
; NumSGPRsForWavesPerEU: 38
; NumVGPRsForWavesPerEU: 46
; Occupancy: 16
; WaveLimiterHint : 1
; COMPUTE_PGM_RSRC2:SCRATCH_EN: 0
; COMPUTE_PGM_RSRC2:USER_SGPR: 6
; COMPUTE_PGM_RSRC2:TRAP_HANDLER: 0
; COMPUTE_PGM_RSRC2:TGID_X_EN: 1
; COMPUTE_PGM_RSRC2:TGID_Y_EN: 1
; COMPUTE_PGM_RSRC2:TGID_Z_EN: 1
; COMPUTE_PGM_RSRC2:TIDIG_COMP_CNT: 1
	.section	.text._ZN12_GLOBAL__N_127rocblas_gemm_batched_kernelIfLi16ELi16ELi32ELi32ELi8ELi32ELi8ELi8ELi32ELc67ELc78EKPKfS3_KPfEEvlllT_PT11_llS8_llS6_PT12_llPT13_lli,"axG",@progbits,_ZN12_GLOBAL__N_127rocblas_gemm_batched_kernelIfLi16ELi16ELi32ELi32ELi8ELi32ELi8ELi8ELi32ELc67ELc78EKPKfS3_KPfEEvlllT_PT11_llS8_llS6_PT12_llPT13_lli,comdat
	.globl	_ZN12_GLOBAL__N_127rocblas_gemm_batched_kernelIfLi16ELi16ELi32ELi32ELi8ELi32ELi8ELi8ELi32ELc67ELc78EKPKfS3_KPfEEvlllT_PT11_llS8_llS6_PT12_llPT13_lli ; -- Begin function _ZN12_GLOBAL__N_127rocblas_gemm_batched_kernelIfLi16ELi16ELi32ELi32ELi8ELi32ELi8ELi8ELi32ELc67ELc78EKPKfS3_KPfEEvlllT_PT11_llS8_llS6_PT12_llPT13_lli
	.p2align	8
	.type	_ZN12_GLOBAL__N_127rocblas_gemm_batched_kernelIfLi16ELi16ELi32ELi32ELi8ELi32ELi8ELi8ELi32ELc67ELc78EKPKfS3_KPfEEvlllT_PT11_llS8_llS6_PT12_llPT13_lli,@function
_ZN12_GLOBAL__N_127rocblas_gemm_batched_kernelIfLi16ELi16ELi32ELi32ELi8ELi32ELi8ELi8ELi32ELc67ELc78EKPKfS3_KPfEEvlllT_PT11_llS8_llS6_PT12_llPT13_lli: ; @_ZN12_GLOBAL__N_127rocblas_gemm_batched_kernelIfLi16ELi16ELi32ELi32ELi8ELi32ELi8ELi8ELi32ELc67ELc78EKPKfS3_KPfEEvlllT_PT11_llS8_llS6_PT12_llPT13_lli
; %bb.0:
	s_clause 0x1
	s_load_dwordx8 s[12:19], s[4:5], 0x58
	s_load_dwordx2 s[28:29], s[4:5], 0x10
	s_mov_b32 s9, 0
	s_mov_b32 s0, s7
	s_lshl_b64 s[34:35], s[8:9], 3
	s_load_dwordx4 s[8:11], s[4:5], 0x78
	v_mov_b32_e32 v9, 0
	v_mov_b32_e32 v8, 0
	;; [unrolled: 1-line block ×4, first 2 shown]
	s_waitcnt lgkmcnt(0)
	s_add_u32 s2, s12, s34
	s_addc_u32 s3, s13, s35
	s_add_u32 s18, s18, s34
	s_addc_u32 s19, s19, s35
	s_load_dwordx2 s[12:13], s[2:3], 0x0
	s_load_dwordx2 s[18:19], s[18:19], 0x0
	v_cmp_lt_i64_e64 s2, s[28:29], 1
	s_ashr_i32 s7, s6, 31
	s_ashr_i32 s1, s0, 31
	s_lshl_b64 s[6:7], s[6:7], 5
	s_lshl_b64 s[30:31], s[0:1], 5
	s_and_b32 vcc_lo, exec_lo, s2
	s_cbranch_vccnz .LBB190_3
; %bb.1:
	s_clause 0x1
	s_load_dwordx8 s[20:27], s[4:5], 0x20
	s_load_dwordx4 s[0:3], s[4:5], 0x40
	v_lshl_add_u32 v2, v1, 4, v0
	v_and_b32_e32 v3, 7, v0
	v_lshrrev_b32_e32 v6, 3, v2
	v_and_b32_e32 v7, 31, v2
	v_lshrrev_b32_e32 v8, 5, v2
	v_lshlrev_b32_e32 v9, 2, v3
	v_add_co_u32 v2, s33, v6, s30
	v_add_co_ci_u32_e64 v3, null, 0, s31, s33
	v_add_co_u32 v4, s33, s6, v7
	v_add_co_ci_u32_e64 v5, null, s7, 0, s33
	s_waitcnt lgkmcnt(0)
	s_add_u32 s20, s20, s34
	v_mul_lo_u32 v10, s1, v2
	v_mul_lo_u32 v11, s0, v3
	v_mad_u64_u32 v[2:3], null, s0, v2, 0
	v_mul_lo_u32 v12, s23, v4
	v_mul_lo_u32 v13, s22, v5
	v_mad_u64_u32 v[4:5], null, s22, v4, 0
	s_addc_u32 s21, s21, s35
	s_add_u32 s26, s26, s34
	v_add3_u32 v3, v3, v11, v10
	s_addc_u32 s27, s27, s35
	s_load_dwordx2 s[20:21], s[20:21], 0x0
	s_load_dwordx2 s[0:1], s[26:27], 0x0
	v_add3_u32 v5, v5, v13, v12
	v_lshlrev_b64 v[2:3], 2, v[2:3]
	s_lshl_b64 s[2:3], s[2:3], 2
	v_lshlrev_b32_e32 v7, 2, v7
	v_lshl_or_b32 v14, v6, 5, v9
	v_lshlrev_b64 v[4:5], 2, v[4:5]
	v_mov_b32_e32 v6, 0
	v_add_co_u32 v2, vcc_lo, v2, s2
	v_add_co_ci_u32_e64 v3, null, s3, v3, vcc_lo
	s_lshl_b64 s[2:3], s[24:25], 2
	v_lshl_or_b32 v10, v8, 7, v7
	v_add_co_u32 v4, vcc_lo, v4, s2
	v_lshlrev_b32_e32 v7, 2, v8
	v_add_co_ci_u32_e64 v5, null, s3, v5, vcc_lo
	v_add_co_u32 v2, vcc_lo, v2, v9
	v_add_co_ci_u32_e64 v3, null, 0, v3, vcc_lo
	v_add_co_u32 v4, vcc_lo, v4, v7
	v_add_co_ci_u32_e64 v5, null, 0, v5, vcc_lo
	s_waitcnt lgkmcnt(0)
	v_add_co_u32 v2, vcc_lo, s0, v2
	v_add_co_ci_u32_e64 v3, null, s1, v3, vcc_lo
	v_add_co_u32 v4, vcc_lo, s20, v4
	v_add_nc_u32_e32 v11, 0x400, v14
	v_lshlrev_b32_e32 v12, 2, v0
	v_lshl_add_u32 v13, v1, 5, 0x400
	v_add_co_ci_u32_e64 v5, null, s21, v5, vcc_lo
	v_mov_b32_e32 v7, 0
	v_mov_b32_e32 v8, 0
	;; [unrolled: 1-line block ×3, first 2 shown]
	s_mov_b64 s[2:3], 0
.LBB190_2:                              ; =>This Inner Loop Header: Depth=1
	flat_load_dword v14, v[4:5]
	s_add_u32 s2, s2, 8
	s_addc_u32 s3, s3, 0
	v_add_co_u32 v4, vcc_lo, v4, 32
	v_cmp_lt_i64_e64 s0, s[2:3], s[28:29]
	v_add_co_ci_u32_e64 v5, null, 0, v5, vcc_lo
	s_and_b32 vcc_lo, exec_lo, s0
	s_waitcnt vmcnt(0) lgkmcnt(0)
	ds_write_b32 v10, v14
	flat_load_dword v14, v[2:3]
	v_add_co_u32 v2, s0, v2, 32
	v_add_co_ci_u32_e64 v3, null, 0, v3, s0
	s_waitcnt vmcnt(0) lgkmcnt(0)
	ds_write_b32 v11, v14
	s_waitcnt lgkmcnt(0)
	s_barrier
	buffer_gl0_inv
	ds_read_b128 v[14:17], v13
	ds_read2_b32 v[30:31], v12 offset1:16
	ds_read_b128 v[18:21], v13 offset:512
	ds_read2_b32 v[32:33], v12 offset0:32 offset1:48
	ds_read2_b32 v[34:35], v12 offset0:64 offset1:80
	ds_read_b128 v[22:25], v13 offset:16
	ds_read2_b32 v[36:37], v12 offset0:96 offset1:112
	ds_read2_b32 v[38:39], v12 offset0:128 offset1:144
	;; [unrolled: 3-line block ×3, first 2 shown]
	ds_read2_b32 v[44:45], v12 offset0:224 offset1:240
	s_waitcnt lgkmcnt(0)
	s_barrier
	buffer_gl0_inv
	v_fmac_f32_e32 v9, v30, v14
	v_fmac_f32_e32 v8, v31, v14
	;; [unrolled: 1-line block ×32, first 2 shown]
	s_cbranch_vccnz .LBB190_2
.LBB190_3:
	s_clause 0x1
	s_load_dword s0, s[4:5], 0x50
	s_load_dword s1, s[4:5], 0x18
	v_add_co_u32 v2, s4, s30, v1
	v_add_co_ci_u32_e64 v5, null, s31, 0, s4
	v_add_co_u32 v0, s4, s6, v0
	v_add_co_ci_u32_e64 v1, null, s7, 0, s4
	v_mul_lo_u32 v3, v5, s8
	v_mul_lo_u32 v4, v2, s9
	s_lshl_b64 s[2:3], s[10:11], 2
	v_lshlrev_b64 v[0:1], 2, v[0:1]
	s_waitcnt lgkmcnt(0)
	s_add_u32 s2, s18, s2
	s_addc_u32 s3, s19, s3
	v_cmp_neq_f32_e64 s4, s0, 0
	s_and_b32 vcc_lo, exec_lo, s4
	s_mov_b32 s4, 0
	s_cbranch_vccnz .LBB190_7
; %bb.4:
	v_mad_u64_u32 v[10:11], null, v2, s8, 0
	s_lshl_b64 s[6:7], s[8:9], 6
	v_mul_f32_e32 v14, s1, v9
	v_mul_f32_e32 v15, s1, v8
	;; [unrolled: 1-line block ×4, first 2 shown]
	v_add3_u32 v11, v11, v4, v3
	v_lshlrev_b64 v[10:11], 2, v[10:11]
	v_add_co_u32 v10, vcc_lo, s2, v10
	v_add_co_ci_u32_e64 v11, null, s3, v11, vcc_lo
	v_add_co_u32 v12, vcc_lo, v10, s6
	v_add_co_ci_u32_e64 v13, null, s7, v11, vcc_lo
	;; [unrolled: 2-line block ×4, first 2 shown]
	flat_store_dword v[10:11], v14
	flat_store_dword v[10:11], v15 offset:64
	flat_store_dword v[12:13], v16
	flat_store_dword v[12:13], v17 offset:64
	s_andn2_b32 vcc_lo, exec_lo, s4
	s_cbranch_vccnz .LBB190_6
.LBB190_5:
	v_mul_lo_u32 v5, v5, s14
	v_mul_lo_u32 v12, v2, s15
	v_mad_u64_u32 v[10:11], null, v2, s14, 0
	s_lshl_b64 s[4:5], s[16:17], 2
	s_add_u32 s4, s12, s4
	s_addc_u32 s5, s13, s5
	v_add3_u32 v11, v11, v12, v5
	v_mad_u64_u32 v[12:13], null, v2, s8, 0
	v_lshlrev_b64 v[10:11], 2, v[10:11]
	v_add3_u32 v13, v13, v4, v3
	v_add_co_u32 v5, vcc_lo, s4, v10
	v_add_co_ci_u32_e64 v14, null, s5, v11, vcc_lo
	v_lshlrev_b64 v[2:3], 2, v[12:13]
	v_add_co_u32 v10, vcc_lo, v5, v0
	v_add_co_ci_u32_e64 v11, null, v14, v1, vcc_lo
	v_add_co_u32 v12, vcc_lo, s2, v2
	flat_load_dword v15, v[10:11]
	v_add_co_ci_u32_e64 v13, null, s3, v3, vcc_lo
	v_add_co_u32 v2, vcc_lo, v12, v0
	s_lshl_b64 s[2:3], s[14:15], 6
	v_add_co_ci_u32_e64 v3, null, v13, v1, vcc_lo
	s_waitcnt vmcnt(0) lgkmcnt(0)
	v_mul_f32_e32 v4, s0, v15
	v_fmac_f32_e32 v4, s1, v9
	flat_store_dword v[2:3], v4
	flat_load_dword v4, v[10:11] offset:64
	s_waitcnt vmcnt(0) lgkmcnt(0)
	v_mul_f32_e32 v9, s0, v4
	v_add_co_u32 v4, vcc_lo, v5, s2
	v_add_co_ci_u32_e64 v5, null, s3, v14, vcc_lo
	v_fmac_f32_e32 v9, s1, v8
	v_add_co_u32 v4, vcc_lo, v4, v0
	v_add_co_ci_u32_e64 v5, null, v5, v1, vcc_lo
	flat_store_dword v[2:3], v9 offset:64
	s_lshl_b64 s[2:3], s[8:9], 6
	flat_load_dword v2, v[4:5]
	v_add_co_u32 v3, vcc_lo, v12, s2
	v_add_co_ci_u32_e64 v8, null, s3, v13, vcc_lo
	v_add_co_u32 v0, vcc_lo, v3, v0
	v_add_co_ci_u32_e64 v1, null, v8, v1, vcc_lo
	s_waitcnt vmcnt(0) lgkmcnt(0)
	v_mul_f32_e32 v2, s0, v2
	v_fmac_f32_e32 v2, s1, v7
	flat_store_dword v[0:1], v2
	flat_load_dword v2, v[4:5] offset:64
	s_waitcnt vmcnt(0) lgkmcnt(0)
	v_mul_f32_e32 v2, s0, v2
	v_fmac_f32_e32 v2, s1, v6
	flat_store_dword v[0:1], v2 offset:64
.LBB190_6:
	s_endpgm
.LBB190_7:
	s_branch .LBB190_5
	.section	.rodata,"a",@progbits
	.p2align	6, 0x0
	.amdhsa_kernel _ZN12_GLOBAL__N_127rocblas_gemm_batched_kernelIfLi16ELi16ELi32ELi32ELi8ELi32ELi8ELi8ELi32ELc67ELc78EKPKfS3_KPfEEvlllT_PT11_llS8_llS6_PT12_llPT13_lli
		.amdhsa_group_segment_fixed_size 2048
		.amdhsa_private_segment_fixed_size 0
		.amdhsa_kernarg_size 140
		.amdhsa_user_sgpr_count 6
		.amdhsa_user_sgpr_private_segment_buffer 1
		.amdhsa_user_sgpr_dispatch_ptr 0
		.amdhsa_user_sgpr_queue_ptr 0
		.amdhsa_user_sgpr_kernarg_segment_ptr 1
		.amdhsa_user_sgpr_dispatch_id 0
		.amdhsa_user_sgpr_flat_scratch_init 0
		.amdhsa_user_sgpr_private_segment_size 0
		.amdhsa_wavefront_size32 1
		.amdhsa_uses_dynamic_stack 0
		.amdhsa_system_sgpr_private_segment_wavefront_offset 0
		.amdhsa_system_sgpr_workgroup_id_x 1
		.amdhsa_system_sgpr_workgroup_id_y 1
		.amdhsa_system_sgpr_workgroup_id_z 1
		.amdhsa_system_sgpr_workgroup_info 0
		.amdhsa_system_vgpr_workitem_id 1
		.amdhsa_next_free_vgpr 46
		.amdhsa_next_free_sgpr 36
		.amdhsa_reserve_vcc 1
		.amdhsa_reserve_flat_scratch 0
		.amdhsa_float_round_mode_32 0
		.amdhsa_float_round_mode_16_64 0
		.amdhsa_float_denorm_mode_32 3
		.amdhsa_float_denorm_mode_16_64 3
		.amdhsa_dx10_clamp 1
		.amdhsa_ieee_mode 1
		.amdhsa_fp16_overflow 0
		.amdhsa_workgroup_processor_mode 1
		.amdhsa_memory_ordered 1
		.amdhsa_forward_progress 1
		.amdhsa_shared_vgpr_count 0
		.amdhsa_exception_fp_ieee_invalid_op 0
		.amdhsa_exception_fp_denorm_src 0
		.amdhsa_exception_fp_ieee_div_zero 0
		.amdhsa_exception_fp_ieee_overflow 0
		.amdhsa_exception_fp_ieee_underflow 0
		.amdhsa_exception_fp_ieee_inexact 0
		.amdhsa_exception_int_div_zero 0
	.end_amdhsa_kernel
	.section	.text._ZN12_GLOBAL__N_127rocblas_gemm_batched_kernelIfLi16ELi16ELi32ELi32ELi8ELi32ELi8ELi8ELi32ELc67ELc78EKPKfS3_KPfEEvlllT_PT11_llS8_llS6_PT12_llPT13_lli,"axG",@progbits,_ZN12_GLOBAL__N_127rocblas_gemm_batched_kernelIfLi16ELi16ELi32ELi32ELi8ELi32ELi8ELi8ELi32ELc67ELc78EKPKfS3_KPfEEvlllT_PT11_llS8_llS6_PT12_llPT13_lli,comdat
.Lfunc_end190:
	.size	_ZN12_GLOBAL__N_127rocblas_gemm_batched_kernelIfLi16ELi16ELi32ELi32ELi8ELi32ELi8ELi8ELi32ELc67ELc78EKPKfS3_KPfEEvlllT_PT11_llS8_llS6_PT12_llPT13_lli, .Lfunc_end190-_ZN12_GLOBAL__N_127rocblas_gemm_batched_kernelIfLi16ELi16ELi32ELi32ELi8ELi32ELi8ELi8ELi32ELc67ELc78EKPKfS3_KPfEEvlllT_PT11_llS8_llS6_PT12_llPT13_lli
                                        ; -- End function
	.set _ZN12_GLOBAL__N_127rocblas_gemm_batched_kernelIfLi16ELi16ELi32ELi32ELi8ELi32ELi8ELi8ELi32ELc67ELc78EKPKfS3_KPfEEvlllT_PT11_llS8_llS6_PT12_llPT13_lli.num_vgpr, 46
	.set _ZN12_GLOBAL__N_127rocblas_gemm_batched_kernelIfLi16ELi16ELi32ELi32ELi8ELi32ELi8ELi8ELi32ELc67ELc78EKPKfS3_KPfEEvlllT_PT11_llS8_llS6_PT12_llPT13_lli.num_agpr, 0
	.set _ZN12_GLOBAL__N_127rocblas_gemm_batched_kernelIfLi16ELi16ELi32ELi32ELi8ELi32ELi8ELi8ELi32ELc67ELc78EKPKfS3_KPfEEvlllT_PT11_llS8_llS6_PT12_llPT13_lli.numbered_sgpr, 36
	.set _ZN12_GLOBAL__N_127rocblas_gemm_batched_kernelIfLi16ELi16ELi32ELi32ELi8ELi32ELi8ELi8ELi32ELc67ELc78EKPKfS3_KPfEEvlllT_PT11_llS8_llS6_PT12_llPT13_lli.num_named_barrier, 0
	.set _ZN12_GLOBAL__N_127rocblas_gemm_batched_kernelIfLi16ELi16ELi32ELi32ELi8ELi32ELi8ELi8ELi32ELc67ELc78EKPKfS3_KPfEEvlllT_PT11_llS8_llS6_PT12_llPT13_lli.private_seg_size, 0
	.set _ZN12_GLOBAL__N_127rocblas_gemm_batched_kernelIfLi16ELi16ELi32ELi32ELi8ELi32ELi8ELi8ELi32ELc67ELc78EKPKfS3_KPfEEvlllT_PT11_llS8_llS6_PT12_llPT13_lli.uses_vcc, 1
	.set _ZN12_GLOBAL__N_127rocblas_gemm_batched_kernelIfLi16ELi16ELi32ELi32ELi8ELi32ELi8ELi8ELi32ELc67ELc78EKPKfS3_KPfEEvlllT_PT11_llS8_llS6_PT12_llPT13_lli.uses_flat_scratch, 0
	.set _ZN12_GLOBAL__N_127rocblas_gemm_batched_kernelIfLi16ELi16ELi32ELi32ELi8ELi32ELi8ELi8ELi32ELc67ELc78EKPKfS3_KPfEEvlllT_PT11_llS8_llS6_PT12_llPT13_lli.has_dyn_sized_stack, 0
	.set _ZN12_GLOBAL__N_127rocblas_gemm_batched_kernelIfLi16ELi16ELi32ELi32ELi8ELi32ELi8ELi8ELi32ELc67ELc78EKPKfS3_KPfEEvlllT_PT11_llS8_llS6_PT12_llPT13_lli.has_recursion, 0
	.set _ZN12_GLOBAL__N_127rocblas_gemm_batched_kernelIfLi16ELi16ELi32ELi32ELi8ELi32ELi8ELi8ELi32ELc67ELc78EKPKfS3_KPfEEvlllT_PT11_llS8_llS6_PT12_llPT13_lli.has_indirect_call, 0
	.section	.AMDGPU.csdata,"",@progbits
; Kernel info:
; codeLenInByte = 1440
; TotalNumSgprs: 38
; NumVgprs: 46
; ScratchSize: 0
; MemoryBound: 0
; FloatMode: 240
; IeeeMode: 1
; LDSByteSize: 2048 bytes/workgroup (compile time only)
; SGPRBlocks: 0
; VGPRBlocks: 5
; NumSGPRsForWavesPerEU: 38
; NumVGPRsForWavesPerEU: 46
; Occupancy: 16
; WaveLimiterHint : 1
; COMPUTE_PGM_RSRC2:SCRATCH_EN: 0
; COMPUTE_PGM_RSRC2:USER_SGPR: 6
; COMPUTE_PGM_RSRC2:TRAP_HANDLER: 0
; COMPUTE_PGM_RSRC2:TGID_X_EN: 1
; COMPUTE_PGM_RSRC2:TGID_Y_EN: 1
; COMPUTE_PGM_RSRC2:TGID_Z_EN: 1
; COMPUTE_PGM_RSRC2:TIDIG_COMP_CNT: 1
	.section	.text._ZN12_GLOBAL__N_127rocblas_gemm_batched_kernelIfLi16ELi16ELi32ELi32ELi8ELi32ELi8ELi8ELi32ELc67ELc84EKPKfS3_KPfEEvlllT_PT11_llS8_llS6_PT12_llPT13_lli,"axG",@progbits,_ZN12_GLOBAL__N_127rocblas_gemm_batched_kernelIfLi16ELi16ELi32ELi32ELi8ELi32ELi8ELi8ELi32ELc67ELc84EKPKfS3_KPfEEvlllT_PT11_llS8_llS6_PT12_llPT13_lli,comdat
	.globl	_ZN12_GLOBAL__N_127rocblas_gemm_batched_kernelIfLi16ELi16ELi32ELi32ELi8ELi32ELi8ELi8ELi32ELc67ELc84EKPKfS3_KPfEEvlllT_PT11_llS8_llS6_PT12_llPT13_lli ; -- Begin function _ZN12_GLOBAL__N_127rocblas_gemm_batched_kernelIfLi16ELi16ELi32ELi32ELi8ELi32ELi8ELi8ELi32ELc67ELc84EKPKfS3_KPfEEvlllT_PT11_llS8_llS6_PT12_llPT13_lli
	.p2align	8
	.type	_ZN12_GLOBAL__N_127rocblas_gemm_batched_kernelIfLi16ELi16ELi32ELi32ELi8ELi32ELi8ELi8ELi32ELc67ELc84EKPKfS3_KPfEEvlllT_PT11_llS8_llS6_PT12_llPT13_lli,@function
_ZN12_GLOBAL__N_127rocblas_gemm_batched_kernelIfLi16ELi16ELi32ELi32ELi8ELi32ELi8ELi8ELi32ELc67ELc84EKPKfS3_KPfEEvlllT_PT11_llS8_llS6_PT12_llPT13_lli: ; @_ZN12_GLOBAL__N_127rocblas_gemm_batched_kernelIfLi16ELi16ELi32ELi32ELi8ELi32ELi8ELi8ELi32ELc67ELc84EKPKfS3_KPfEEvlllT_PT11_llS8_llS6_PT12_llPT13_lli
; %bb.0:
	s_clause 0x1
	s_load_dwordx8 s[12:19], s[4:5], 0x58
	s_load_dwordx2 s[28:29], s[4:5], 0x10
	s_mov_b32 s9, 0
	s_mov_b32 s0, s7
	s_lshl_b64 s[34:35], s[8:9], 3
	s_load_dwordx4 s[8:11], s[4:5], 0x78
	v_mov_b32_e32 v9, 0
	v_mov_b32_e32 v8, 0
	v_mov_b32_e32 v2, 0
	v_mov_b32_e32 v3, 0
	s_waitcnt lgkmcnt(0)
	s_add_u32 s2, s12, s34
	s_addc_u32 s3, s13, s35
	s_add_u32 s18, s18, s34
	s_addc_u32 s19, s19, s35
	s_load_dwordx2 s[12:13], s[2:3], 0x0
	s_load_dwordx2 s[18:19], s[18:19], 0x0
	v_cmp_lt_i64_e64 s2, s[28:29], 1
	s_ashr_i32 s7, s6, 31
	s_ashr_i32 s1, s0, 31
	s_lshl_b64 s[6:7], s[6:7], 5
	s_lshl_b64 s[30:31], s[0:1], 5
	s_and_b32 vcc_lo, exec_lo, s2
	s_cbranch_vccnz .LBB191_3
; %bb.1:
	s_clause 0x1
	s_load_dwordx8 s[20:27], s[4:5], 0x20
	s_load_dwordx4 s[0:3], s[4:5], 0x40
	v_lshl_add_u32 v8, v1, 4, v0
	v_and_b32_e32 v9, 7, v0
	v_mov_b32_e32 v3, 0
	v_lshlrev_b32_e32 v10, 2, v0
	v_and_b32_e32 v11, 31, v8
	v_lshrrev_b32_e32 v2, 3, v8
	v_lshlrev_b32_e32 v12, 2, v9
	v_lshrrev_b32_e32 v8, 5, v8
	v_add_co_u32 v6, s33, s6, v11
	v_add_co_ci_u32_e64 v7, null, s7, 0, s33
	v_lshlrev_b32_e32 v15, 2, v11
	v_lshl_or_b32 v16, v2, 5, v12
	v_lshlrev_b32_e32 v17, 2, v8
	v_lshl_add_u32 v11, v1, 5, 0x400
	s_waitcnt lgkmcnt(0)
	s_add_u32 s20, s20, s34
	s_addc_u32 s21, s21, s35
	s_add_u32 s26, s26, s34
	s_addc_u32 s27, s27, s35
	v_mad_u64_u32 v[4:5], null, s0, v9, v[2:3]
	s_load_dwordx2 s[26:27], s[26:27], 0x0
	v_mul_lo_u32 v13, s23, v6
	v_mul_lo_u32 v14, s22, v7
	v_mad_u64_u32 v[6:7], null, s22, v6, 0
	v_lshl_or_b32 v12, v8, 7, v15
	v_mov_b32_e32 v2, v5
	s_load_dwordx2 s[20:21], s[20:21], 0x0
	s_lshl_b64 s[2:3], s[2:3], 2
	v_add3_u32 v7, v7, v14, v13
	v_mad_u64_u32 v[8:9], null, s1, v9, v[2:3]
	v_add_nc_u32_e32 v13, 0x400, v16
	v_mov_b32_e32 v9, v3
	v_lshlrev_b64 v[5:6], 2, v[6:7]
	v_add_co_u32 v7, vcc_lo, v4, s30
	v_add_co_ci_u32_e64 v8, null, s31, v8, vcc_lo
	s_waitcnt lgkmcnt(0)
	s_add_u32 s22, s26, s2
	s_addc_u32 s23, s27, s3
	s_lshl_b64 s[2:3], s[24:25], 2
	v_add_co_u32 v2, vcc_lo, v5, s2
	v_add_co_ci_u32_e64 v6, null, s3, v6, vcc_lo
	v_lshlrev_b64 v[4:5], 2, v[7:8]
	v_add_co_u32 v2, vcc_lo, v2, v17
	v_add_co_ci_u32_e64 v7, null, 0, v6, vcc_lo
	v_mov_b32_e32 v8, v3
	v_add_co_u32 v4, vcc_lo, s22, v4
	v_add_co_ci_u32_e64 v5, null, s23, v5, vcc_lo
	v_add_co_u32 v6, vcc_lo, s20, v2
	v_add_co_ci_u32_e64 v7, null, s21, v7, vcc_lo
	v_mov_b32_e32 v2, v3
	s_lshl_b64 s[2:3], s[0:1], 5
	s_mov_b64 s[20:21], 0
.LBB191_2:                              ; =>This Inner Loop Header: Depth=1
	flat_load_dword v14, v[6:7]
	s_add_u32 s20, s20, 8
	s_addc_u32 s21, s21, 0
	v_add_co_u32 v6, vcc_lo, v6, 32
	v_cmp_lt_i64_e64 s0, s[20:21], s[28:29]
	v_add_co_ci_u32_e64 v7, null, 0, v7, vcc_lo
	s_and_b32 vcc_lo, exec_lo, s0
	s_waitcnt vmcnt(0) lgkmcnt(0)
	ds_write_b32 v12, v14
	flat_load_dword v14, v[4:5]
	v_add_co_u32 v4, s0, v4, s2
	v_add_co_ci_u32_e64 v5, null, s3, v5, s0
	s_waitcnt vmcnt(0) lgkmcnt(0)
	ds_write_b32 v13, v14
	s_waitcnt lgkmcnt(0)
	s_barrier
	buffer_gl0_inv
	ds_read_b128 v[14:17], v11
	ds_read2_b32 v[30:31], v10 offset1:16
	ds_read_b128 v[18:21], v11 offset:512
	ds_read2_b32 v[32:33], v10 offset0:32 offset1:48
	ds_read2_b32 v[34:35], v10 offset0:64 offset1:80
	ds_read_b128 v[22:25], v11 offset:16
	ds_read2_b32 v[36:37], v10 offset0:96 offset1:112
	ds_read2_b32 v[38:39], v10 offset0:128 offset1:144
	;; [unrolled: 3-line block ×3, first 2 shown]
	ds_read2_b32 v[44:45], v10 offset0:224 offset1:240
	s_waitcnt lgkmcnt(0)
	s_barrier
	buffer_gl0_inv
	v_fmac_f32_e32 v9, v30, v14
	v_fmac_f32_e32 v8, v31, v14
	;; [unrolled: 1-line block ×32, first 2 shown]
	s_cbranch_vccnz .LBB191_2
.LBB191_3:
	s_clause 0x1
	s_load_dword s0, s[4:5], 0x50
	s_load_dword s1, s[4:5], 0x18
	v_add_co_u32 v4, s4, s30, v1
	v_add_co_ci_u32_e64 v7, null, s31, 0, s4
	v_add_co_u32 v0, s4, s6, v0
	v_add_co_ci_u32_e64 v1, null, s7, 0, s4
	v_mul_lo_u32 v5, v7, s8
	v_mul_lo_u32 v6, v4, s9
	s_lshl_b64 s[2:3], s[10:11], 2
	v_lshlrev_b64 v[0:1], 2, v[0:1]
	s_waitcnt lgkmcnt(0)
	s_add_u32 s2, s18, s2
	s_addc_u32 s3, s19, s3
	v_cmp_neq_f32_e64 s4, s0, 0
	s_and_b32 vcc_lo, exec_lo, s4
	s_mov_b32 s4, 0
	s_cbranch_vccnz .LBB191_7
; %bb.4:
	v_mad_u64_u32 v[10:11], null, v4, s8, 0
	s_lshl_b64 s[6:7], s[8:9], 6
	v_mul_f32_e32 v14, s1, v9
	v_mul_f32_e32 v15, s1, v8
	;; [unrolled: 1-line block ×4, first 2 shown]
	v_add3_u32 v11, v11, v6, v5
	v_lshlrev_b64 v[10:11], 2, v[10:11]
	v_add_co_u32 v10, vcc_lo, s2, v10
	v_add_co_ci_u32_e64 v11, null, s3, v11, vcc_lo
	v_add_co_u32 v12, vcc_lo, v10, s6
	v_add_co_ci_u32_e64 v13, null, s7, v11, vcc_lo
	;; [unrolled: 2-line block ×4, first 2 shown]
	flat_store_dword v[10:11], v14
	flat_store_dword v[10:11], v15 offset:64
	flat_store_dword v[12:13], v16
	flat_store_dword v[12:13], v17 offset:64
	s_andn2_b32 vcc_lo, exec_lo, s4
	s_cbranch_vccnz .LBB191_6
.LBB191_5:
	v_mul_lo_u32 v7, v7, s14
	v_mul_lo_u32 v12, v4, s15
	v_mad_u64_u32 v[10:11], null, v4, s14, 0
	s_lshl_b64 s[4:5], s[16:17], 2
	s_add_u32 s4, s12, s4
	s_addc_u32 s5, s13, s5
	v_add3_u32 v11, v11, v12, v7
	v_mad_u64_u32 v[12:13], null, v4, s8, 0
	v_lshlrev_b64 v[10:11], 2, v[10:11]
	v_add3_u32 v13, v13, v6, v5
	v_add_co_u32 v7, vcc_lo, s4, v10
	v_add_co_ci_u32_e64 v14, null, s5, v11, vcc_lo
	v_lshlrev_b64 v[4:5], 2, v[12:13]
	v_add_co_u32 v10, vcc_lo, v7, v0
	v_add_co_ci_u32_e64 v11, null, v14, v1, vcc_lo
	v_add_co_u32 v12, vcc_lo, s2, v4
	flat_load_dword v15, v[10:11]
	v_add_co_ci_u32_e64 v13, null, s3, v5, vcc_lo
	v_add_co_u32 v4, vcc_lo, v12, v0
	s_lshl_b64 s[2:3], s[14:15], 6
	v_add_co_ci_u32_e64 v5, null, v13, v1, vcc_lo
	s_waitcnt vmcnt(0) lgkmcnt(0)
	v_mul_f32_e32 v6, s0, v15
	v_fmac_f32_e32 v6, s1, v9
	flat_store_dword v[4:5], v6
	flat_load_dword v6, v[10:11] offset:64
	s_waitcnt vmcnt(0) lgkmcnt(0)
	v_mul_f32_e32 v9, s0, v6
	v_add_co_u32 v6, vcc_lo, v7, s2
	v_add_co_ci_u32_e64 v7, null, s3, v14, vcc_lo
	v_fmac_f32_e32 v9, s1, v8
	v_add_co_u32 v6, vcc_lo, v6, v0
	v_add_co_ci_u32_e64 v7, null, v7, v1, vcc_lo
	flat_store_dword v[4:5], v9 offset:64
	s_lshl_b64 s[2:3], s[8:9], 6
	flat_load_dword v4, v[6:7]
	v_add_co_u32 v5, vcc_lo, v12, s2
	v_add_co_ci_u32_e64 v8, null, s3, v13, vcc_lo
	v_add_co_u32 v0, vcc_lo, v5, v0
	v_add_co_ci_u32_e64 v1, null, v8, v1, vcc_lo
	s_waitcnt vmcnt(0) lgkmcnt(0)
	v_mul_f32_e32 v4, s0, v4
	v_fmac_f32_e32 v4, s1, v2
	flat_store_dword v[0:1], v4
	flat_load_dword v2, v[6:7] offset:64
	s_waitcnt vmcnt(0) lgkmcnt(0)
	v_mul_f32_e32 v2, s0, v2
	v_fmac_f32_e32 v2, s1, v3
	flat_store_dword v[0:1], v2 offset:64
.LBB191_6:
	s_endpgm
.LBB191_7:
	s_branch .LBB191_5
	.section	.rodata,"a",@progbits
	.p2align	6, 0x0
	.amdhsa_kernel _ZN12_GLOBAL__N_127rocblas_gemm_batched_kernelIfLi16ELi16ELi32ELi32ELi8ELi32ELi8ELi8ELi32ELc67ELc84EKPKfS3_KPfEEvlllT_PT11_llS8_llS6_PT12_llPT13_lli
		.amdhsa_group_segment_fixed_size 2048
		.amdhsa_private_segment_fixed_size 0
		.amdhsa_kernarg_size 140
		.amdhsa_user_sgpr_count 6
		.amdhsa_user_sgpr_private_segment_buffer 1
		.amdhsa_user_sgpr_dispatch_ptr 0
		.amdhsa_user_sgpr_queue_ptr 0
		.amdhsa_user_sgpr_kernarg_segment_ptr 1
		.amdhsa_user_sgpr_dispatch_id 0
		.amdhsa_user_sgpr_flat_scratch_init 0
		.amdhsa_user_sgpr_private_segment_size 0
		.amdhsa_wavefront_size32 1
		.amdhsa_uses_dynamic_stack 0
		.amdhsa_system_sgpr_private_segment_wavefront_offset 0
		.amdhsa_system_sgpr_workgroup_id_x 1
		.amdhsa_system_sgpr_workgroup_id_y 1
		.amdhsa_system_sgpr_workgroup_id_z 1
		.amdhsa_system_sgpr_workgroup_info 0
		.amdhsa_system_vgpr_workitem_id 1
		.amdhsa_next_free_vgpr 46
		.amdhsa_next_free_sgpr 36
		.amdhsa_reserve_vcc 1
		.amdhsa_reserve_flat_scratch 0
		.amdhsa_float_round_mode_32 0
		.amdhsa_float_round_mode_16_64 0
		.amdhsa_float_denorm_mode_32 3
		.amdhsa_float_denorm_mode_16_64 3
		.amdhsa_dx10_clamp 1
		.amdhsa_ieee_mode 1
		.amdhsa_fp16_overflow 0
		.amdhsa_workgroup_processor_mode 1
		.amdhsa_memory_ordered 1
		.amdhsa_forward_progress 1
		.amdhsa_shared_vgpr_count 0
		.amdhsa_exception_fp_ieee_invalid_op 0
		.amdhsa_exception_fp_denorm_src 0
		.amdhsa_exception_fp_ieee_div_zero 0
		.amdhsa_exception_fp_ieee_overflow 0
		.amdhsa_exception_fp_ieee_underflow 0
		.amdhsa_exception_fp_ieee_inexact 0
		.amdhsa_exception_int_div_zero 0
	.end_amdhsa_kernel
	.section	.text._ZN12_GLOBAL__N_127rocblas_gemm_batched_kernelIfLi16ELi16ELi32ELi32ELi8ELi32ELi8ELi8ELi32ELc67ELc84EKPKfS3_KPfEEvlllT_PT11_llS8_llS6_PT12_llPT13_lli,"axG",@progbits,_ZN12_GLOBAL__N_127rocblas_gemm_batched_kernelIfLi16ELi16ELi32ELi32ELi8ELi32ELi8ELi8ELi32ELc67ELc84EKPKfS3_KPfEEvlllT_PT11_llS8_llS6_PT12_llPT13_lli,comdat
.Lfunc_end191:
	.size	_ZN12_GLOBAL__N_127rocblas_gemm_batched_kernelIfLi16ELi16ELi32ELi32ELi8ELi32ELi8ELi8ELi32ELc67ELc84EKPKfS3_KPfEEvlllT_PT11_llS8_llS6_PT12_llPT13_lli, .Lfunc_end191-_ZN12_GLOBAL__N_127rocblas_gemm_batched_kernelIfLi16ELi16ELi32ELi32ELi8ELi32ELi8ELi8ELi32ELc67ELc84EKPKfS3_KPfEEvlllT_PT11_llS8_llS6_PT12_llPT13_lli
                                        ; -- End function
	.set _ZN12_GLOBAL__N_127rocblas_gemm_batched_kernelIfLi16ELi16ELi32ELi32ELi8ELi32ELi8ELi8ELi32ELc67ELc84EKPKfS3_KPfEEvlllT_PT11_llS8_llS6_PT12_llPT13_lli.num_vgpr, 46
	.set _ZN12_GLOBAL__N_127rocblas_gemm_batched_kernelIfLi16ELi16ELi32ELi32ELi8ELi32ELi8ELi8ELi32ELc67ELc84EKPKfS3_KPfEEvlllT_PT11_llS8_llS6_PT12_llPT13_lli.num_agpr, 0
	.set _ZN12_GLOBAL__N_127rocblas_gemm_batched_kernelIfLi16ELi16ELi32ELi32ELi8ELi32ELi8ELi8ELi32ELc67ELc84EKPKfS3_KPfEEvlllT_PT11_llS8_llS6_PT12_llPT13_lli.numbered_sgpr, 36
	.set _ZN12_GLOBAL__N_127rocblas_gemm_batched_kernelIfLi16ELi16ELi32ELi32ELi8ELi32ELi8ELi8ELi32ELc67ELc84EKPKfS3_KPfEEvlllT_PT11_llS8_llS6_PT12_llPT13_lli.num_named_barrier, 0
	.set _ZN12_GLOBAL__N_127rocblas_gemm_batched_kernelIfLi16ELi16ELi32ELi32ELi8ELi32ELi8ELi8ELi32ELc67ELc84EKPKfS3_KPfEEvlllT_PT11_llS8_llS6_PT12_llPT13_lli.private_seg_size, 0
	.set _ZN12_GLOBAL__N_127rocblas_gemm_batched_kernelIfLi16ELi16ELi32ELi32ELi8ELi32ELi8ELi8ELi32ELc67ELc84EKPKfS3_KPfEEvlllT_PT11_llS8_llS6_PT12_llPT13_lli.uses_vcc, 1
	.set _ZN12_GLOBAL__N_127rocblas_gemm_batched_kernelIfLi16ELi16ELi32ELi32ELi8ELi32ELi8ELi8ELi32ELc67ELc84EKPKfS3_KPfEEvlllT_PT11_llS8_llS6_PT12_llPT13_lli.uses_flat_scratch, 0
	.set _ZN12_GLOBAL__N_127rocblas_gemm_batched_kernelIfLi16ELi16ELi32ELi32ELi8ELi32ELi8ELi8ELi32ELc67ELc84EKPKfS3_KPfEEvlllT_PT11_llS8_llS6_PT12_llPT13_lli.has_dyn_sized_stack, 0
	.set _ZN12_GLOBAL__N_127rocblas_gemm_batched_kernelIfLi16ELi16ELi32ELi32ELi8ELi32ELi8ELi8ELi32ELc67ELc84EKPKfS3_KPfEEvlllT_PT11_llS8_llS6_PT12_llPT13_lli.has_recursion, 0
	.set _ZN12_GLOBAL__N_127rocblas_gemm_batched_kernelIfLi16ELi16ELi32ELi32ELi8ELi32ELi8ELi8ELi32ELc67ELc84EKPKfS3_KPfEEvlllT_PT11_llS8_llS6_PT12_llPT13_lli.has_indirect_call, 0
	.section	.AMDGPU.csdata,"",@progbits
; Kernel info:
; codeLenInByte = 1408
; TotalNumSgprs: 38
; NumVgprs: 46
; ScratchSize: 0
; MemoryBound: 0
; FloatMode: 240
; IeeeMode: 1
; LDSByteSize: 2048 bytes/workgroup (compile time only)
; SGPRBlocks: 0
; VGPRBlocks: 5
; NumSGPRsForWavesPerEU: 38
; NumVGPRsForWavesPerEU: 46
; Occupancy: 16
; WaveLimiterHint : 1
; COMPUTE_PGM_RSRC2:SCRATCH_EN: 0
; COMPUTE_PGM_RSRC2:USER_SGPR: 6
; COMPUTE_PGM_RSRC2:TRAP_HANDLER: 0
; COMPUTE_PGM_RSRC2:TGID_X_EN: 1
; COMPUTE_PGM_RSRC2:TGID_Y_EN: 1
; COMPUTE_PGM_RSRC2:TGID_Z_EN: 1
; COMPUTE_PGM_RSRC2:TIDIG_COMP_CNT: 1
	.section	.text._ZN12_GLOBAL__N_127rocblas_gemm_batched_kernelIfLi16ELi16ELi32ELi32ELi8ELi32ELi8ELi8ELi32ELc78ELc67EKPKfS3_KPfEEvlllT_PT11_llS8_llS6_PT12_llPT13_lli,"axG",@progbits,_ZN12_GLOBAL__N_127rocblas_gemm_batched_kernelIfLi16ELi16ELi32ELi32ELi8ELi32ELi8ELi8ELi32ELc78ELc67EKPKfS3_KPfEEvlllT_PT11_llS8_llS6_PT12_llPT13_lli,comdat
	.globl	_ZN12_GLOBAL__N_127rocblas_gemm_batched_kernelIfLi16ELi16ELi32ELi32ELi8ELi32ELi8ELi8ELi32ELc78ELc67EKPKfS3_KPfEEvlllT_PT11_llS8_llS6_PT12_llPT13_lli ; -- Begin function _ZN12_GLOBAL__N_127rocblas_gemm_batched_kernelIfLi16ELi16ELi32ELi32ELi8ELi32ELi8ELi8ELi32ELc78ELc67EKPKfS3_KPfEEvlllT_PT11_llS8_llS6_PT12_llPT13_lli
	.p2align	8
	.type	_ZN12_GLOBAL__N_127rocblas_gemm_batched_kernelIfLi16ELi16ELi32ELi32ELi8ELi32ELi8ELi8ELi32ELc78ELc67EKPKfS3_KPfEEvlllT_PT11_llS8_llS6_PT12_llPT13_lli,@function
_ZN12_GLOBAL__N_127rocblas_gemm_batched_kernelIfLi16ELi16ELi32ELi32ELi8ELi32ELi8ELi8ELi32ELc78ELc67EKPKfS3_KPfEEvlllT_PT11_llS8_llS6_PT12_llPT13_lli: ; @_ZN12_GLOBAL__N_127rocblas_gemm_batched_kernelIfLi16ELi16ELi32ELi32ELi8ELi32ELi8ELi8ELi32ELc78ELc67EKPKfS3_KPfEEvlllT_PT11_llS8_llS6_PT12_llPT13_lli
; %bb.0:
	s_clause 0x1
	s_load_dwordx8 s[12:19], s[4:5], 0x58
	s_load_dwordx2 s[28:29], s[4:5], 0x10
	s_mov_b32 s9, 0
	s_mov_b32 s0, s7
	s_lshl_b64 s[34:35], s[8:9], 3
	s_load_dwordx4 s[8:11], s[4:5], 0x78
	v_mov_b32_e32 v9, 0
	v_mov_b32_e32 v8, 0
	v_mov_b32_e32 v2, 0
	v_mov_b32_e32 v3, 0
	s_waitcnt lgkmcnt(0)
	s_add_u32 s2, s12, s34
	s_addc_u32 s3, s13, s35
	s_add_u32 s18, s18, s34
	s_addc_u32 s19, s19, s35
	s_load_dwordx2 s[12:13], s[2:3], 0x0
	s_load_dwordx2 s[18:19], s[18:19], 0x0
	v_cmp_lt_i64_e64 s2, s[28:29], 1
	s_ashr_i32 s7, s6, 31
	s_ashr_i32 s1, s0, 31
	s_lshl_b64 s[6:7], s[6:7], 5
	s_lshl_b64 s[30:31], s[0:1], 5
	s_and_b32 vcc_lo, exec_lo, s2
	s_cbranch_vccnz .LBB192_3
; %bb.1:
	s_clause 0x1
	s_load_dwordx8 s[20:27], s[4:5], 0x20
	s_load_dwordx4 s[0:3], s[4:5], 0x40
	v_lshl_add_u32 v4, v1, 4, v0
	v_mov_b32_e32 v3, 0
	v_and_b32_e32 v8, 7, v0
	v_lshlrev_b32_e32 v10, 2, v0
	v_lshl_add_u32 v11, v1, 5, 0x400
	v_lshrrev_b32_e32 v2, 3, v4
	v_lshrrev_b32_e32 v9, 5, v4
	v_and_b32_e32 v14, 31, v4
	v_lshlrev_b32_e32 v12, 2, v8
	v_lshlrev_b32_e32 v13, 2, v14
	v_lshl_or_b32 v15, v2, 5, v12
	v_lshl_or_b32 v12, v9, 7, v13
	s_waitcnt lgkmcnt(0)
	v_mad_u64_u32 v[6:7], null, s22, v9, s[6:7]
	v_mad_u64_u32 v[4:5], null, s0, v8, v[2:3]
	s_add_u32 s20, s20, s34
	s_addc_u32 s21, s21, s35
	s_add_u32 s26, s26, s34
	s_addc_u32 s27, s27, s35
	s_load_dwordx2 s[20:21], s[20:21], 0x0
	s_load_dwordx2 s[26:27], s[26:27], 0x0
	v_mov_b32_e32 v2, v5
	v_mov_b32_e32 v5, v7
	v_add_co_u32 v4, vcc_lo, v4, s30
	s_lshl_b64 s[2:3], s[2:3], 2
	v_mad_u64_u32 v[7:8], null, s1, v8, v[2:3]
	v_mad_u64_u32 v[8:9], null, s23, v9, v[5:6]
	v_add_nc_u32_e32 v13, 0x400, v15
	v_mov_b32_e32 v2, v3
	v_mov_b32_e32 v9, v3
	v_add_co_ci_u32_e64 v5, null, s31, v7, vcc_lo
	v_add_co_u32 v6, vcc_lo, v6, v14
	v_add_co_ci_u32_e64 v7, null, 0, v8, vcc_lo
	v_lshlrev_b64 v[4:5], 2, v[4:5]
	s_waitcnt lgkmcnt(0)
	s_add_u32 s26, s26, s2
	s_addc_u32 s27, s27, s3
	v_lshlrev_b64 v[6:7], 2, v[6:7]
	s_lshl_b64 s[2:3], s[0:1], 5
	s_lshl_b64 s[0:1], s[24:25], 2
	v_add_co_u32 v4, vcc_lo, s26, v4
	s_add_u32 s0, s20, s0
	s_addc_u32 s1, s21, s1
	v_add_co_ci_u32_e64 v5, null, s27, v5, vcc_lo
	v_add_co_u32 v6, vcc_lo, s0, v6
	v_add_co_ci_u32_e64 v7, null, s1, v7, vcc_lo
	v_mov_b32_e32 v8, v3
	s_lshl_b64 s[20:21], s[22:23], 5
	s_mov_b64 s[22:23], 0
.LBB192_2:                              ; =>This Inner Loop Header: Depth=1
	flat_load_dword v14, v[6:7]
	s_add_u32 s22, s22, 8
	s_addc_u32 s23, s23, 0
	v_add_co_u32 v6, vcc_lo, v6, s20
	v_cmp_lt_i64_e64 s0, s[22:23], s[28:29]
	v_add_co_ci_u32_e64 v7, null, s21, v7, vcc_lo
	s_and_b32 vcc_lo, exec_lo, s0
	s_waitcnt vmcnt(0) lgkmcnt(0)
	ds_write_b32 v12, v14
	flat_load_dword v14, v[4:5]
	v_add_co_u32 v4, s0, v4, s2
	v_add_co_ci_u32_e64 v5, null, s3, v5, s0
	s_waitcnt vmcnt(0) lgkmcnt(0)
	ds_write_b32 v13, v14
	s_waitcnt lgkmcnt(0)
	s_barrier
	buffer_gl0_inv
	ds_read_b128 v[14:17], v11
	ds_read2_b32 v[30:31], v10 offset1:16
	ds_read_b128 v[18:21], v11 offset:512
	ds_read2_b32 v[32:33], v10 offset0:32 offset1:48
	ds_read2_b32 v[34:35], v10 offset0:64 offset1:80
	ds_read_b128 v[22:25], v11 offset:16
	ds_read2_b32 v[36:37], v10 offset0:96 offset1:112
	ds_read2_b32 v[38:39], v10 offset0:128 offset1:144
	;; [unrolled: 3-line block ×3, first 2 shown]
	ds_read2_b32 v[44:45], v10 offset0:224 offset1:240
	s_waitcnt lgkmcnt(0)
	s_barrier
	buffer_gl0_inv
	v_fmac_f32_e32 v9, v30, v14
	v_fmac_f32_e32 v8, v31, v14
	;; [unrolled: 1-line block ×32, first 2 shown]
	s_cbranch_vccnz .LBB192_2
.LBB192_3:
	s_clause 0x1
	s_load_dword s0, s[4:5], 0x50
	s_load_dword s1, s[4:5], 0x18
	v_add_co_u32 v4, s4, s30, v1
	v_add_co_ci_u32_e64 v7, null, s31, 0, s4
	v_add_co_u32 v0, s4, s6, v0
	v_add_co_ci_u32_e64 v1, null, s7, 0, s4
	v_mul_lo_u32 v5, v7, s8
	v_mul_lo_u32 v6, v4, s9
	s_lshl_b64 s[2:3], s[10:11], 2
	v_lshlrev_b64 v[0:1], 2, v[0:1]
	s_waitcnt lgkmcnt(0)
	s_add_u32 s2, s18, s2
	s_addc_u32 s3, s19, s3
	v_cmp_neq_f32_e64 s4, s0, 0
	s_and_b32 vcc_lo, exec_lo, s4
	s_mov_b32 s4, 0
	s_cbranch_vccnz .LBB192_7
; %bb.4:
	v_mad_u64_u32 v[10:11], null, v4, s8, 0
	s_lshl_b64 s[6:7], s[8:9], 6
	v_mul_f32_e32 v14, s1, v9
	v_mul_f32_e32 v15, s1, v8
	;; [unrolled: 1-line block ×4, first 2 shown]
	v_add3_u32 v11, v11, v6, v5
	v_lshlrev_b64 v[10:11], 2, v[10:11]
	v_add_co_u32 v10, vcc_lo, s2, v10
	v_add_co_ci_u32_e64 v11, null, s3, v11, vcc_lo
	v_add_co_u32 v12, vcc_lo, v10, s6
	v_add_co_ci_u32_e64 v13, null, s7, v11, vcc_lo
	;; [unrolled: 2-line block ×4, first 2 shown]
	flat_store_dword v[10:11], v14
	flat_store_dword v[10:11], v15 offset:64
	flat_store_dword v[12:13], v16
	flat_store_dword v[12:13], v17 offset:64
	s_andn2_b32 vcc_lo, exec_lo, s4
	s_cbranch_vccnz .LBB192_6
.LBB192_5:
	v_mul_lo_u32 v7, v7, s14
	v_mul_lo_u32 v12, v4, s15
	v_mad_u64_u32 v[10:11], null, v4, s14, 0
	s_lshl_b64 s[4:5], s[16:17], 2
	s_add_u32 s4, s12, s4
	s_addc_u32 s5, s13, s5
	v_add3_u32 v11, v11, v12, v7
	v_mad_u64_u32 v[12:13], null, v4, s8, 0
	v_lshlrev_b64 v[10:11], 2, v[10:11]
	v_add3_u32 v13, v13, v6, v5
	v_add_co_u32 v7, vcc_lo, s4, v10
	v_add_co_ci_u32_e64 v14, null, s5, v11, vcc_lo
	v_lshlrev_b64 v[4:5], 2, v[12:13]
	v_add_co_u32 v10, vcc_lo, v7, v0
	v_add_co_ci_u32_e64 v11, null, v14, v1, vcc_lo
	v_add_co_u32 v12, vcc_lo, s2, v4
	flat_load_dword v15, v[10:11]
	v_add_co_ci_u32_e64 v13, null, s3, v5, vcc_lo
	v_add_co_u32 v4, vcc_lo, v12, v0
	s_lshl_b64 s[2:3], s[14:15], 6
	v_add_co_ci_u32_e64 v5, null, v13, v1, vcc_lo
	s_waitcnt vmcnt(0) lgkmcnt(0)
	v_mul_f32_e32 v6, s0, v15
	v_fmac_f32_e32 v6, s1, v9
	flat_store_dword v[4:5], v6
	flat_load_dword v6, v[10:11] offset:64
	s_waitcnt vmcnt(0) lgkmcnt(0)
	v_mul_f32_e32 v9, s0, v6
	v_add_co_u32 v6, vcc_lo, v7, s2
	v_add_co_ci_u32_e64 v7, null, s3, v14, vcc_lo
	v_fmac_f32_e32 v9, s1, v8
	v_add_co_u32 v6, vcc_lo, v6, v0
	v_add_co_ci_u32_e64 v7, null, v7, v1, vcc_lo
	flat_store_dword v[4:5], v9 offset:64
	s_lshl_b64 s[2:3], s[8:9], 6
	flat_load_dword v4, v[6:7]
	v_add_co_u32 v5, vcc_lo, v12, s2
	v_add_co_ci_u32_e64 v8, null, s3, v13, vcc_lo
	v_add_co_u32 v0, vcc_lo, v5, v0
	v_add_co_ci_u32_e64 v1, null, v8, v1, vcc_lo
	s_waitcnt vmcnt(0) lgkmcnt(0)
	v_mul_f32_e32 v4, s0, v4
	v_fmac_f32_e32 v4, s1, v2
	flat_store_dword v[0:1], v4
	flat_load_dword v2, v[6:7] offset:64
	s_waitcnt vmcnt(0) lgkmcnt(0)
	v_mul_f32_e32 v2, s0, v2
	v_fmac_f32_e32 v2, s1, v3
	flat_store_dword v[0:1], v2 offset:64
.LBB192_6:
	s_endpgm
.LBB192_7:
	s_branch .LBB192_5
	.section	.rodata,"a",@progbits
	.p2align	6, 0x0
	.amdhsa_kernel _ZN12_GLOBAL__N_127rocblas_gemm_batched_kernelIfLi16ELi16ELi32ELi32ELi8ELi32ELi8ELi8ELi32ELc78ELc67EKPKfS3_KPfEEvlllT_PT11_llS8_llS6_PT12_llPT13_lli
		.amdhsa_group_segment_fixed_size 2048
		.amdhsa_private_segment_fixed_size 0
		.amdhsa_kernarg_size 140
		.amdhsa_user_sgpr_count 6
		.amdhsa_user_sgpr_private_segment_buffer 1
		.amdhsa_user_sgpr_dispatch_ptr 0
		.amdhsa_user_sgpr_queue_ptr 0
		.amdhsa_user_sgpr_kernarg_segment_ptr 1
		.amdhsa_user_sgpr_dispatch_id 0
		.amdhsa_user_sgpr_flat_scratch_init 0
		.amdhsa_user_sgpr_private_segment_size 0
		.amdhsa_wavefront_size32 1
		.amdhsa_uses_dynamic_stack 0
		.amdhsa_system_sgpr_private_segment_wavefront_offset 0
		.amdhsa_system_sgpr_workgroup_id_x 1
		.amdhsa_system_sgpr_workgroup_id_y 1
		.amdhsa_system_sgpr_workgroup_id_z 1
		.amdhsa_system_sgpr_workgroup_info 0
		.amdhsa_system_vgpr_workitem_id 1
		.amdhsa_next_free_vgpr 46
		.amdhsa_next_free_sgpr 36
		.amdhsa_reserve_vcc 1
		.amdhsa_reserve_flat_scratch 0
		.amdhsa_float_round_mode_32 0
		.amdhsa_float_round_mode_16_64 0
		.amdhsa_float_denorm_mode_32 3
		.amdhsa_float_denorm_mode_16_64 3
		.amdhsa_dx10_clamp 1
		.amdhsa_ieee_mode 1
		.amdhsa_fp16_overflow 0
		.amdhsa_workgroup_processor_mode 1
		.amdhsa_memory_ordered 1
		.amdhsa_forward_progress 1
		.amdhsa_shared_vgpr_count 0
		.amdhsa_exception_fp_ieee_invalid_op 0
		.amdhsa_exception_fp_denorm_src 0
		.amdhsa_exception_fp_ieee_div_zero 0
		.amdhsa_exception_fp_ieee_overflow 0
		.amdhsa_exception_fp_ieee_underflow 0
		.amdhsa_exception_fp_ieee_inexact 0
		.amdhsa_exception_int_div_zero 0
	.end_amdhsa_kernel
	.section	.text._ZN12_GLOBAL__N_127rocblas_gemm_batched_kernelIfLi16ELi16ELi32ELi32ELi8ELi32ELi8ELi8ELi32ELc78ELc67EKPKfS3_KPfEEvlllT_PT11_llS8_llS6_PT12_llPT13_lli,"axG",@progbits,_ZN12_GLOBAL__N_127rocblas_gemm_batched_kernelIfLi16ELi16ELi32ELi32ELi8ELi32ELi8ELi8ELi32ELc78ELc67EKPKfS3_KPfEEvlllT_PT11_llS8_llS6_PT12_llPT13_lli,comdat
.Lfunc_end192:
	.size	_ZN12_GLOBAL__N_127rocblas_gemm_batched_kernelIfLi16ELi16ELi32ELi32ELi8ELi32ELi8ELi8ELi32ELc78ELc67EKPKfS3_KPfEEvlllT_PT11_llS8_llS6_PT12_llPT13_lli, .Lfunc_end192-_ZN12_GLOBAL__N_127rocblas_gemm_batched_kernelIfLi16ELi16ELi32ELi32ELi8ELi32ELi8ELi8ELi32ELc78ELc67EKPKfS3_KPfEEvlllT_PT11_llS8_llS6_PT12_llPT13_lli
                                        ; -- End function
	.set _ZN12_GLOBAL__N_127rocblas_gemm_batched_kernelIfLi16ELi16ELi32ELi32ELi8ELi32ELi8ELi8ELi32ELc78ELc67EKPKfS3_KPfEEvlllT_PT11_llS8_llS6_PT12_llPT13_lli.num_vgpr, 46
	.set _ZN12_GLOBAL__N_127rocblas_gemm_batched_kernelIfLi16ELi16ELi32ELi32ELi8ELi32ELi8ELi8ELi32ELc78ELc67EKPKfS3_KPfEEvlllT_PT11_llS8_llS6_PT12_llPT13_lli.num_agpr, 0
	.set _ZN12_GLOBAL__N_127rocblas_gemm_batched_kernelIfLi16ELi16ELi32ELi32ELi8ELi32ELi8ELi8ELi32ELc78ELc67EKPKfS3_KPfEEvlllT_PT11_llS8_llS6_PT12_llPT13_lli.numbered_sgpr, 36
	.set _ZN12_GLOBAL__N_127rocblas_gemm_batched_kernelIfLi16ELi16ELi32ELi32ELi8ELi32ELi8ELi8ELi32ELc78ELc67EKPKfS3_KPfEEvlllT_PT11_llS8_llS6_PT12_llPT13_lli.num_named_barrier, 0
	.set _ZN12_GLOBAL__N_127rocblas_gemm_batched_kernelIfLi16ELi16ELi32ELi32ELi8ELi32ELi8ELi8ELi32ELc78ELc67EKPKfS3_KPfEEvlllT_PT11_llS8_llS6_PT12_llPT13_lli.private_seg_size, 0
	.set _ZN12_GLOBAL__N_127rocblas_gemm_batched_kernelIfLi16ELi16ELi32ELi32ELi8ELi32ELi8ELi8ELi32ELc78ELc67EKPKfS3_KPfEEvlllT_PT11_llS8_llS6_PT12_llPT13_lli.uses_vcc, 1
	.set _ZN12_GLOBAL__N_127rocblas_gemm_batched_kernelIfLi16ELi16ELi32ELi32ELi8ELi32ELi8ELi8ELi32ELc78ELc67EKPKfS3_KPfEEvlllT_PT11_llS8_llS6_PT12_llPT13_lli.uses_flat_scratch, 0
	.set _ZN12_GLOBAL__N_127rocblas_gemm_batched_kernelIfLi16ELi16ELi32ELi32ELi8ELi32ELi8ELi8ELi32ELc78ELc67EKPKfS3_KPfEEvlllT_PT11_llS8_llS6_PT12_llPT13_lli.has_dyn_sized_stack, 0
	.set _ZN12_GLOBAL__N_127rocblas_gemm_batched_kernelIfLi16ELi16ELi32ELi32ELi8ELi32ELi8ELi8ELi32ELc78ELc67EKPKfS3_KPfEEvlllT_PT11_llS8_llS6_PT12_llPT13_lli.has_recursion, 0
	.set _ZN12_GLOBAL__N_127rocblas_gemm_batched_kernelIfLi16ELi16ELi32ELi32ELi8ELi32ELi8ELi8ELi32ELc78ELc67EKPKfS3_KPfEEvlllT_PT11_llS8_llS6_PT12_llPT13_lli.has_indirect_call, 0
	.section	.AMDGPU.csdata,"",@progbits
; Kernel info:
; codeLenInByte = 1372
; TotalNumSgprs: 38
; NumVgprs: 46
; ScratchSize: 0
; MemoryBound: 0
; FloatMode: 240
; IeeeMode: 1
; LDSByteSize: 2048 bytes/workgroup (compile time only)
; SGPRBlocks: 0
; VGPRBlocks: 5
; NumSGPRsForWavesPerEU: 38
; NumVGPRsForWavesPerEU: 46
; Occupancy: 16
; WaveLimiterHint : 1
; COMPUTE_PGM_RSRC2:SCRATCH_EN: 0
; COMPUTE_PGM_RSRC2:USER_SGPR: 6
; COMPUTE_PGM_RSRC2:TRAP_HANDLER: 0
; COMPUTE_PGM_RSRC2:TGID_X_EN: 1
; COMPUTE_PGM_RSRC2:TGID_Y_EN: 1
; COMPUTE_PGM_RSRC2:TGID_Z_EN: 1
; COMPUTE_PGM_RSRC2:TIDIG_COMP_CNT: 1
	.section	.text._ZN12_GLOBAL__N_127rocblas_gemm_batched_kernelIfLi16ELi16ELi32ELi32ELi8ELi32ELi8ELi8ELi32ELc84ELc67EKPKfS3_KPfEEvlllT_PT11_llS8_llS6_PT12_llPT13_lli,"axG",@progbits,_ZN12_GLOBAL__N_127rocblas_gemm_batched_kernelIfLi16ELi16ELi32ELi32ELi8ELi32ELi8ELi8ELi32ELc84ELc67EKPKfS3_KPfEEvlllT_PT11_llS8_llS6_PT12_llPT13_lli,comdat
	.globl	_ZN12_GLOBAL__N_127rocblas_gemm_batched_kernelIfLi16ELi16ELi32ELi32ELi8ELi32ELi8ELi8ELi32ELc84ELc67EKPKfS3_KPfEEvlllT_PT11_llS8_llS6_PT12_llPT13_lli ; -- Begin function _ZN12_GLOBAL__N_127rocblas_gemm_batched_kernelIfLi16ELi16ELi32ELi32ELi8ELi32ELi8ELi8ELi32ELc84ELc67EKPKfS3_KPfEEvlllT_PT11_llS8_llS6_PT12_llPT13_lli
	.p2align	8
	.type	_ZN12_GLOBAL__N_127rocblas_gemm_batched_kernelIfLi16ELi16ELi32ELi32ELi8ELi32ELi8ELi8ELi32ELc84ELc67EKPKfS3_KPfEEvlllT_PT11_llS8_llS6_PT12_llPT13_lli,@function
_ZN12_GLOBAL__N_127rocblas_gemm_batched_kernelIfLi16ELi16ELi32ELi32ELi8ELi32ELi8ELi8ELi32ELc84ELc67EKPKfS3_KPfEEvlllT_PT11_llS8_llS6_PT12_llPT13_lli: ; @_ZN12_GLOBAL__N_127rocblas_gemm_batched_kernelIfLi16ELi16ELi32ELi32ELi8ELi32ELi8ELi8ELi32ELc84ELc67EKPKfS3_KPfEEvlllT_PT11_llS8_llS6_PT12_llPT13_lli
; %bb.0:
	s_clause 0x1
	s_load_dwordx8 s[12:19], s[4:5], 0x58
	s_load_dwordx2 s[28:29], s[4:5], 0x10
	s_mov_b32 s9, 0
	s_mov_b32 s0, s7
	s_lshl_b64 s[34:35], s[8:9], 3
	s_load_dwordx4 s[8:11], s[4:5], 0x78
	v_mov_b32_e32 v9, 0
	v_mov_b32_e32 v8, 0
	;; [unrolled: 1-line block ×4, first 2 shown]
	s_waitcnt lgkmcnt(0)
	s_add_u32 s2, s12, s34
	s_addc_u32 s3, s13, s35
	s_add_u32 s18, s18, s34
	s_addc_u32 s19, s19, s35
	s_load_dwordx2 s[12:13], s[2:3], 0x0
	s_load_dwordx2 s[18:19], s[18:19], 0x0
	v_cmp_lt_i64_e64 s2, s[28:29], 1
	s_ashr_i32 s7, s6, 31
	s_ashr_i32 s1, s0, 31
	s_lshl_b64 s[6:7], s[6:7], 5
	s_lshl_b64 s[30:31], s[0:1], 5
	s_and_b32 vcc_lo, exec_lo, s2
	s_cbranch_vccnz .LBB193_3
; %bb.1:
	s_clause 0x1
	s_load_dwordx8 s[20:27], s[4:5], 0x20
	s_load_dwordx4 s[0:3], s[4:5], 0x40
	v_lshl_add_u32 v8, v1, 4, v0
	v_and_b32_e32 v9, 7, v0
	v_mov_b32_e32 v3, 0
	v_lshlrev_b32_e32 v10, 2, v0
	v_and_b32_e32 v11, 31, v8
	v_lshrrev_b32_e32 v2, 3, v8
	v_lshlrev_b32_e32 v12, 2, v9
	v_lshrrev_b32_e32 v8, 5, v8
	v_add_co_u32 v6, s33, s6, v11
	v_add_co_ci_u32_e64 v7, null, s7, 0, s33
	v_lshlrev_b32_e32 v15, 2, v11
	v_lshl_or_b32 v16, v2, 5, v12
	v_lshlrev_b32_e32 v17, 2, v8
	v_lshl_add_u32 v11, v1, 5, 0x400
	s_waitcnt lgkmcnt(0)
	s_add_u32 s20, s20, s34
	s_addc_u32 s21, s21, s35
	s_add_u32 s26, s26, s34
	s_addc_u32 s27, s27, s35
	v_mad_u64_u32 v[4:5], null, s0, v9, v[2:3]
	s_load_dwordx2 s[26:27], s[26:27], 0x0
	v_mul_lo_u32 v13, s23, v6
	v_mul_lo_u32 v14, s22, v7
	v_mad_u64_u32 v[6:7], null, s22, v6, 0
	v_lshl_or_b32 v12, v8, 7, v15
	v_mov_b32_e32 v2, v5
	s_load_dwordx2 s[20:21], s[20:21], 0x0
	s_lshl_b64 s[2:3], s[2:3], 2
	v_add3_u32 v7, v7, v14, v13
	v_mad_u64_u32 v[8:9], null, s1, v9, v[2:3]
	v_add_nc_u32_e32 v13, 0x400, v16
	v_mov_b32_e32 v9, v3
	v_lshlrev_b64 v[5:6], 2, v[6:7]
	v_add_co_u32 v7, vcc_lo, v4, s30
	v_add_co_ci_u32_e64 v8, null, s31, v8, vcc_lo
	s_waitcnt lgkmcnt(0)
	s_add_u32 s22, s26, s2
	s_addc_u32 s23, s27, s3
	s_lshl_b64 s[2:3], s[24:25], 2
	v_add_co_u32 v2, vcc_lo, v5, s2
	v_add_co_ci_u32_e64 v6, null, s3, v6, vcc_lo
	v_lshlrev_b64 v[4:5], 2, v[7:8]
	v_add_co_u32 v2, vcc_lo, v2, v17
	v_add_co_ci_u32_e64 v7, null, 0, v6, vcc_lo
	v_mov_b32_e32 v8, v3
	v_add_co_u32 v4, vcc_lo, s22, v4
	v_add_co_ci_u32_e64 v5, null, s23, v5, vcc_lo
	v_add_co_u32 v6, vcc_lo, s20, v2
	v_add_co_ci_u32_e64 v7, null, s21, v7, vcc_lo
	v_mov_b32_e32 v2, v3
	s_lshl_b64 s[2:3], s[0:1], 5
	s_mov_b64 s[20:21], 0
.LBB193_2:                              ; =>This Inner Loop Header: Depth=1
	flat_load_dword v14, v[6:7]
	s_add_u32 s20, s20, 8
	s_addc_u32 s21, s21, 0
	v_add_co_u32 v6, vcc_lo, v6, 32
	v_cmp_lt_i64_e64 s0, s[20:21], s[28:29]
	v_add_co_ci_u32_e64 v7, null, 0, v7, vcc_lo
	s_and_b32 vcc_lo, exec_lo, s0
	s_waitcnt vmcnt(0) lgkmcnt(0)
	ds_write_b32 v12, v14
	flat_load_dword v14, v[4:5]
	v_add_co_u32 v4, s0, v4, s2
	v_add_co_ci_u32_e64 v5, null, s3, v5, s0
	s_waitcnt vmcnt(0) lgkmcnt(0)
	ds_write_b32 v13, v14
	s_waitcnt lgkmcnt(0)
	s_barrier
	buffer_gl0_inv
	ds_read_b128 v[14:17], v11
	ds_read2_b32 v[30:31], v10 offset1:16
	ds_read_b128 v[18:21], v11 offset:512
	ds_read2_b32 v[32:33], v10 offset0:32 offset1:48
	ds_read2_b32 v[34:35], v10 offset0:64 offset1:80
	ds_read_b128 v[22:25], v11 offset:16
	ds_read2_b32 v[36:37], v10 offset0:96 offset1:112
	ds_read2_b32 v[38:39], v10 offset0:128 offset1:144
	;; [unrolled: 3-line block ×3, first 2 shown]
	ds_read2_b32 v[44:45], v10 offset0:224 offset1:240
	s_waitcnt lgkmcnt(0)
	s_barrier
	buffer_gl0_inv
	v_fmac_f32_e32 v9, v30, v14
	v_fmac_f32_e32 v8, v31, v14
	;; [unrolled: 1-line block ×32, first 2 shown]
	s_cbranch_vccnz .LBB193_2
.LBB193_3:
	s_clause 0x1
	s_load_dword s0, s[4:5], 0x50
	s_load_dword s1, s[4:5], 0x18
	v_add_co_u32 v4, s4, s30, v1
	v_add_co_ci_u32_e64 v7, null, s31, 0, s4
	v_add_co_u32 v0, s4, s6, v0
	v_add_co_ci_u32_e64 v1, null, s7, 0, s4
	v_mul_lo_u32 v5, v7, s8
	v_mul_lo_u32 v6, v4, s9
	s_lshl_b64 s[2:3], s[10:11], 2
	v_lshlrev_b64 v[0:1], 2, v[0:1]
	s_waitcnt lgkmcnt(0)
	s_add_u32 s2, s18, s2
	s_addc_u32 s3, s19, s3
	v_cmp_neq_f32_e64 s4, s0, 0
	s_and_b32 vcc_lo, exec_lo, s4
	s_mov_b32 s4, 0
	s_cbranch_vccnz .LBB193_7
; %bb.4:
	v_mad_u64_u32 v[10:11], null, v4, s8, 0
	s_lshl_b64 s[6:7], s[8:9], 6
	v_mul_f32_e32 v14, s1, v9
	v_mul_f32_e32 v15, s1, v8
	;; [unrolled: 1-line block ×4, first 2 shown]
	v_add3_u32 v11, v11, v6, v5
	v_lshlrev_b64 v[10:11], 2, v[10:11]
	v_add_co_u32 v10, vcc_lo, s2, v10
	v_add_co_ci_u32_e64 v11, null, s3, v11, vcc_lo
	v_add_co_u32 v12, vcc_lo, v10, s6
	v_add_co_ci_u32_e64 v13, null, s7, v11, vcc_lo
	v_add_co_u32 v10, vcc_lo, v10, v0
	v_add_co_ci_u32_e64 v11, null, v11, v1, vcc_lo
	v_add_co_u32 v12, vcc_lo, v12, v0
	v_add_co_ci_u32_e64 v13, null, v13, v1, vcc_lo
	flat_store_dword v[10:11], v14
	flat_store_dword v[10:11], v15 offset:64
	flat_store_dword v[12:13], v16
	flat_store_dword v[12:13], v17 offset:64
	s_andn2_b32 vcc_lo, exec_lo, s4
	s_cbranch_vccnz .LBB193_6
.LBB193_5:
	v_mul_lo_u32 v7, v7, s14
	v_mul_lo_u32 v12, v4, s15
	v_mad_u64_u32 v[10:11], null, v4, s14, 0
	s_lshl_b64 s[4:5], s[16:17], 2
	s_add_u32 s4, s12, s4
	s_addc_u32 s5, s13, s5
	v_add3_u32 v11, v11, v12, v7
	v_mad_u64_u32 v[12:13], null, v4, s8, 0
	v_lshlrev_b64 v[10:11], 2, v[10:11]
	v_add3_u32 v13, v13, v6, v5
	v_add_co_u32 v7, vcc_lo, s4, v10
	v_add_co_ci_u32_e64 v14, null, s5, v11, vcc_lo
	v_lshlrev_b64 v[4:5], 2, v[12:13]
	v_add_co_u32 v10, vcc_lo, v7, v0
	v_add_co_ci_u32_e64 v11, null, v14, v1, vcc_lo
	v_add_co_u32 v12, vcc_lo, s2, v4
	flat_load_dword v15, v[10:11]
	v_add_co_ci_u32_e64 v13, null, s3, v5, vcc_lo
	v_add_co_u32 v4, vcc_lo, v12, v0
	s_lshl_b64 s[2:3], s[14:15], 6
	v_add_co_ci_u32_e64 v5, null, v13, v1, vcc_lo
	s_waitcnt vmcnt(0) lgkmcnt(0)
	v_mul_f32_e32 v6, s0, v15
	v_fmac_f32_e32 v6, s1, v9
	flat_store_dword v[4:5], v6
	flat_load_dword v6, v[10:11] offset:64
	s_waitcnt vmcnt(0) lgkmcnt(0)
	v_mul_f32_e32 v9, s0, v6
	v_add_co_u32 v6, vcc_lo, v7, s2
	v_add_co_ci_u32_e64 v7, null, s3, v14, vcc_lo
	v_fmac_f32_e32 v9, s1, v8
	v_add_co_u32 v6, vcc_lo, v6, v0
	v_add_co_ci_u32_e64 v7, null, v7, v1, vcc_lo
	flat_store_dword v[4:5], v9 offset:64
	s_lshl_b64 s[2:3], s[8:9], 6
	flat_load_dword v4, v[6:7]
	v_add_co_u32 v5, vcc_lo, v12, s2
	v_add_co_ci_u32_e64 v8, null, s3, v13, vcc_lo
	v_add_co_u32 v0, vcc_lo, v5, v0
	v_add_co_ci_u32_e64 v1, null, v8, v1, vcc_lo
	s_waitcnt vmcnt(0) lgkmcnt(0)
	v_mul_f32_e32 v4, s0, v4
	v_fmac_f32_e32 v4, s1, v2
	flat_store_dword v[0:1], v4
	flat_load_dword v2, v[6:7] offset:64
	s_waitcnt vmcnt(0) lgkmcnt(0)
	v_mul_f32_e32 v2, s0, v2
	v_fmac_f32_e32 v2, s1, v3
	flat_store_dword v[0:1], v2 offset:64
.LBB193_6:
	s_endpgm
.LBB193_7:
	s_branch .LBB193_5
	.section	.rodata,"a",@progbits
	.p2align	6, 0x0
	.amdhsa_kernel _ZN12_GLOBAL__N_127rocblas_gemm_batched_kernelIfLi16ELi16ELi32ELi32ELi8ELi32ELi8ELi8ELi32ELc84ELc67EKPKfS3_KPfEEvlllT_PT11_llS8_llS6_PT12_llPT13_lli
		.amdhsa_group_segment_fixed_size 2048
		.amdhsa_private_segment_fixed_size 0
		.amdhsa_kernarg_size 140
		.amdhsa_user_sgpr_count 6
		.amdhsa_user_sgpr_private_segment_buffer 1
		.amdhsa_user_sgpr_dispatch_ptr 0
		.amdhsa_user_sgpr_queue_ptr 0
		.amdhsa_user_sgpr_kernarg_segment_ptr 1
		.amdhsa_user_sgpr_dispatch_id 0
		.amdhsa_user_sgpr_flat_scratch_init 0
		.amdhsa_user_sgpr_private_segment_size 0
		.amdhsa_wavefront_size32 1
		.amdhsa_uses_dynamic_stack 0
		.amdhsa_system_sgpr_private_segment_wavefront_offset 0
		.amdhsa_system_sgpr_workgroup_id_x 1
		.amdhsa_system_sgpr_workgroup_id_y 1
		.amdhsa_system_sgpr_workgroup_id_z 1
		.amdhsa_system_sgpr_workgroup_info 0
		.amdhsa_system_vgpr_workitem_id 1
		.amdhsa_next_free_vgpr 46
		.amdhsa_next_free_sgpr 36
		.amdhsa_reserve_vcc 1
		.amdhsa_reserve_flat_scratch 0
		.amdhsa_float_round_mode_32 0
		.amdhsa_float_round_mode_16_64 0
		.amdhsa_float_denorm_mode_32 3
		.amdhsa_float_denorm_mode_16_64 3
		.amdhsa_dx10_clamp 1
		.amdhsa_ieee_mode 1
		.amdhsa_fp16_overflow 0
		.amdhsa_workgroup_processor_mode 1
		.amdhsa_memory_ordered 1
		.amdhsa_forward_progress 1
		.amdhsa_shared_vgpr_count 0
		.amdhsa_exception_fp_ieee_invalid_op 0
		.amdhsa_exception_fp_denorm_src 0
		.amdhsa_exception_fp_ieee_div_zero 0
		.amdhsa_exception_fp_ieee_overflow 0
		.amdhsa_exception_fp_ieee_underflow 0
		.amdhsa_exception_fp_ieee_inexact 0
		.amdhsa_exception_int_div_zero 0
	.end_amdhsa_kernel
	.section	.text._ZN12_GLOBAL__N_127rocblas_gemm_batched_kernelIfLi16ELi16ELi32ELi32ELi8ELi32ELi8ELi8ELi32ELc84ELc67EKPKfS3_KPfEEvlllT_PT11_llS8_llS6_PT12_llPT13_lli,"axG",@progbits,_ZN12_GLOBAL__N_127rocblas_gemm_batched_kernelIfLi16ELi16ELi32ELi32ELi8ELi32ELi8ELi8ELi32ELc84ELc67EKPKfS3_KPfEEvlllT_PT11_llS8_llS6_PT12_llPT13_lli,comdat
.Lfunc_end193:
	.size	_ZN12_GLOBAL__N_127rocblas_gemm_batched_kernelIfLi16ELi16ELi32ELi32ELi8ELi32ELi8ELi8ELi32ELc84ELc67EKPKfS3_KPfEEvlllT_PT11_llS8_llS6_PT12_llPT13_lli, .Lfunc_end193-_ZN12_GLOBAL__N_127rocblas_gemm_batched_kernelIfLi16ELi16ELi32ELi32ELi8ELi32ELi8ELi8ELi32ELc84ELc67EKPKfS3_KPfEEvlllT_PT11_llS8_llS6_PT12_llPT13_lli
                                        ; -- End function
	.set _ZN12_GLOBAL__N_127rocblas_gemm_batched_kernelIfLi16ELi16ELi32ELi32ELi8ELi32ELi8ELi8ELi32ELc84ELc67EKPKfS3_KPfEEvlllT_PT11_llS8_llS6_PT12_llPT13_lli.num_vgpr, 46
	.set _ZN12_GLOBAL__N_127rocblas_gemm_batched_kernelIfLi16ELi16ELi32ELi32ELi8ELi32ELi8ELi8ELi32ELc84ELc67EKPKfS3_KPfEEvlllT_PT11_llS8_llS6_PT12_llPT13_lli.num_agpr, 0
	.set _ZN12_GLOBAL__N_127rocblas_gemm_batched_kernelIfLi16ELi16ELi32ELi32ELi8ELi32ELi8ELi8ELi32ELc84ELc67EKPKfS3_KPfEEvlllT_PT11_llS8_llS6_PT12_llPT13_lli.numbered_sgpr, 36
	.set _ZN12_GLOBAL__N_127rocblas_gemm_batched_kernelIfLi16ELi16ELi32ELi32ELi8ELi32ELi8ELi8ELi32ELc84ELc67EKPKfS3_KPfEEvlllT_PT11_llS8_llS6_PT12_llPT13_lli.num_named_barrier, 0
	.set _ZN12_GLOBAL__N_127rocblas_gemm_batched_kernelIfLi16ELi16ELi32ELi32ELi8ELi32ELi8ELi8ELi32ELc84ELc67EKPKfS3_KPfEEvlllT_PT11_llS8_llS6_PT12_llPT13_lli.private_seg_size, 0
	.set _ZN12_GLOBAL__N_127rocblas_gemm_batched_kernelIfLi16ELi16ELi32ELi32ELi8ELi32ELi8ELi8ELi32ELc84ELc67EKPKfS3_KPfEEvlllT_PT11_llS8_llS6_PT12_llPT13_lli.uses_vcc, 1
	.set _ZN12_GLOBAL__N_127rocblas_gemm_batched_kernelIfLi16ELi16ELi32ELi32ELi8ELi32ELi8ELi8ELi32ELc84ELc67EKPKfS3_KPfEEvlllT_PT11_llS8_llS6_PT12_llPT13_lli.uses_flat_scratch, 0
	.set _ZN12_GLOBAL__N_127rocblas_gemm_batched_kernelIfLi16ELi16ELi32ELi32ELi8ELi32ELi8ELi8ELi32ELc84ELc67EKPKfS3_KPfEEvlllT_PT11_llS8_llS6_PT12_llPT13_lli.has_dyn_sized_stack, 0
	.set _ZN12_GLOBAL__N_127rocblas_gemm_batched_kernelIfLi16ELi16ELi32ELi32ELi8ELi32ELi8ELi8ELi32ELc84ELc67EKPKfS3_KPfEEvlllT_PT11_llS8_llS6_PT12_llPT13_lli.has_recursion, 0
	.set _ZN12_GLOBAL__N_127rocblas_gemm_batched_kernelIfLi16ELi16ELi32ELi32ELi8ELi32ELi8ELi8ELi32ELc84ELc67EKPKfS3_KPfEEvlllT_PT11_llS8_llS6_PT12_llPT13_lli.has_indirect_call, 0
	.section	.AMDGPU.csdata,"",@progbits
; Kernel info:
; codeLenInByte = 1408
; TotalNumSgprs: 38
; NumVgprs: 46
; ScratchSize: 0
; MemoryBound: 0
; FloatMode: 240
; IeeeMode: 1
; LDSByteSize: 2048 bytes/workgroup (compile time only)
; SGPRBlocks: 0
; VGPRBlocks: 5
; NumSGPRsForWavesPerEU: 38
; NumVGPRsForWavesPerEU: 46
; Occupancy: 16
; WaveLimiterHint : 1
; COMPUTE_PGM_RSRC2:SCRATCH_EN: 0
; COMPUTE_PGM_RSRC2:USER_SGPR: 6
; COMPUTE_PGM_RSRC2:TRAP_HANDLER: 0
; COMPUTE_PGM_RSRC2:TGID_X_EN: 1
; COMPUTE_PGM_RSRC2:TGID_Y_EN: 1
; COMPUTE_PGM_RSRC2:TGID_Z_EN: 1
; COMPUTE_PGM_RSRC2:TIDIG_COMP_CNT: 1
	.section	.text._ZN12_GLOBAL__N_135rocblas_gemm_batched_general_kernelIfLi16ELi16ELi32ELi32ELi8ELi32ELi8ELi8ELi32ELc78ELc78EKPKfS3_KPfEEvlllT_PT11_llS8_llS6_PT12_llPT13_lli,"axG",@progbits,_ZN12_GLOBAL__N_135rocblas_gemm_batched_general_kernelIfLi16ELi16ELi32ELi32ELi8ELi32ELi8ELi8ELi32ELc78ELc78EKPKfS3_KPfEEvlllT_PT11_llS8_llS6_PT12_llPT13_lli,comdat
	.globl	_ZN12_GLOBAL__N_135rocblas_gemm_batched_general_kernelIfLi16ELi16ELi32ELi32ELi8ELi32ELi8ELi8ELi32ELc78ELc78EKPKfS3_KPfEEvlllT_PT11_llS8_llS6_PT12_llPT13_lli ; -- Begin function _ZN12_GLOBAL__N_135rocblas_gemm_batched_general_kernelIfLi16ELi16ELi32ELi32ELi8ELi32ELi8ELi8ELi32ELc78ELc78EKPKfS3_KPfEEvlllT_PT11_llS8_llS6_PT12_llPT13_lli
	.p2align	8
	.type	_ZN12_GLOBAL__N_135rocblas_gemm_batched_general_kernelIfLi16ELi16ELi32ELi32ELi8ELi32ELi8ELi8ELi32ELc78ELc78EKPKfS3_KPfEEvlllT_PT11_llS8_llS6_PT12_llPT13_lli,@function
_ZN12_GLOBAL__N_135rocblas_gemm_batched_general_kernelIfLi16ELi16ELi32ELi32ELi8ELi32ELi8ELi8ELi32ELc78ELc78EKPKfS3_KPfEEvlllT_PT11_llS8_llS6_PT12_llPT13_lli: ; @_ZN12_GLOBAL__N_135rocblas_gemm_batched_general_kernelIfLi16ELi16ELi32ELi32ELi8ELi32ELi8ELi8ELi32ELc78ELc78EKPKfS3_KPfEEvlllT_PT11_llS8_llS6_PT12_llPT13_lli
; %bb.0:
	s_clause 0x1
	s_load_dwordx8 s[12:19], s[4:5], 0x58
	s_load_dwordx2 s[34:35], s[4:5], 0x10
	s_mov_b32 s9, 0
	s_load_dwordx4 s[28:31], s[4:5], 0x0
	s_lshl_b64 s[42:43], s[8:9], 3
	s_load_dwordx4 s[8:11], s[4:5], 0x78
	s_mov_b32 s0, s7
	v_mov_b32_e32 v10, 0
	v_mov_b32_e32 v9, 0
	;; [unrolled: 1-line block ×4, first 2 shown]
	s_waitcnt lgkmcnt(0)
	s_add_u32 s2, s12, s42
	s_addc_u32 s3, s13, s43
	s_add_u32 s18, s18, s42
	s_addc_u32 s19, s19, s43
	s_load_dwordx2 s[12:13], s[2:3], 0x0
	s_load_dwordx2 s[2:3], s[18:19], 0x0
	v_cmp_lt_i64_e64 s20, s[34:35], 1
	s_ashr_i32 s7, s6, 31
	s_ashr_i32 s1, s0, 31
	s_lshl_b64 s[18:19], s[6:7], 5
	s_lshl_b64 s[40:41], s[0:1], 5
	s_and_b32 vcc_lo, exec_lo, s20
	s_cbranch_vccnz .LBB194_7
; %bb.1:
	s_clause 0x1
	s_load_dwordx8 s[20:27], s[4:5], 0x20
	s_load_dwordx4 s[36:39], s[4:5], 0x40
	v_lshl_add_u32 v2, v1, 4, v0
	v_and_b32_e32 v6, 7, v0
	v_mov_b32_e32 v3, s19
	v_mov_b32_e32 v7, 0
	v_lshlrev_b32_e32 v11, 2, v0
	v_lshrrev_b32_e32 v8, 3, v2
	v_lshrrev_b32_e32 v12, 5, v2
	v_and_b32_e32 v9, 31, v2
	v_lshlrev_b32_e32 v16, 2, v6
	v_lshl_add_u32 v13, v1, 5, 0x400
	v_add_co_u32 v4, s0, v8, s40
	v_add_co_ci_u32_e64 v5, null, 0, s41, s0
	v_or_b32_e32 v2, s18, v9
	v_lshlrev_b32_e32 v17, 2, v9
	v_lshl_or_b32 v10, v8, 5, v16
	v_cmp_gt_i64_e64 s1, s[30:31], v[4:5]
	s_waitcnt lgkmcnt(0)
	v_mad_u64_u32 v[8:9], null, s22, v12, 0
	v_cmp_gt_i64_e64 s0, s[28:29], v[2:3]
	v_mul_lo_u32 v18, s37, v4
	v_mad_u64_u32 v[3:4], null, s36, v4, 0
	v_mul_lo_u32 v5, s36, v5
	s_add_u32 s26, s26, s42
	v_mov_b32_e32 v2, v9
	v_add_nc_u32_e32 v15, 0x400, v10
	s_addc_u32 s27, s27, s43
	s_add_u32 s20, s20, s42
	s_load_dwordx2 s[26:27], s[26:27], 0x0
	v_mad_u64_u32 v[9:10], null, s23, v12, v[2:3]
	v_add3_u32 v4, v4, v5, v18
	s_addc_u32 s21, s21, s43
	s_lshl_b64 s[36:37], s[38:39], 2
	s_load_dwordx2 s[20:21], s[20:21], 0x0
	s_lshl_b64 s[6:7], s[6:7], 7
	v_lshlrev_b64 v[2:3], 2, v[3:4]
	v_lshlrev_b64 v[4:5], 2, v[8:9]
	s_lshl_b64 s[24:25], s[24:25], 2
	v_lshl_or_b32 v14, v12, 7, v17
	s_add_u32 s6, s24, s6
	s_addc_u32 s7, s25, s7
	v_add_co_u32 v2, vcc_lo, v2, s36
	v_add_co_ci_u32_e64 v3, null, s37, v3, vcc_lo
	v_add_co_u32 v4, vcc_lo, s6, v4
	v_add_co_ci_u32_e64 v5, null, s7, v5, vcc_lo
	;; [unrolled: 2-line block ×4, first 2 shown]
	s_waitcnt lgkmcnt(0)
	v_add_co_u32 v2, vcc_lo, s26, v2
	v_add_co_ci_u32_e64 v3, null, s27, v3, vcc_lo
	v_add_co_u32 v4, vcc_lo, s20, v4
	v_add_co_ci_u32_e64 v5, null, s21, v5, vcc_lo
	v_mov_b32_e32 v8, 0
	v_mov_b32_e32 v9, 0
	;; [unrolled: 1-line block ×3, first 2 shown]
	s_lshl_b64 s[6:7], s[22:23], 5
	s_mov_b64 s[20:21], 0
	s_branch .LBB194_3
.LBB194_2:                              ;   in Loop: Header=BB194_3 Depth=1
	s_or_b32 exec_lo, exec_lo, s22
	s_waitcnt vmcnt(0) lgkmcnt(0)
	ds_write_b32 v15, v17
	s_waitcnt lgkmcnt(0)
	s_barrier
	buffer_gl0_inv
	ds_read_b128 v[16:19], v13
	ds_read2_b32 v[32:33], v11 offset1:16
	ds_read_b128 v[20:23], v13 offset:512
	ds_read2_b32 v[34:35], v11 offset0:32 offset1:48
	ds_read2_b32 v[36:37], v11 offset0:64 offset1:80
	ds_read2_b32 v[38:39], v11 offset0:96 offset1:112
	ds_read_b128 v[24:27], v13 offset:16
	ds_read2_b32 v[40:41], v11 offset0:128 offset1:144
	ds_read_b128 v[28:31], v13 offset:528
	ds_read2_b32 v[42:43], v11 offset0:160 offset1:176
	s_add_u32 s20, s20, 8
	s_addc_u32 s21, s21, 0
	v_add_co_u32 v2, vcc_lo, v2, 32
	v_cmp_lt_i64_e64 s22, s[20:21], s[34:35]
	v_add_co_ci_u32_e64 v3, null, 0, v3, vcc_lo
	v_add_co_u32 v4, vcc_lo, v4, s6
	v_add_co_ci_u32_e64 v5, null, s7, v5, vcc_lo
	s_waitcnt lgkmcnt(8)
	v_fmac_f32_e32 v10, v32, v16
	v_fmac_f32_e32 v9, v33, v16
	s_waitcnt lgkmcnt(7)
	v_fmac_f32_e32 v8, v32, v20
	v_fmac_f32_e32 v7, v33, v20
	ds_read2_b32 v[32:33], v11 offset0:192 offset1:208
	s_waitcnt lgkmcnt(7)
	v_fmac_f32_e32 v10, v34, v17
	v_fmac_f32_e32 v9, v35, v17
	;; [unrolled: 1-line block ×4, first 2 shown]
	ds_read2_b32 v[16:17], v11 offset0:224 offset1:240
	s_waitcnt lgkmcnt(7)
	v_fmac_f32_e32 v10, v36, v18
	v_fmac_f32_e32 v9, v37, v18
	;; [unrolled: 1-line block ×4, first 2 shown]
	s_and_b32 vcc_lo, exec_lo, s22
	s_waitcnt lgkmcnt(6)
	v_fmac_f32_e32 v10, v38, v19
	v_fmac_f32_e32 v9, v39, v19
	;; [unrolled: 1-line block ×4, first 2 shown]
	s_waitcnt lgkmcnt(0)
	v_fmac_f32_e32 v10, v40, v24
	v_fmac_f32_e32 v9, v41, v24
	;; [unrolled: 1-line block ×4, first 2 shown]
	s_barrier
	v_fmac_f32_e32 v10, v42, v25
	v_fmac_f32_e32 v9, v43, v25
	;; [unrolled: 1-line block ×4, first 2 shown]
	buffer_gl0_inv
	v_fmac_f32_e32 v10, v32, v26
	v_fmac_f32_e32 v9, v33, v26
	;; [unrolled: 1-line block ×8, first 2 shown]
	s_cbranch_vccz .LBB194_7
.LBB194_3:                              ; =>This Inner Loop Header: Depth=1
	v_add_co_u32 v16, s22, v12, s20
	v_add_co_ci_u32_e64 v17, null, 0, s21, s22
	v_cmp_gt_i64_e32 vcc_lo, s[34:35], v[16:17]
	v_mov_b32_e32 v16, 0
	s_and_b32 s23, s0, vcc_lo
	s_and_saveexec_b32 s22, s23
	s_cbranch_execz .LBB194_5
; %bb.4:                                ;   in Loop: Header=BB194_3 Depth=1
	flat_load_dword v16, v[4:5]
.LBB194_5:                              ;   in Loop: Header=BB194_3 Depth=1
	s_or_b32 exec_lo, exec_lo, s22
	v_add_co_u32 v17, s22, v6, s20
	v_add_co_ci_u32_e64 v18, null, 0, s21, s22
	s_waitcnt vmcnt(0) lgkmcnt(0)
	ds_write_b32 v14, v16
	v_cmp_gt_i64_e32 vcc_lo, s[34:35], v[17:18]
	v_mov_b32_e32 v17, 0
	s_and_b32 s23, vcc_lo, s1
	s_and_saveexec_b32 s22, s23
	s_cbranch_execz .LBB194_2
; %bb.6:                                ;   in Loop: Header=BB194_3 Depth=1
	flat_load_dword v17, v[2:3]
	s_branch .LBB194_2
.LBB194_7:
	s_clause 0x1
	s_load_dword s6, s[4:5], 0x50
	s_load_dword s4, s[4:5], 0x18
	v_add_co_u32 v1, s5, s40, v1
	v_add_co_ci_u32_e64 v2, null, s41, 0, s5
	s_lshl_b64 s[0:1], s[10:11], 2
	s_waitcnt lgkmcnt(0)
	s_add_u32 s5, s2, s0
	v_cmp_gt_i64_e64 s0, s[30:31], v[1:2]
	s_addc_u32 s3, s3, s1
	v_cmp_neq_f32_e64 s7, s6, 0
	s_and_b32 vcc_lo, exec_lo, s7
	s_cbranch_vccnz .LBB194_20
; %bb.8:
	s_and_saveexec_b32 s7, s0
	s_cbranch_execz .LBB194_18
; %bb.9:
	v_mul_lo_u32 v5, v2, s8
	v_mul_lo_u32 v6, v1, s9
	v_mad_u64_u32 v[3:4], null, v1, s8, 0
	v_add3_u32 v4, v4, v6, v5
	v_add_co_u32 v5, s1, s18, v0
	v_add_co_ci_u32_e64 v6, null, s19, 0, s1
	v_lshlrev_b64 v[11:12], 2, v[3:4]
	v_cmp_gt_i64_e32 vcc_lo, s[28:29], v[5:6]
	v_lshlrev_b64 v[3:4], 2, v[5:6]
	v_add_co_u32 v11, s1, s5, v11
	v_add_co_ci_u32_e64 v12, null, s3, v12, s1
	s_and_saveexec_b32 s2, vcc_lo
	s_cbranch_execz .LBB194_11
; %bb.10:
	v_add_co_u32 v13, s1, v11, v3
	v_add_co_ci_u32_e64 v14, null, v12, v4, s1
	v_mul_f32_e32 v15, s4, v10
	flat_store_dword v[13:14], v15
.LBB194_11:
	s_or_b32 exec_lo, exec_lo, s2
	v_add_co_u32 v5, s1, v5, 16
	v_add_co_ci_u32_e64 v6, null, 0, v6, s1
	v_cmp_gt_i64_e64 s1, s[28:29], v[5:6]
	s_and_saveexec_b32 s10, s1
	s_cbranch_execz .LBB194_13
; %bb.12:
	v_add_co_u32 v5, s2, v11, v3
	v_add_co_ci_u32_e64 v6, null, v12, v4, s2
	v_mul_f32_e32 v13, s4, v9
	flat_store_dword v[5:6], v13 offset:64
.LBB194_13:
	s_or_b32 exec_lo, exec_lo, s10
	v_add_co_u32 v5, s2, v1, 16
	v_add_co_ci_u32_e64 v6, null, 0, v2, s2
	v_cmp_gt_i64_e64 s2, s[30:31], v[5:6]
	s_and_b32 exec_lo, exec_lo, s2
	s_cbranch_execz .LBB194_18
; %bb.14:
	s_lshl_b64 s[10:11], s[8:9], 6
	v_add_co_u32 v5, s2, v11, s10
	v_add_co_ci_u32_e64 v6, null, s11, v12, s2
	v_add_co_u32 v3, s2, v5, v3
	v_add_co_ci_u32_e64 v4, null, v6, v4, s2
	s_and_saveexec_b32 s2, vcc_lo
	s_cbranch_execz .LBB194_16
; %bb.15:
	v_mul_f32_e32 v5, s4, v8
	flat_store_dword v[3:4], v5
.LBB194_16:
	s_or_b32 exec_lo, exec_lo, s2
	s_and_b32 exec_lo, exec_lo, s1
	s_cbranch_execz .LBB194_18
; %bb.17:
	v_mul_f32_e32 v5, s4, v7
	flat_store_dword v[3:4], v5 offset:64
.LBB194_18:
	s_or_b32 exec_lo, exec_lo, s7
	s_cbranch_execz .LBB194_21
.LBB194_19:
	s_endpgm
.LBB194_20:
.LBB194_21:
	s_and_saveexec_b32 s1, s0
	s_cbranch_execz .LBB194_19
; %bb.22:
	v_mul_lo_u32 v5, v2, s14
	v_mul_lo_u32 v6, v1, s15
	v_mad_u64_u32 v[3:4], null, v1, s14, 0
	v_mul_lo_u32 v13, v2, s8
	v_mul_lo_u32 v14, v1, s9
	v_mad_u64_u32 v[11:12], null, v1, s8, 0
	s_lshl_b64 s[0:1], s[16:17], 2
	v_add3_u32 v4, v4, v6, v5
	v_add_co_u32 v5, s2, s18, v0
	v_add_co_ci_u32_e64 v6, null, s19, 0, s2
	v_add3_u32 v12, v12, v14, v13
	v_lshlrev_b64 v[3:4], 2, v[3:4]
	s_add_u32 s0, s12, s0
	s_addc_u32 s1, s13, s1
	v_cmp_gt_i64_e32 vcc_lo, s[28:29], v[5:6]
	v_lshlrev_b64 v[12:13], 2, v[11:12]
	v_add_co_u32 v0, s0, s0, v3
	v_add_co_ci_u32_e64 v11, null, s1, v4, s0
	v_add_co_u32 v12, s0, s5, v12
	v_lshlrev_b64 v[3:4], 2, v[5:6]
	v_add_co_ci_u32_e64 v13, null, s3, v13, s0
	s_and_saveexec_b32 s1, vcc_lo
	s_cbranch_execz .LBB194_24
; %bb.23:
	v_add_co_u32 v14, s0, v0, v3
	v_add_co_ci_u32_e64 v15, null, v11, v4, s0
	flat_load_dword v14, v[14:15]
	s_waitcnt vmcnt(0) lgkmcnt(0)
	v_mul_f32_e32 v16, s6, v14
	v_add_co_u32 v14, s0, v12, v3
	v_add_co_ci_u32_e64 v15, null, v13, v4, s0
	v_fmac_f32_e32 v16, s4, v10
	flat_store_dword v[14:15], v16
.LBB194_24:
	s_or_b32 exec_lo, exec_lo, s1
	v_add_co_u32 v5, s0, v5, 16
	v_add_co_ci_u32_e64 v6, null, 0, v6, s0
	v_cmp_gt_i64_e64 s0, s[28:29], v[5:6]
	s_and_saveexec_b32 s2, s0
	s_cbranch_execz .LBB194_26
; %bb.25:
	v_add_co_u32 v5, s1, v0, v3
	v_add_co_ci_u32_e64 v6, null, v11, v4, s1
	flat_load_dword v5, v[5:6] offset:64
	s_waitcnt vmcnt(0) lgkmcnt(0)
	v_mul_f32_e32 v10, s6, v5
	v_add_co_u32 v5, s1, v12, v3
	v_add_co_ci_u32_e64 v6, null, v13, v4, s1
	v_fmac_f32_e32 v10, s4, v9
	flat_store_dword v[5:6], v10 offset:64
.LBB194_26:
	s_or_b32 exec_lo, exec_lo, s2
	v_add_co_u32 v1, s1, v1, 16
	v_add_co_ci_u32_e64 v2, null, 0, v2, s1
	v_cmp_gt_i64_e64 s1, s[30:31], v[1:2]
	s_and_b32 exec_lo, exec_lo, s1
	s_cbranch_execz .LBB194_19
; %bb.27:
	s_lshl_b64 s[2:3], s[14:15], 6
	v_add_co_u32 v0, s1, v0, s2
	v_add_co_ci_u32_e64 v1, null, s3, v11, s1
	s_lshl_b64 s[2:3], s[8:9], 6
	v_add_co_u32 v2, s1, v12, s2
	v_add_co_ci_u32_e64 v5, null, s3, v13, s1
	v_add_co_u32 v0, s1, v0, v3
	v_add_co_ci_u32_e64 v1, null, v1, v4, s1
	;; [unrolled: 2-line block ×3, first 2 shown]
	s_and_saveexec_b32 s1, vcc_lo
	s_cbranch_execz .LBB194_29
; %bb.28:
	flat_load_dword v4, v[0:1]
	s_waitcnt vmcnt(0) lgkmcnt(0)
	v_mul_f32_e32 v4, s6, v4
	v_fmac_f32_e32 v4, s4, v8
	flat_store_dword v[2:3], v4
.LBB194_29:
	s_or_b32 exec_lo, exec_lo, s1
	s_and_b32 exec_lo, exec_lo, s0
	s_cbranch_execz .LBB194_19
; %bb.30:
	flat_load_dword v0, v[0:1] offset:64
	s_waitcnt vmcnt(0) lgkmcnt(0)
	v_mul_f32_e32 v0, s6, v0
	v_fmac_f32_e32 v0, s4, v7
	flat_store_dword v[2:3], v0 offset:64
	s_endpgm
	.section	.rodata,"a",@progbits
	.p2align	6, 0x0
	.amdhsa_kernel _ZN12_GLOBAL__N_135rocblas_gemm_batched_general_kernelIfLi16ELi16ELi32ELi32ELi8ELi32ELi8ELi8ELi32ELc78ELc78EKPKfS3_KPfEEvlllT_PT11_llS8_llS6_PT12_llPT13_lli
		.amdhsa_group_segment_fixed_size 2048
		.amdhsa_private_segment_fixed_size 0
		.amdhsa_kernarg_size 140
		.amdhsa_user_sgpr_count 6
		.amdhsa_user_sgpr_private_segment_buffer 1
		.amdhsa_user_sgpr_dispatch_ptr 0
		.amdhsa_user_sgpr_queue_ptr 0
		.amdhsa_user_sgpr_kernarg_segment_ptr 1
		.amdhsa_user_sgpr_dispatch_id 0
		.amdhsa_user_sgpr_flat_scratch_init 0
		.amdhsa_user_sgpr_private_segment_size 0
		.amdhsa_wavefront_size32 1
		.amdhsa_uses_dynamic_stack 0
		.amdhsa_system_sgpr_private_segment_wavefront_offset 0
		.amdhsa_system_sgpr_workgroup_id_x 1
		.amdhsa_system_sgpr_workgroup_id_y 1
		.amdhsa_system_sgpr_workgroup_id_z 1
		.amdhsa_system_sgpr_workgroup_info 0
		.amdhsa_system_vgpr_workitem_id 1
		.amdhsa_next_free_vgpr 44
		.amdhsa_next_free_sgpr 44
		.amdhsa_reserve_vcc 1
		.amdhsa_reserve_flat_scratch 0
		.amdhsa_float_round_mode_32 0
		.amdhsa_float_round_mode_16_64 0
		.amdhsa_float_denorm_mode_32 3
		.amdhsa_float_denorm_mode_16_64 3
		.amdhsa_dx10_clamp 1
		.amdhsa_ieee_mode 1
		.amdhsa_fp16_overflow 0
		.amdhsa_workgroup_processor_mode 1
		.amdhsa_memory_ordered 1
		.amdhsa_forward_progress 1
		.amdhsa_shared_vgpr_count 0
		.amdhsa_exception_fp_ieee_invalid_op 0
		.amdhsa_exception_fp_denorm_src 0
		.amdhsa_exception_fp_ieee_div_zero 0
		.amdhsa_exception_fp_ieee_overflow 0
		.amdhsa_exception_fp_ieee_underflow 0
		.amdhsa_exception_fp_ieee_inexact 0
		.amdhsa_exception_int_div_zero 0
	.end_amdhsa_kernel
	.section	.text._ZN12_GLOBAL__N_135rocblas_gemm_batched_general_kernelIfLi16ELi16ELi32ELi32ELi8ELi32ELi8ELi8ELi32ELc78ELc78EKPKfS3_KPfEEvlllT_PT11_llS8_llS6_PT12_llPT13_lli,"axG",@progbits,_ZN12_GLOBAL__N_135rocblas_gemm_batched_general_kernelIfLi16ELi16ELi32ELi32ELi8ELi32ELi8ELi8ELi32ELc78ELc78EKPKfS3_KPfEEvlllT_PT11_llS8_llS6_PT12_llPT13_lli,comdat
.Lfunc_end194:
	.size	_ZN12_GLOBAL__N_135rocblas_gemm_batched_general_kernelIfLi16ELi16ELi32ELi32ELi8ELi32ELi8ELi8ELi32ELc78ELc78EKPKfS3_KPfEEvlllT_PT11_llS8_llS6_PT12_llPT13_lli, .Lfunc_end194-_ZN12_GLOBAL__N_135rocblas_gemm_batched_general_kernelIfLi16ELi16ELi32ELi32ELi8ELi32ELi8ELi8ELi32ELc78ELc78EKPKfS3_KPfEEvlllT_PT11_llS8_llS6_PT12_llPT13_lli
                                        ; -- End function
	.set _ZN12_GLOBAL__N_135rocblas_gemm_batched_general_kernelIfLi16ELi16ELi32ELi32ELi8ELi32ELi8ELi8ELi32ELc78ELc78EKPKfS3_KPfEEvlllT_PT11_llS8_llS6_PT12_llPT13_lli.num_vgpr, 44
	.set _ZN12_GLOBAL__N_135rocblas_gemm_batched_general_kernelIfLi16ELi16ELi32ELi32ELi8ELi32ELi8ELi8ELi32ELc78ELc78EKPKfS3_KPfEEvlllT_PT11_llS8_llS6_PT12_llPT13_lli.num_agpr, 0
	.set _ZN12_GLOBAL__N_135rocblas_gemm_batched_general_kernelIfLi16ELi16ELi32ELi32ELi8ELi32ELi8ELi8ELi32ELc78ELc78EKPKfS3_KPfEEvlllT_PT11_llS8_llS6_PT12_llPT13_lli.numbered_sgpr, 44
	.set _ZN12_GLOBAL__N_135rocblas_gemm_batched_general_kernelIfLi16ELi16ELi32ELi32ELi8ELi32ELi8ELi8ELi32ELc78ELc78EKPKfS3_KPfEEvlllT_PT11_llS8_llS6_PT12_llPT13_lli.num_named_barrier, 0
	.set _ZN12_GLOBAL__N_135rocblas_gemm_batched_general_kernelIfLi16ELi16ELi32ELi32ELi8ELi32ELi8ELi8ELi32ELc78ELc78EKPKfS3_KPfEEvlllT_PT11_llS8_llS6_PT12_llPT13_lli.private_seg_size, 0
	.set _ZN12_GLOBAL__N_135rocblas_gemm_batched_general_kernelIfLi16ELi16ELi32ELi32ELi8ELi32ELi8ELi8ELi32ELc78ELc78EKPKfS3_KPfEEvlllT_PT11_llS8_llS6_PT12_llPT13_lli.uses_vcc, 1
	.set _ZN12_GLOBAL__N_135rocblas_gemm_batched_general_kernelIfLi16ELi16ELi32ELi32ELi8ELi32ELi8ELi8ELi32ELc78ELc78EKPKfS3_KPfEEvlllT_PT11_llS8_llS6_PT12_llPT13_lli.uses_flat_scratch, 0
	.set _ZN12_GLOBAL__N_135rocblas_gemm_batched_general_kernelIfLi16ELi16ELi32ELi32ELi8ELi32ELi8ELi8ELi32ELc78ELc78EKPKfS3_KPfEEvlllT_PT11_llS8_llS6_PT12_llPT13_lli.has_dyn_sized_stack, 0
	.set _ZN12_GLOBAL__N_135rocblas_gemm_batched_general_kernelIfLi16ELi16ELi32ELi32ELi8ELi32ELi8ELi8ELi32ELc78ELc78EKPKfS3_KPfEEvlllT_PT11_llS8_llS6_PT12_llPT13_lli.has_recursion, 0
	.set _ZN12_GLOBAL__N_135rocblas_gemm_batched_general_kernelIfLi16ELi16ELi32ELi32ELi8ELi32ELi8ELi8ELi32ELc78ELc78EKPKfS3_KPfEEvlllT_PT11_llS8_llS6_PT12_llPT13_lli.has_indirect_call, 0
	.section	.AMDGPU.csdata,"",@progbits
; Kernel info:
; codeLenInByte = 1880
; TotalNumSgprs: 46
; NumVgprs: 44
; ScratchSize: 0
; MemoryBound: 0
; FloatMode: 240
; IeeeMode: 1
; LDSByteSize: 2048 bytes/workgroup (compile time only)
; SGPRBlocks: 0
; VGPRBlocks: 5
; NumSGPRsForWavesPerEU: 46
; NumVGPRsForWavesPerEU: 44
; Occupancy: 16
; WaveLimiterHint : 1
; COMPUTE_PGM_RSRC2:SCRATCH_EN: 0
; COMPUTE_PGM_RSRC2:USER_SGPR: 6
; COMPUTE_PGM_RSRC2:TRAP_HANDLER: 0
; COMPUTE_PGM_RSRC2:TGID_X_EN: 1
; COMPUTE_PGM_RSRC2:TGID_Y_EN: 1
; COMPUTE_PGM_RSRC2:TGID_Z_EN: 1
; COMPUTE_PGM_RSRC2:TIDIG_COMP_CNT: 1
	.section	.text._ZN12_GLOBAL__N_135rocblas_gemm_batched_general_kernelIfLi16ELi16ELi32ELi32ELi8ELi32ELi8ELi8ELi32ELc84ELc78EKPKfS3_KPfEEvlllT_PT11_llS8_llS6_PT12_llPT13_lli,"axG",@progbits,_ZN12_GLOBAL__N_135rocblas_gemm_batched_general_kernelIfLi16ELi16ELi32ELi32ELi8ELi32ELi8ELi8ELi32ELc84ELc78EKPKfS3_KPfEEvlllT_PT11_llS8_llS6_PT12_llPT13_lli,comdat
	.globl	_ZN12_GLOBAL__N_135rocblas_gemm_batched_general_kernelIfLi16ELi16ELi32ELi32ELi8ELi32ELi8ELi8ELi32ELc84ELc78EKPKfS3_KPfEEvlllT_PT11_llS8_llS6_PT12_llPT13_lli ; -- Begin function _ZN12_GLOBAL__N_135rocblas_gemm_batched_general_kernelIfLi16ELi16ELi32ELi32ELi8ELi32ELi8ELi8ELi32ELc84ELc78EKPKfS3_KPfEEvlllT_PT11_llS8_llS6_PT12_llPT13_lli
	.p2align	8
	.type	_ZN12_GLOBAL__N_135rocblas_gemm_batched_general_kernelIfLi16ELi16ELi32ELi32ELi8ELi32ELi8ELi8ELi32ELc84ELc78EKPKfS3_KPfEEvlllT_PT11_llS8_llS6_PT12_llPT13_lli,@function
_ZN12_GLOBAL__N_135rocblas_gemm_batched_general_kernelIfLi16ELi16ELi32ELi32ELi8ELi32ELi8ELi8ELi32ELc84ELc78EKPKfS3_KPfEEvlllT_PT11_llS8_llS6_PT12_llPT13_lli: ; @_ZN12_GLOBAL__N_135rocblas_gemm_batched_general_kernelIfLi16ELi16ELi32ELi32ELi8ELi32ELi8ELi8ELi32ELc84ELc78EKPKfS3_KPfEEvlllT_PT11_llS8_llS6_PT12_llPT13_lli
; %bb.0:
	s_clause 0x1
	s_load_dwordx8 s[12:19], s[4:5], 0x58
	s_load_dwordx2 s[34:35], s[4:5], 0x10
	s_mov_b32 s9, 0
	s_load_dwordx4 s[28:31], s[4:5], 0x0
	s_lshl_b64 s[38:39], s[8:9], 3
	s_load_dwordx4 s[8:11], s[4:5], 0x78
	s_mov_b32 s0, s7
	v_mov_b32_e32 v10, 0
	v_mov_b32_e32 v9, 0
	v_mov_b32_e32 v8, 0
	v_mov_b32_e32 v7, 0
	s_waitcnt lgkmcnt(0)
	s_add_u32 s2, s12, s38
	s_addc_u32 s3, s13, s39
	s_add_u32 s18, s18, s38
	s_addc_u32 s19, s19, s39
	s_load_dwordx2 s[12:13], s[2:3], 0x0
	s_load_dwordx2 s[18:19], s[18:19], 0x0
	v_cmp_lt_i64_e64 s2, s[34:35], 1
	s_ashr_i32 s7, s6, 31
	s_ashr_i32 s1, s0, 31
	s_lshl_b64 s[6:7], s[6:7], 5
	s_lshl_b64 s[36:37], s[0:1], 5
	s_and_b32 vcc_lo, exec_lo, s2
	s_cbranch_vccnz .LBB195_7
; %bb.1:
	s_clause 0x1
	s_load_dwordx8 s[20:27], s[4:5], 0x20
	s_load_dwordx4 s[0:3], s[4:5], 0x40
	v_lshl_add_u32 v2, v1, 4, v0
	v_mov_b32_e32 v3, s7
	v_and_b32_e32 v6, 7, v0
	v_mov_b32_e32 v7, 0
	v_lshrrev_b32_e32 v10, 3, v2
	v_and_b32_e32 v8, 31, v2
	v_lshrrev_b32_e32 v11, 5, v2
	v_lshlrev_b32_e32 v18, 2, v6
	v_add_co_u32 v4, s33, v10, s36
	v_add_co_ci_u32_e64 v5, null, 0, s37, s33
	v_or_b32_e32 v2, s6, v8
	v_lshlrev_b32_e32 v12, 2, v8
	v_lshl_or_b32 v10, v10, 5, v18
	s_waitcnt lgkmcnt(0)
	s_add_u32 s26, s26, s38
	v_mul_lo_u32 v13, s1, v4
	v_add_co_u32 v14, s1, s6, v8
	v_add_co_ci_u32_e64 v15, null, s7, 0, s1
	v_mul_lo_u32 v19, s0, v5
	v_mad_u64_u32 v[8:9], null, s0, v4, 0
	v_mul_lo_u32 v20, s23, v14
	v_mul_lo_u32 v15, s22, v15
	v_mad_u64_u32 v[16:17], null, s22, v14, 0
	s_addc_u32 s27, s27, s39
	s_add_u32 s20, s20, s38
	v_add3_u32 v9, v9, v19, v13
	s_load_dwordx2 s[26:27], s[26:27], 0x0
	s_addc_u32 s21, s21, s39
	v_cmp_gt_i64_e64 s0, s[28:29], v[2:3]
	v_add3_u32 v17, v17, v15, v20
	s_load_dwordx2 s[20:21], s[20:21], 0x0
	v_lshlrev_b64 v[2:3], 2, v[8:9]
	v_cmp_gt_i64_e64 s1, s[30:31], v[4:5]
	s_lshl_b64 s[2:3], s[2:3], 2
	v_lshlrev_b64 v[4:5], 2, v[16:17]
	v_lshlrev_b32_e32 v8, 2, v11
	v_lshl_or_b32 v12, v11, 7, v12
	v_add_co_u32 v2, vcc_lo, v2, s2
	v_add_co_ci_u32_e64 v3, null, s3, v3, vcc_lo
	s_lshl_b64 s[2:3], s[24:25], 2
	v_add_nc_u32_e32 v13, 0x400, v10
	v_add_co_u32 v4, vcc_lo, v4, s2
	v_add_co_ci_u32_e64 v5, null, s3, v5, vcc_lo
	v_add_co_u32 v2, vcc_lo, v2, v18
	v_add_co_ci_u32_e64 v3, null, 0, v3, vcc_lo
	v_add_co_u32 v4, vcc_lo, v4, v8
	v_add_co_ci_u32_e64 v5, null, 0, v5, vcc_lo
	s_waitcnt lgkmcnt(0)
	v_add_co_u32 v2, vcc_lo, s26, v2
	v_add_co_ci_u32_e64 v3, null, s27, v3, vcc_lo
	v_add_co_u32 v4, vcc_lo, s20, v4
	v_lshlrev_b32_e32 v14, 2, v0
	v_lshl_add_u32 v15, v1, 5, 0x400
	v_add_co_ci_u32_e64 v5, null, s21, v5, vcc_lo
	v_mov_b32_e32 v8, 0
	v_mov_b32_e32 v9, 0
	;; [unrolled: 1-line block ×3, first 2 shown]
	s_mov_b64 s[2:3], 0
	s_branch .LBB195_3
.LBB195_2:                              ;   in Loop: Header=BB195_3 Depth=1
	s_or_b32 exec_lo, exec_lo, s20
	s_waitcnt vmcnt(0) lgkmcnt(0)
	ds_write_b32 v13, v17
	s_waitcnt lgkmcnt(0)
	s_barrier
	buffer_gl0_inv
	ds_read_b128 v[16:19], v15
	ds_read2_b32 v[32:33], v14 offset1:16
	ds_read_b128 v[20:23], v15 offset:512
	ds_read2_b32 v[34:35], v14 offset0:32 offset1:48
	ds_read2_b32 v[36:37], v14 offset0:64 offset1:80
	;; [unrolled: 1-line block ×3, first 2 shown]
	ds_read_b128 v[24:27], v15 offset:16
	ds_read2_b32 v[40:41], v14 offset0:128 offset1:144
	ds_read_b128 v[28:31], v15 offset:528
	ds_read2_b32 v[42:43], v14 offset0:160 offset1:176
	s_add_u32 s2, s2, 8
	s_addc_u32 s3, s3, 0
	v_add_co_u32 v2, vcc_lo, v2, 32
	v_cmp_lt_i64_e64 s20, s[2:3], s[34:35]
	v_add_co_ci_u32_e64 v3, null, 0, v3, vcc_lo
	v_add_co_u32 v4, vcc_lo, v4, 32
	v_add_co_ci_u32_e64 v5, null, 0, v5, vcc_lo
	s_waitcnt lgkmcnt(8)
	v_fmac_f32_e32 v10, v32, v16
	v_fmac_f32_e32 v9, v33, v16
	s_waitcnt lgkmcnt(7)
	v_fmac_f32_e32 v8, v32, v20
	v_fmac_f32_e32 v7, v33, v20
	ds_read2_b32 v[32:33], v14 offset0:192 offset1:208
	s_waitcnt lgkmcnt(7)
	v_fmac_f32_e32 v10, v34, v17
	v_fmac_f32_e32 v9, v35, v17
	;; [unrolled: 1-line block ×4, first 2 shown]
	ds_read2_b32 v[16:17], v14 offset0:224 offset1:240
	s_waitcnt lgkmcnt(7)
	v_fmac_f32_e32 v10, v36, v18
	v_fmac_f32_e32 v9, v37, v18
	;; [unrolled: 1-line block ×4, first 2 shown]
	s_and_b32 vcc_lo, exec_lo, s20
	s_waitcnt lgkmcnt(6)
	v_fmac_f32_e32 v10, v38, v19
	v_fmac_f32_e32 v9, v39, v19
	;; [unrolled: 1-line block ×4, first 2 shown]
	s_waitcnt lgkmcnt(0)
	v_fmac_f32_e32 v10, v40, v24
	v_fmac_f32_e32 v9, v41, v24
	;; [unrolled: 1-line block ×4, first 2 shown]
	s_barrier
	v_fmac_f32_e32 v10, v42, v25
	v_fmac_f32_e32 v9, v43, v25
	;; [unrolled: 1-line block ×4, first 2 shown]
	buffer_gl0_inv
	v_fmac_f32_e32 v10, v32, v26
	v_fmac_f32_e32 v9, v33, v26
	v_fmac_f32_e32 v8, v32, v30
	v_fmac_f32_e32 v7, v33, v30
	v_fmac_f32_e32 v10, v16, v27
	v_fmac_f32_e32 v9, v17, v27
	v_fmac_f32_e32 v8, v16, v31
	v_fmac_f32_e32 v7, v17, v31
	s_cbranch_vccz .LBB195_7
.LBB195_3:                              ; =>This Inner Loop Header: Depth=1
	v_add_co_u32 v16, s20, v11, s2
	v_add_co_ci_u32_e64 v17, null, 0, s3, s20
	v_cmp_gt_i64_e32 vcc_lo, s[34:35], v[16:17]
	v_mov_b32_e32 v16, 0
	s_and_b32 s21, s0, vcc_lo
	s_and_saveexec_b32 s20, s21
	s_cbranch_execz .LBB195_5
; %bb.4:                                ;   in Loop: Header=BB195_3 Depth=1
	flat_load_dword v16, v[4:5]
.LBB195_5:                              ;   in Loop: Header=BB195_3 Depth=1
	s_or_b32 exec_lo, exec_lo, s20
	v_add_co_u32 v17, s20, v6, s2
	v_add_co_ci_u32_e64 v18, null, 0, s3, s20
	s_waitcnt vmcnt(0) lgkmcnt(0)
	ds_write_b32 v12, v16
	v_cmp_gt_i64_e32 vcc_lo, s[34:35], v[17:18]
	v_mov_b32_e32 v17, 0
	s_and_b32 s21, vcc_lo, s1
	s_and_saveexec_b32 s20, s21
	s_cbranch_execz .LBB195_2
; %bb.6:                                ;   in Loop: Header=BB195_3 Depth=1
	flat_load_dword v17, v[2:3]
	s_branch .LBB195_2
.LBB195_7:
	s_clause 0x1
	s_load_dword s20, s[4:5], 0x50
	s_load_dword s3, s[4:5], 0x18
	v_add_co_u32 v1, s2, s36, v1
	v_add_co_ci_u32_e64 v2, null, s37, 0, s2
	s_lshl_b64 s[0:1], s[10:11], 2
	s_waitcnt lgkmcnt(0)
	s_add_u32 s4, s18, s0
	v_cmp_gt_i64_e64 s0, s[30:31], v[1:2]
	s_addc_u32 s5, s19, s1
	v_cmp_neq_f32_e64 s2, s20, 0
	s_and_b32 vcc_lo, exec_lo, s2
	s_cbranch_vccnz .LBB195_20
; %bb.8:
	s_and_saveexec_b32 s10, s0
	s_cbranch_execz .LBB195_18
; %bb.9:
	v_mul_lo_u32 v5, v2, s8
	v_mul_lo_u32 v6, v1, s9
	v_mad_u64_u32 v[3:4], null, v1, s8, 0
	v_add3_u32 v4, v4, v6, v5
	v_add_co_u32 v5, s1, s6, v0
	v_add_co_ci_u32_e64 v6, null, s7, 0, s1
	v_lshlrev_b64 v[11:12], 2, v[3:4]
	v_cmp_gt_i64_e32 vcc_lo, s[28:29], v[5:6]
	v_lshlrev_b64 v[3:4], 2, v[5:6]
	v_add_co_u32 v11, s1, s4, v11
	v_add_co_ci_u32_e64 v12, null, s5, v12, s1
	s_and_saveexec_b32 s2, vcc_lo
	s_cbranch_execz .LBB195_11
; %bb.10:
	v_add_co_u32 v13, s1, v11, v3
	v_add_co_ci_u32_e64 v14, null, v12, v4, s1
	v_mul_f32_e32 v15, s3, v10
	flat_store_dword v[13:14], v15
.LBB195_11:
	s_or_b32 exec_lo, exec_lo, s2
	v_add_co_u32 v5, s1, v5, 16
	v_add_co_ci_u32_e64 v6, null, 0, v6, s1
	v_cmp_gt_i64_e64 s1, s[28:29], v[5:6]
	s_and_saveexec_b32 s11, s1
	s_cbranch_execz .LBB195_13
; %bb.12:
	v_add_co_u32 v5, s2, v11, v3
	v_add_co_ci_u32_e64 v6, null, v12, v4, s2
	v_mul_f32_e32 v13, s3, v9
	flat_store_dword v[5:6], v13 offset:64
.LBB195_13:
	s_or_b32 exec_lo, exec_lo, s11
	v_add_co_u32 v5, s2, v1, 16
	v_add_co_ci_u32_e64 v6, null, 0, v2, s2
	v_cmp_gt_i64_e64 s2, s[30:31], v[5:6]
	s_and_b32 exec_lo, exec_lo, s2
	s_cbranch_execz .LBB195_18
; %bb.14:
	s_lshl_b64 s[18:19], s[8:9], 6
	v_add_co_u32 v5, s2, v11, s18
	v_add_co_ci_u32_e64 v6, null, s19, v12, s2
	v_add_co_u32 v3, s2, v5, v3
	v_add_co_ci_u32_e64 v4, null, v6, v4, s2
	s_and_saveexec_b32 s2, vcc_lo
	s_cbranch_execz .LBB195_16
; %bb.15:
	v_mul_f32_e32 v5, s3, v8
	flat_store_dword v[3:4], v5
.LBB195_16:
	s_or_b32 exec_lo, exec_lo, s2
	s_and_b32 exec_lo, exec_lo, s1
	s_cbranch_execz .LBB195_18
; %bb.17:
	v_mul_f32_e32 v5, s3, v7
	flat_store_dword v[3:4], v5 offset:64
.LBB195_18:
	s_or_b32 exec_lo, exec_lo, s10
	s_cbranch_execz .LBB195_21
.LBB195_19:
	s_endpgm
.LBB195_20:
.LBB195_21:
	s_and_saveexec_b32 s1, s0
	s_cbranch_execz .LBB195_19
; %bb.22:
	v_mul_lo_u32 v5, v2, s14
	v_mul_lo_u32 v6, v1, s15
	v_mad_u64_u32 v[3:4], null, v1, s14, 0
	v_mul_lo_u32 v13, v2, s8
	v_mul_lo_u32 v14, v1, s9
	v_mad_u64_u32 v[11:12], null, v1, s8, 0
	s_lshl_b64 s[0:1], s[16:17], 2
	v_add3_u32 v4, v4, v6, v5
	v_add_co_u32 v5, s2, s6, v0
	v_add_co_ci_u32_e64 v6, null, s7, 0, s2
	v_add3_u32 v12, v12, v14, v13
	v_lshlrev_b64 v[3:4], 2, v[3:4]
	s_add_u32 s0, s12, s0
	s_addc_u32 s1, s13, s1
	v_cmp_gt_i64_e32 vcc_lo, s[28:29], v[5:6]
	v_lshlrev_b64 v[12:13], 2, v[11:12]
	v_add_co_u32 v0, s0, s0, v3
	v_add_co_ci_u32_e64 v11, null, s1, v4, s0
	v_add_co_u32 v12, s0, s4, v12
	v_lshlrev_b64 v[3:4], 2, v[5:6]
	v_add_co_ci_u32_e64 v13, null, s5, v13, s0
	s_and_saveexec_b32 s1, vcc_lo
	s_cbranch_execz .LBB195_24
; %bb.23:
	v_add_co_u32 v14, s0, v0, v3
	v_add_co_ci_u32_e64 v15, null, v11, v4, s0
	flat_load_dword v14, v[14:15]
	s_waitcnt vmcnt(0) lgkmcnt(0)
	v_mul_f32_e32 v16, s20, v14
	v_add_co_u32 v14, s0, v12, v3
	v_add_co_ci_u32_e64 v15, null, v13, v4, s0
	v_fmac_f32_e32 v16, s3, v10
	flat_store_dword v[14:15], v16
.LBB195_24:
	s_or_b32 exec_lo, exec_lo, s1
	v_add_co_u32 v5, s0, v5, 16
	v_add_co_ci_u32_e64 v6, null, 0, v6, s0
	v_cmp_gt_i64_e64 s0, s[28:29], v[5:6]
	s_and_saveexec_b32 s2, s0
	s_cbranch_execz .LBB195_26
; %bb.25:
	v_add_co_u32 v5, s1, v0, v3
	v_add_co_ci_u32_e64 v6, null, v11, v4, s1
	flat_load_dword v5, v[5:6] offset:64
	s_waitcnt vmcnt(0) lgkmcnt(0)
	v_mul_f32_e32 v10, s20, v5
	v_add_co_u32 v5, s1, v12, v3
	v_add_co_ci_u32_e64 v6, null, v13, v4, s1
	v_fmac_f32_e32 v10, s3, v9
	flat_store_dword v[5:6], v10 offset:64
.LBB195_26:
	s_or_b32 exec_lo, exec_lo, s2
	v_add_co_u32 v1, s1, v1, 16
	v_add_co_ci_u32_e64 v2, null, 0, v2, s1
	v_cmp_gt_i64_e64 s1, s[30:31], v[1:2]
	s_and_b32 exec_lo, exec_lo, s1
	s_cbranch_execz .LBB195_19
; %bb.27:
	s_lshl_b64 s[4:5], s[14:15], 6
	v_add_co_u32 v0, s1, v0, s4
	v_add_co_ci_u32_e64 v1, null, s5, v11, s1
	s_lshl_b64 s[4:5], s[8:9], 6
	v_add_co_u32 v2, s1, v12, s4
	v_add_co_ci_u32_e64 v5, null, s5, v13, s1
	v_add_co_u32 v0, s1, v0, v3
	v_add_co_ci_u32_e64 v1, null, v1, v4, s1
	;; [unrolled: 2-line block ×3, first 2 shown]
	s_and_saveexec_b32 s1, vcc_lo
	s_cbranch_execz .LBB195_29
; %bb.28:
	flat_load_dword v4, v[0:1]
	s_waitcnt vmcnt(0) lgkmcnt(0)
	v_mul_f32_e32 v4, s20, v4
	v_fmac_f32_e32 v4, s3, v8
	flat_store_dword v[2:3], v4
.LBB195_29:
	s_or_b32 exec_lo, exec_lo, s1
	s_and_b32 exec_lo, exec_lo, s0
	s_cbranch_execz .LBB195_19
; %bb.30:
	flat_load_dword v0, v[0:1] offset:64
	s_waitcnt vmcnt(0) lgkmcnt(0)
	v_mul_f32_e32 v0, s20, v0
	v_fmac_f32_e32 v0, s3, v7
	flat_store_dword v[2:3], v0 offset:64
	s_endpgm
	.section	.rodata,"a",@progbits
	.p2align	6, 0x0
	.amdhsa_kernel _ZN12_GLOBAL__N_135rocblas_gemm_batched_general_kernelIfLi16ELi16ELi32ELi32ELi8ELi32ELi8ELi8ELi32ELc84ELc78EKPKfS3_KPfEEvlllT_PT11_llS8_llS6_PT12_llPT13_lli
		.amdhsa_group_segment_fixed_size 2048
		.amdhsa_private_segment_fixed_size 0
		.amdhsa_kernarg_size 140
		.amdhsa_user_sgpr_count 6
		.amdhsa_user_sgpr_private_segment_buffer 1
		.amdhsa_user_sgpr_dispatch_ptr 0
		.amdhsa_user_sgpr_queue_ptr 0
		.amdhsa_user_sgpr_kernarg_segment_ptr 1
		.amdhsa_user_sgpr_dispatch_id 0
		.amdhsa_user_sgpr_flat_scratch_init 0
		.amdhsa_user_sgpr_private_segment_size 0
		.amdhsa_wavefront_size32 1
		.amdhsa_uses_dynamic_stack 0
		.amdhsa_system_sgpr_private_segment_wavefront_offset 0
		.amdhsa_system_sgpr_workgroup_id_x 1
		.amdhsa_system_sgpr_workgroup_id_y 1
		.amdhsa_system_sgpr_workgroup_id_z 1
		.amdhsa_system_sgpr_workgroup_info 0
		.amdhsa_system_vgpr_workitem_id 1
		.amdhsa_next_free_vgpr 44
		.amdhsa_next_free_sgpr 40
		.amdhsa_reserve_vcc 1
		.amdhsa_reserve_flat_scratch 0
		.amdhsa_float_round_mode_32 0
		.amdhsa_float_round_mode_16_64 0
		.amdhsa_float_denorm_mode_32 3
		.amdhsa_float_denorm_mode_16_64 3
		.amdhsa_dx10_clamp 1
		.amdhsa_ieee_mode 1
		.amdhsa_fp16_overflow 0
		.amdhsa_workgroup_processor_mode 1
		.amdhsa_memory_ordered 1
		.amdhsa_forward_progress 1
		.amdhsa_shared_vgpr_count 0
		.amdhsa_exception_fp_ieee_invalid_op 0
		.amdhsa_exception_fp_denorm_src 0
		.amdhsa_exception_fp_ieee_div_zero 0
		.amdhsa_exception_fp_ieee_overflow 0
		.amdhsa_exception_fp_ieee_underflow 0
		.amdhsa_exception_fp_ieee_inexact 0
		.amdhsa_exception_int_div_zero 0
	.end_amdhsa_kernel
	.section	.text._ZN12_GLOBAL__N_135rocblas_gemm_batched_general_kernelIfLi16ELi16ELi32ELi32ELi8ELi32ELi8ELi8ELi32ELc84ELc78EKPKfS3_KPfEEvlllT_PT11_llS8_llS6_PT12_llPT13_lli,"axG",@progbits,_ZN12_GLOBAL__N_135rocblas_gemm_batched_general_kernelIfLi16ELi16ELi32ELi32ELi8ELi32ELi8ELi8ELi32ELc84ELc78EKPKfS3_KPfEEvlllT_PT11_llS8_llS6_PT12_llPT13_lli,comdat
.Lfunc_end195:
	.size	_ZN12_GLOBAL__N_135rocblas_gemm_batched_general_kernelIfLi16ELi16ELi32ELi32ELi8ELi32ELi8ELi8ELi32ELc84ELc78EKPKfS3_KPfEEvlllT_PT11_llS8_llS6_PT12_llPT13_lli, .Lfunc_end195-_ZN12_GLOBAL__N_135rocblas_gemm_batched_general_kernelIfLi16ELi16ELi32ELi32ELi8ELi32ELi8ELi8ELi32ELc84ELc78EKPKfS3_KPfEEvlllT_PT11_llS8_llS6_PT12_llPT13_lli
                                        ; -- End function
	.set _ZN12_GLOBAL__N_135rocblas_gemm_batched_general_kernelIfLi16ELi16ELi32ELi32ELi8ELi32ELi8ELi8ELi32ELc84ELc78EKPKfS3_KPfEEvlllT_PT11_llS8_llS6_PT12_llPT13_lli.num_vgpr, 44
	.set _ZN12_GLOBAL__N_135rocblas_gemm_batched_general_kernelIfLi16ELi16ELi32ELi32ELi8ELi32ELi8ELi8ELi32ELc84ELc78EKPKfS3_KPfEEvlllT_PT11_llS8_llS6_PT12_llPT13_lli.num_agpr, 0
	.set _ZN12_GLOBAL__N_135rocblas_gemm_batched_general_kernelIfLi16ELi16ELi32ELi32ELi8ELi32ELi8ELi8ELi32ELc84ELc78EKPKfS3_KPfEEvlllT_PT11_llS8_llS6_PT12_llPT13_lli.numbered_sgpr, 40
	.set _ZN12_GLOBAL__N_135rocblas_gemm_batched_general_kernelIfLi16ELi16ELi32ELi32ELi8ELi32ELi8ELi8ELi32ELc84ELc78EKPKfS3_KPfEEvlllT_PT11_llS8_llS6_PT12_llPT13_lli.num_named_barrier, 0
	.set _ZN12_GLOBAL__N_135rocblas_gemm_batched_general_kernelIfLi16ELi16ELi32ELi32ELi8ELi32ELi8ELi8ELi32ELc84ELc78EKPKfS3_KPfEEvlllT_PT11_llS8_llS6_PT12_llPT13_lli.private_seg_size, 0
	.set _ZN12_GLOBAL__N_135rocblas_gemm_batched_general_kernelIfLi16ELi16ELi32ELi32ELi8ELi32ELi8ELi8ELi32ELc84ELc78EKPKfS3_KPfEEvlllT_PT11_llS8_llS6_PT12_llPT13_lli.uses_vcc, 1
	.set _ZN12_GLOBAL__N_135rocblas_gemm_batched_general_kernelIfLi16ELi16ELi32ELi32ELi8ELi32ELi8ELi8ELi32ELc84ELc78EKPKfS3_KPfEEvlllT_PT11_llS8_llS6_PT12_llPT13_lli.uses_flat_scratch, 0
	.set _ZN12_GLOBAL__N_135rocblas_gemm_batched_general_kernelIfLi16ELi16ELi32ELi32ELi8ELi32ELi8ELi8ELi32ELc84ELc78EKPKfS3_KPfEEvlllT_PT11_llS8_llS6_PT12_llPT13_lli.has_dyn_sized_stack, 0
	.set _ZN12_GLOBAL__N_135rocblas_gemm_batched_general_kernelIfLi16ELi16ELi32ELi32ELi8ELi32ELi8ELi8ELi32ELc84ELc78EKPKfS3_KPfEEvlllT_PT11_llS8_llS6_PT12_llPT13_lli.has_recursion, 0
	.set _ZN12_GLOBAL__N_135rocblas_gemm_batched_general_kernelIfLi16ELi16ELi32ELi32ELi8ELi32ELi8ELi8ELi32ELc84ELc78EKPKfS3_KPfEEvlllT_PT11_llS8_llS6_PT12_llPT13_lli.has_indirect_call, 0
	.section	.AMDGPU.csdata,"",@progbits
; Kernel info:
; codeLenInByte = 1896
; TotalNumSgprs: 42
; NumVgprs: 44
; ScratchSize: 0
; MemoryBound: 0
; FloatMode: 240
; IeeeMode: 1
; LDSByteSize: 2048 bytes/workgroup (compile time only)
; SGPRBlocks: 0
; VGPRBlocks: 5
; NumSGPRsForWavesPerEU: 42
; NumVGPRsForWavesPerEU: 44
; Occupancy: 16
; WaveLimiterHint : 1
; COMPUTE_PGM_RSRC2:SCRATCH_EN: 0
; COMPUTE_PGM_RSRC2:USER_SGPR: 6
; COMPUTE_PGM_RSRC2:TRAP_HANDLER: 0
; COMPUTE_PGM_RSRC2:TGID_X_EN: 1
; COMPUTE_PGM_RSRC2:TGID_Y_EN: 1
; COMPUTE_PGM_RSRC2:TGID_Z_EN: 1
; COMPUTE_PGM_RSRC2:TIDIG_COMP_CNT: 1
	.section	.text._ZN12_GLOBAL__N_135rocblas_gemm_batched_general_kernelIfLi16ELi16ELi32ELi32ELi8ELi32ELi8ELi8ELi32ELc78ELc84EKPKfS3_KPfEEvlllT_PT11_llS8_llS6_PT12_llPT13_lli,"axG",@progbits,_ZN12_GLOBAL__N_135rocblas_gemm_batched_general_kernelIfLi16ELi16ELi32ELi32ELi8ELi32ELi8ELi8ELi32ELc78ELc84EKPKfS3_KPfEEvlllT_PT11_llS8_llS6_PT12_llPT13_lli,comdat
	.globl	_ZN12_GLOBAL__N_135rocblas_gemm_batched_general_kernelIfLi16ELi16ELi32ELi32ELi8ELi32ELi8ELi8ELi32ELc78ELc84EKPKfS3_KPfEEvlllT_PT11_llS8_llS6_PT12_llPT13_lli ; -- Begin function _ZN12_GLOBAL__N_135rocblas_gemm_batched_general_kernelIfLi16ELi16ELi32ELi32ELi8ELi32ELi8ELi8ELi32ELc78ELc84EKPKfS3_KPfEEvlllT_PT11_llS8_llS6_PT12_llPT13_lli
	.p2align	8
	.type	_ZN12_GLOBAL__N_135rocblas_gemm_batched_general_kernelIfLi16ELi16ELi32ELi32ELi8ELi32ELi8ELi8ELi32ELc78ELc84EKPKfS3_KPfEEvlllT_PT11_llS8_llS6_PT12_llPT13_lli,@function
_ZN12_GLOBAL__N_135rocblas_gemm_batched_general_kernelIfLi16ELi16ELi32ELi32ELi8ELi32ELi8ELi8ELi32ELc78ELc84EKPKfS3_KPfEEvlllT_PT11_llS8_llS6_PT12_llPT13_lli: ; @_ZN12_GLOBAL__N_135rocblas_gemm_batched_general_kernelIfLi16ELi16ELi32ELi32ELi8ELi32ELi8ELi8ELi32ELc78ELc84EKPKfS3_KPfEEvlllT_PT11_llS8_llS6_PT12_llPT13_lli
; %bb.0:
	s_clause 0x1
	s_load_dwordx8 s[12:19], s[4:5], 0x58
	s_load_dwordx2 s[34:35], s[4:5], 0x10
	s_mov_b32 s9, 0
	s_load_dwordx4 s[28:31], s[4:5], 0x0
	s_lshl_b64 s[44:45], s[8:9], 3
	s_load_dwordx4 s[8:11], s[4:5], 0x78
	s_mov_b32 s42, s7
	v_mov_b32_e32 v10, 0
	v_mov_b32_e32 v9, 0
	;; [unrolled: 1-line block ×4, first 2 shown]
	s_waitcnt lgkmcnt(0)
	s_add_u32 s0, s12, s44
	s_addc_u32 s1, s13, s45
	s_add_u32 s2, s18, s44
	s_addc_u32 s3, s19, s45
	s_load_dwordx2 s[12:13], s[0:1], 0x0
	s_load_dwordx2 s[2:3], s[2:3], 0x0
	v_cmp_lt_i64_e64 s0, s[34:35], 1
	s_ashr_i32 s7, s6, 31
	s_ashr_i32 s43, s42, 31
	s_lshl_b64 s[18:19], s[6:7], 5
	s_lshl_b64 s[40:41], s[42:43], 5
	s_and_b32 vcc_lo, exec_lo, s0
	s_cbranch_vccnz .LBB196_7
; %bb.1:
	s_clause 0x1
	s_load_dwordx4 s[36:39], s[4:5], 0x40
	s_load_dwordx8 s[20:27], s[4:5], 0x20
	v_lshl_add_u32 v2, v1, 4, v0
	v_and_b32_e32 v6, 7, v0
	v_mov_b32_e32 v3, s19
	v_mov_b32_e32 v7, 0
	v_lshlrev_b32_e32 v11, 2, v0
	v_lshrrev_b32_e32 v13, 5, v2
	v_and_b32_e32 v14, 31, v2
	v_lshrrev_b32_e32 v10, 3, v2
	v_lshlrev_b32_e32 v15, 2, v6
	v_lshl_add_u32 v12, v1, 5, 0x400
	v_or_b32_e32 v2, s18, v14
	v_add_co_u32 v4, s0, v10, s40
	v_add_co_ci_u32_e64 v5, null, 0, s41, s0
	v_cmp_gt_i64_e64 s0, s[28:29], v[2:3]
	v_lshl_or_b32 v15, v10, 5, v15
	s_waitcnt lgkmcnt(0)
	v_mad_u64_u32 v[8:9], null, s36, v6, 0
	v_mad_u64_u32 v[16:17], null, s22, v13, 0
	v_cmp_gt_i64_e64 s1, s[30:31], v[4:5]
	s_add_u32 s26, s26, s44
	s_addc_u32 s27, s27, s45
	s_add_u32 s20, s20, s44
	v_mov_b32_e32 v2, v9
	s_load_dwordx2 s[26:27], s[26:27], 0x0
	v_mov_b32_e32 v3, v17
	s_addc_u32 s21, s21, s45
	s_lshl_b64 s[42:43], s[42:43], 7
	s_load_dwordx2 s[20:21], s[20:21], 0x0
	s_lshl_b64 s[38:39], s[38:39], 2
	v_mad_u64_u32 v[4:5], null, s37, v6, v[2:3]
	s_add_u32 s33, s38, s42
	s_addc_u32 s42, s39, s43
	s_lshl_b64 s[38:39], s[6:7], 7
	s_lshl_b64 s[24:25], s[24:25], 2
	;; [unrolled: 1-line block ×3, first 2 shown]
	v_lshlrev_b32_e32 v10, 2, v10
	v_mad_u64_u32 v[2:3], null, s23, v13, v[3:4]
	v_mov_b32_e32 v9, v4
	s_add_u32 s24, s24, s38
	v_lshlrev_b32_e32 v18, 2, v14
	s_addc_u32 s25, s25, s39
	v_add_nc_u32_e32 v15, 0x400, v15
	v_mov_b32_e32 v17, v2
	v_lshlrev_b64 v[2:3], 2, v[8:9]
	v_lshl_or_b32 v14, v13, 7, v18
	v_mov_b32_e32 v8, 0
	v_mov_b32_e32 v9, 0
	v_lshlrev_b64 v[4:5], 2, v[16:17]
	v_add_co_u32 v2, vcc_lo, s33, v2
	v_add_co_ci_u32_e64 v3, null, s42, v3, vcc_lo
	v_add_co_u32 v4, vcc_lo, s24, v4
	v_add_co_ci_u32_e64 v5, null, s25, v5, vcc_lo
	;; [unrolled: 2-line block ×4, first 2 shown]
	s_waitcnt lgkmcnt(0)
	v_add_co_u32 v2, vcc_lo, s26, v2
	v_add_co_ci_u32_e64 v3, null, s27, v3, vcc_lo
	v_add_co_u32 v4, vcc_lo, s20, v4
	v_add_co_ci_u32_e64 v5, null, s21, v5, vcc_lo
	v_mov_b32_e32 v10, 0
	s_lshl_b64 s[20:21], s[22:23], 5
	s_mov_b64 s[22:23], 0
	s_branch .LBB196_3
.LBB196_2:                              ;   in Loop: Header=BB196_3 Depth=1
	s_or_b32 exec_lo, exec_lo, s24
	s_waitcnt vmcnt(0) lgkmcnt(0)
	ds_write_b32 v15, v17
	s_waitcnt lgkmcnt(0)
	s_barrier
	buffer_gl0_inv
	ds_read_b128 v[16:19], v12
	ds_read2_b32 v[32:33], v11 offset1:16
	ds_read_b128 v[20:23], v12 offset:512
	ds_read2_b32 v[34:35], v11 offset0:32 offset1:48
	ds_read2_b32 v[36:37], v11 offset0:64 offset1:80
	ds_read2_b32 v[38:39], v11 offset0:96 offset1:112
	ds_read_b128 v[24:27], v12 offset:16
	ds_read2_b32 v[40:41], v11 offset0:128 offset1:144
	ds_read_b128 v[28:31], v12 offset:528
	ds_read2_b32 v[42:43], v11 offset0:160 offset1:176
	s_add_u32 s22, s22, 8
	s_addc_u32 s23, s23, 0
	v_add_co_u32 v2, vcc_lo, v2, s6
	v_cmp_lt_i64_e64 s24, s[22:23], s[34:35]
	v_add_co_ci_u32_e64 v3, null, s7, v3, vcc_lo
	v_add_co_u32 v4, vcc_lo, v4, s20
	v_add_co_ci_u32_e64 v5, null, s21, v5, vcc_lo
	s_waitcnt lgkmcnt(8)
	v_fmac_f32_e32 v10, v32, v16
	v_fmac_f32_e32 v9, v33, v16
	s_waitcnt lgkmcnt(7)
	v_fmac_f32_e32 v8, v32, v20
	v_fmac_f32_e32 v7, v33, v20
	ds_read2_b32 v[32:33], v11 offset0:192 offset1:208
	s_waitcnt lgkmcnt(7)
	v_fmac_f32_e32 v10, v34, v17
	v_fmac_f32_e32 v9, v35, v17
	;; [unrolled: 1-line block ×4, first 2 shown]
	ds_read2_b32 v[16:17], v11 offset0:224 offset1:240
	s_waitcnt lgkmcnt(7)
	v_fmac_f32_e32 v10, v36, v18
	v_fmac_f32_e32 v9, v37, v18
	;; [unrolled: 1-line block ×4, first 2 shown]
	s_and_b32 vcc_lo, exec_lo, s24
	s_waitcnt lgkmcnt(6)
	v_fmac_f32_e32 v10, v38, v19
	v_fmac_f32_e32 v9, v39, v19
	;; [unrolled: 1-line block ×4, first 2 shown]
	s_waitcnt lgkmcnt(0)
	v_fmac_f32_e32 v10, v40, v24
	v_fmac_f32_e32 v9, v41, v24
	;; [unrolled: 1-line block ×4, first 2 shown]
	s_barrier
	v_fmac_f32_e32 v10, v42, v25
	v_fmac_f32_e32 v9, v43, v25
	;; [unrolled: 1-line block ×4, first 2 shown]
	buffer_gl0_inv
	v_fmac_f32_e32 v10, v32, v26
	v_fmac_f32_e32 v9, v33, v26
	;; [unrolled: 1-line block ×8, first 2 shown]
	s_cbranch_vccz .LBB196_7
.LBB196_3:                              ; =>This Inner Loop Header: Depth=1
	v_add_co_u32 v16, s24, v13, s22
	v_add_co_ci_u32_e64 v17, null, 0, s23, s24
	v_cmp_gt_i64_e32 vcc_lo, s[34:35], v[16:17]
	v_mov_b32_e32 v16, 0
	s_and_b32 s25, s0, vcc_lo
	s_and_saveexec_b32 s24, s25
	s_cbranch_execz .LBB196_5
; %bb.4:                                ;   in Loop: Header=BB196_3 Depth=1
	flat_load_dword v16, v[4:5]
.LBB196_5:                              ;   in Loop: Header=BB196_3 Depth=1
	s_or_b32 exec_lo, exec_lo, s24
	v_add_co_u32 v17, s24, v6, s22
	v_add_co_ci_u32_e64 v18, null, 0, s23, s24
	s_waitcnt vmcnt(0) lgkmcnt(0)
	ds_write_b32 v14, v16
	v_cmp_gt_i64_e32 vcc_lo, s[34:35], v[17:18]
	v_mov_b32_e32 v17, 0
	s_and_b32 s25, vcc_lo, s1
	s_and_saveexec_b32 s24, s25
	s_cbranch_execz .LBB196_2
; %bb.6:                                ;   in Loop: Header=BB196_3 Depth=1
	flat_load_dword v17, v[2:3]
	s_branch .LBB196_2
.LBB196_7:
	s_clause 0x1
	s_load_dword s6, s[4:5], 0x50
	s_load_dword s4, s[4:5], 0x18
	v_add_co_u32 v1, s5, s40, v1
	v_add_co_ci_u32_e64 v2, null, s41, 0, s5
	s_lshl_b64 s[0:1], s[10:11], 2
	s_waitcnt lgkmcnt(0)
	s_add_u32 s5, s2, s0
	v_cmp_gt_i64_e64 s0, s[30:31], v[1:2]
	s_addc_u32 s3, s3, s1
	v_cmp_neq_f32_e64 s7, s6, 0
	s_and_b32 vcc_lo, exec_lo, s7
	s_cbranch_vccnz .LBB196_20
; %bb.8:
	s_and_saveexec_b32 s7, s0
	s_cbranch_execz .LBB196_18
; %bb.9:
	v_mul_lo_u32 v5, v2, s8
	v_mul_lo_u32 v6, v1, s9
	v_mad_u64_u32 v[3:4], null, v1, s8, 0
	v_add3_u32 v4, v4, v6, v5
	v_add_co_u32 v5, s1, s18, v0
	v_add_co_ci_u32_e64 v6, null, s19, 0, s1
	v_lshlrev_b64 v[11:12], 2, v[3:4]
	v_cmp_gt_i64_e32 vcc_lo, s[28:29], v[5:6]
	v_lshlrev_b64 v[3:4], 2, v[5:6]
	v_add_co_u32 v11, s1, s5, v11
	v_add_co_ci_u32_e64 v12, null, s3, v12, s1
	s_and_saveexec_b32 s2, vcc_lo
	s_cbranch_execz .LBB196_11
; %bb.10:
	v_add_co_u32 v13, s1, v11, v3
	v_add_co_ci_u32_e64 v14, null, v12, v4, s1
	v_mul_f32_e32 v15, s4, v10
	flat_store_dword v[13:14], v15
.LBB196_11:
	s_or_b32 exec_lo, exec_lo, s2
	v_add_co_u32 v5, s1, v5, 16
	v_add_co_ci_u32_e64 v6, null, 0, v6, s1
	v_cmp_gt_i64_e64 s1, s[28:29], v[5:6]
	s_and_saveexec_b32 s10, s1
	s_cbranch_execz .LBB196_13
; %bb.12:
	v_add_co_u32 v5, s2, v11, v3
	v_add_co_ci_u32_e64 v6, null, v12, v4, s2
	v_mul_f32_e32 v13, s4, v9
	flat_store_dword v[5:6], v13 offset:64
.LBB196_13:
	s_or_b32 exec_lo, exec_lo, s10
	v_add_co_u32 v5, s2, v1, 16
	v_add_co_ci_u32_e64 v6, null, 0, v2, s2
	v_cmp_gt_i64_e64 s2, s[30:31], v[5:6]
	s_and_b32 exec_lo, exec_lo, s2
	s_cbranch_execz .LBB196_18
; %bb.14:
	s_lshl_b64 s[10:11], s[8:9], 6
	v_add_co_u32 v5, s2, v11, s10
	v_add_co_ci_u32_e64 v6, null, s11, v12, s2
	v_add_co_u32 v3, s2, v5, v3
	v_add_co_ci_u32_e64 v4, null, v6, v4, s2
	s_and_saveexec_b32 s2, vcc_lo
	s_cbranch_execz .LBB196_16
; %bb.15:
	v_mul_f32_e32 v5, s4, v8
	flat_store_dword v[3:4], v5
.LBB196_16:
	s_or_b32 exec_lo, exec_lo, s2
	s_and_b32 exec_lo, exec_lo, s1
	s_cbranch_execz .LBB196_18
; %bb.17:
	v_mul_f32_e32 v5, s4, v7
	flat_store_dword v[3:4], v5 offset:64
.LBB196_18:
	s_or_b32 exec_lo, exec_lo, s7
	s_cbranch_execz .LBB196_21
.LBB196_19:
	s_endpgm
.LBB196_20:
.LBB196_21:
	s_and_saveexec_b32 s1, s0
	s_cbranch_execz .LBB196_19
; %bb.22:
	v_mul_lo_u32 v5, v2, s14
	v_mul_lo_u32 v6, v1, s15
	v_mad_u64_u32 v[3:4], null, v1, s14, 0
	v_mul_lo_u32 v13, v2, s8
	v_mul_lo_u32 v14, v1, s9
	v_mad_u64_u32 v[11:12], null, v1, s8, 0
	s_lshl_b64 s[0:1], s[16:17], 2
	v_add3_u32 v4, v4, v6, v5
	v_add_co_u32 v5, s2, s18, v0
	v_add_co_ci_u32_e64 v6, null, s19, 0, s2
	v_add3_u32 v12, v12, v14, v13
	v_lshlrev_b64 v[3:4], 2, v[3:4]
	s_add_u32 s0, s12, s0
	s_addc_u32 s1, s13, s1
	v_cmp_gt_i64_e32 vcc_lo, s[28:29], v[5:6]
	v_lshlrev_b64 v[12:13], 2, v[11:12]
	v_add_co_u32 v0, s0, s0, v3
	v_add_co_ci_u32_e64 v11, null, s1, v4, s0
	v_add_co_u32 v12, s0, s5, v12
	v_lshlrev_b64 v[3:4], 2, v[5:6]
	v_add_co_ci_u32_e64 v13, null, s3, v13, s0
	s_and_saveexec_b32 s1, vcc_lo
	s_cbranch_execz .LBB196_24
; %bb.23:
	v_add_co_u32 v14, s0, v0, v3
	v_add_co_ci_u32_e64 v15, null, v11, v4, s0
	flat_load_dword v14, v[14:15]
	s_waitcnt vmcnt(0) lgkmcnt(0)
	v_mul_f32_e32 v16, s6, v14
	v_add_co_u32 v14, s0, v12, v3
	v_add_co_ci_u32_e64 v15, null, v13, v4, s0
	v_fmac_f32_e32 v16, s4, v10
	flat_store_dword v[14:15], v16
.LBB196_24:
	s_or_b32 exec_lo, exec_lo, s1
	v_add_co_u32 v5, s0, v5, 16
	v_add_co_ci_u32_e64 v6, null, 0, v6, s0
	v_cmp_gt_i64_e64 s0, s[28:29], v[5:6]
	s_and_saveexec_b32 s2, s0
	s_cbranch_execz .LBB196_26
; %bb.25:
	v_add_co_u32 v5, s1, v0, v3
	v_add_co_ci_u32_e64 v6, null, v11, v4, s1
	flat_load_dword v5, v[5:6] offset:64
	s_waitcnt vmcnt(0) lgkmcnt(0)
	v_mul_f32_e32 v10, s6, v5
	v_add_co_u32 v5, s1, v12, v3
	v_add_co_ci_u32_e64 v6, null, v13, v4, s1
	v_fmac_f32_e32 v10, s4, v9
	flat_store_dword v[5:6], v10 offset:64
.LBB196_26:
	s_or_b32 exec_lo, exec_lo, s2
	v_add_co_u32 v1, s1, v1, 16
	v_add_co_ci_u32_e64 v2, null, 0, v2, s1
	v_cmp_gt_i64_e64 s1, s[30:31], v[1:2]
	s_and_b32 exec_lo, exec_lo, s1
	s_cbranch_execz .LBB196_19
; %bb.27:
	s_lshl_b64 s[2:3], s[14:15], 6
	v_add_co_u32 v0, s1, v0, s2
	v_add_co_ci_u32_e64 v1, null, s3, v11, s1
	s_lshl_b64 s[2:3], s[8:9], 6
	v_add_co_u32 v2, s1, v12, s2
	v_add_co_ci_u32_e64 v5, null, s3, v13, s1
	v_add_co_u32 v0, s1, v0, v3
	v_add_co_ci_u32_e64 v1, null, v1, v4, s1
	;; [unrolled: 2-line block ×3, first 2 shown]
	s_and_saveexec_b32 s1, vcc_lo
	s_cbranch_execz .LBB196_29
; %bb.28:
	flat_load_dword v4, v[0:1]
	s_waitcnt vmcnt(0) lgkmcnt(0)
	v_mul_f32_e32 v4, s6, v4
	v_fmac_f32_e32 v4, s4, v8
	flat_store_dword v[2:3], v4
.LBB196_29:
	s_or_b32 exec_lo, exec_lo, s1
	s_and_b32 exec_lo, exec_lo, s0
	s_cbranch_execz .LBB196_19
; %bb.30:
	flat_load_dword v0, v[0:1] offset:64
	s_waitcnt vmcnt(0) lgkmcnt(0)
	v_mul_f32_e32 v0, s6, v0
	v_fmac_f32_e32 v0, s4, v7
	flat_store_dword v[2:3], v0 offset:64
	s_endpgm
	.section	.rodata,"a",@progbits
	.p2align	6, 0x0
	.amdhsa_kernel _ZN12_GLOBAL__N_135rocblas_gemm_batched_general_kernelIfLi16ELi16ELi32ELi32ELi8ELi32ELi8ELi8ELi32ELc78ELc84EKPKfS3_KPfEEvlllT_PT11_llS8_llS6_PT12_llPT13_lli
		.amdhsa_group_segment_fixed_size 2048
		.amdhsa_private_segment_fixed_size 0
		.amdhsa_kernarg_size 140
		.amdhsa_user_sgpr_count 6
		.amdhsa_user_sgpr_private_segment_buffer 1
		.amdhsa_user_sgpr_dispatch_ptr 0
		.amdhsa_user_sgpr_queue_ptr 0
		.amdhsa_user_sgpr_kernarg_segment_ptr 1
		.amdhsa_user_sgpr_dispatch_id 0
		.amdhsa_user_sgpr_flat_scratch_init 0
		.amdhsa_user_sgpr_private_segment_size 0
		.amdhsa_wavefront_size32 1
		.amdhsa_uses_dynamic_stack 0
		.amdhsa_system_sgpr_private_segment_wavefront_offset 0
		.amdhsa_system_sgpr_workgroup_id_x 1
		.amdhsa_system_sgpr_workgroup_id_y 1
		.amdhsa_system_sgpr_workgroup_id_z 1
		.amdhsa_system_sgpr_workgroup_info 0
		.amdhsa_system_vgpr_workitem_id 1
		.amdhsa_next_free_vgpr 44
		.amdhsa_next_free_sgpr 46
		.amdhsa_reserve_vcc 1
		.amdhsa_reserve_flat_scratch 0
		.amdhsa_float_round_mode_32 0
		.amdhsa_float_round_mode_16_64 0
		.amdhsa_float_denorm_mode_32 3
		.amdhsa_float_denorm_mode_16_64 3
		.amdhsa_dx10_clamp 1
		.amdhsa_ieee_mode 1
		.amdhsa_fp16_overflow 0
		.amdhsa_workgroup_processor_mode 1
		.amdhsa_memory_ordered 1
		.amdhsa_forward_progress 1
		.amdhsa_shared_vgpr_count 0
		.amdhsa_exception_fp_ieee_invalid_op 0
		.amdhsa_exception_fp_denorm_src 0
		.amdhsa_exception_fp_ieee_div_zero 0
		.amdhsa_exception_fp_ieee_overflow 0
		.amdhsa_exception_fp_ieee_underflow 0
		.amdhsa_exception_fp_ieee_inexact 0
		.amdhsa_exception_int_div_zero 0
	.end_amdhsa_kernel
	.section	.text._ZN12_GLOBAL__N_135rocblas_gemm_batched_general_kernelIfLi16ELi16ELi32ELi32ELi8ELi32ELi8ELi8ELi32ELc78ELc84EKPKfS3_KPfEEvlllT_PT11_llS8_llS6_PT12_llPT13_lli,"axG",@progbits,_ZN12_GLOBAL__N_135rocblas_gemm_batched_general_kernelIfLi16ELi16ELi32ELi32ELi8ELi32ELi8ELi8ELi32ELc78ELc84EKPKfS3_KPfEEvlllT_PT11_llS8_llS6_PT12_llPT13_lli,comdat
.Lfunc_end196:
	.size	_ZN12_GLOBAL__N_135rocblas_gemm_batched_general_kernelIfLi16ELi16ELi32ELi32ELi8ELi32ELi8ELi8ELi32ELc78ELc84EKPKfS3_KPfEEvlllT_PT11_llS8_llS6_PT12_llPT13_lli, .Lfunc_end196-_ZN12_GLOBAL__N_135rocblas_gemm_batched_general_kernelIfLi16ELi16ELi32ELi32ELi8ELi32ELi8ELi8ELi32ELc78ELc84EKPKfS3_KPfEEvlllT_PT11_llS8_llS6_PT12_llPT13_lli
                                        ; -- End function
	.set _ZN12_GLOBAL__N_135rocblas_gemm_batched_general_kernelIfLi16ELi16ELi32ELi32ELi8ELi32ELi8ELi8ELi32ELc78ELc84EKPKfS3_KPfEEvlllT_PT11_llS8_llS6_PT12_llPT13_lli.num_vgpr, 44
	.set _ZN12_GLOBAL__N_135rocblas_gemm_batched_general_kernelIfLi16ELi16ELi32ELi32ELi8ELi32ELi8ELi8ELi32ELc78ELc84EKPKfS3_KPfEEvlllT_PT11_llS8_llS6_PT12_llPT13_lli.num_agpr, 0
	.set _ZN12_GLOBAL__N_135rocblas_gemm_batched_general_kernelIfLi16ELi16ELi32ELi32ELi8ELi32ELi8ELi8ELi32ELc78ELc84EKPKfS3_KPfEEvlllT_PT11_llS8_llS6_PT12_llPT13_lli.numbered_sgpr, 46
	.set _ZN12_GLOBAL__N_135rocblas_gemm_batched_general_kernelIfLi16ELi16ELi32ELi32ELi8ELi32ELi8ELi8ELi32ELc78ELc84EKPKfS3_KPfEEvlllT_PT11_llS8_llS6_PT12_llPT13_lli.num_named_barrier, 0
	.set _ZN12_GLOBAL__N_135rocblas_gemm_batched_general_kernelIfLi16ELi16ELi32ELi32ELi8ELi32ELi8ELi8ELi32ELc78ELc84EKPKfS3_KPfEEvlllT_PT11_llS8_llS6_PT12_llPT13_lli.private_seg_size, 0
	.set _ZN12_GLOBAL__N_135rocblas_gemm_batched_general_kernelIfLi16ELi16ELi32ELi32ELi8ELi32ELi8ELi8ELi32ELc78ELc84EKPKfS3_KPfEEvlllT_PT11_llS8_llS6_PT12_llPT13_lli.uses_vcc, 1
	.set _ZN12_GLOBAL__N_135rocblas_gemm_batched_general_kernelIfLi16ELi16ELi32ELi32ELi8ELi32ELi8ELi8ELi32ELc78ELc84EKPKfS3_KPfEEvlllT_PT11_llS8_llS6_PT12_llPT13_lli.uses_flat_scratch, 0
	.set _ZN12_GLOBAL__N_135rocblas_gemm_batched_general_kernelIfLi16ELi16ELi32ELi32ELi8ELi32ELi8ELi8ELi32ELc78ELc84EKPKfS3_KPfEEvlllT_PT11_llS8_llS6_PT12_llPT13_lli.has_dyn_sized_stack, 0
	.set _ZN12_GLOBAL__N_135rocblas_gemm_batched_general_kernelIfLi16ELi16ELi32ELi32ELi8ELi32ELi8ELi8ELi32ELc78ELc84EKPKfS3_KPfEEvlllT_PT11_llS8_llS6_PT12_llPT13_lli.has_recursion, 0
	.set _ZN12_GLOBAL__N_135rocblas_gemm_batched_general_kernelIfLi16ELi16ELi32ELi32ELi8ELi32ELi8ELi8ELi32ELc78ELc84EKPKfS3_KPfEEvlllT_PT11_llS8_llS6_PT12_llPT13_lli.has_indirect_call, 0
	.section	.AMDGPU.csdata,"",@progbits
; Kernel info:
; codeLenInByte = 1896
; TotalNumSgprs: 48
; NumVgprs: 44
; ScratchSize: 0
; MemoryBound: 0
; FloatMode: 240
; IeeeMode: 1
; LDSByteSize: 2048 bytes/workgroup (compile time only)
; SGPRBlocks: 0
; VGPRBlocks: 5
; NumSGPRsForWavesPerEU: 48
; NumVGPRsForWavesPerEU: 44
; Occupancy: 16
; WaveLimiterHint : 1
; COMPUTE_PGM_RSRC2:SCRATCH_EN: 0
; COMPUTE_PGM_RSRC2:USER_SGPR: 6
; COMPUTE_PGM_RSRC2:TRAP_HANDLER: 0
; COMPUTE_PGM_RSRC2:TGID_X_EN: 1
; COMPUTE_PGM_RSRC2:TGID_Y_EN: 1
; COMPUTE_PGM_RSRC2:TGID_Z_EN: 1
; COMPUTE_PGM_RSRC2:TIDIG_COMP_CNT: 1
	.section	.text._ZN12_GLOBAL__N_135rocblas_gemm_batched_general_kernelIfLi16ELi16ELi32ELi32ELi8ELi32ELi8ELi8ELi32ELc84ELc84EKPKfS3_KPfEEvlllT_PT11_llS8_llS6_PT12_llPT13_lli,"axG",@progbits,_ZN12_GLOBAL__N_135rocblas_gemm_batched_general_kernelIfLi16ELi16ELi32ELi32ELi8ELi32ELi8ELi8ELi32ELc84ELc84EKPKfS3_KPfEEvlllT_PT11_llS8_llS6_PT12_llPT13_lli,comdat
	.globl	_ZN12_GLOBAL__N_135rocblas_gemm_batched_general_kernelIfLi16ELi16ELi32ELi32ELi8ELi32ELi8ELi8ELi32ELc84ELc84EKPKfS3_KPfEEvlllT_PT11_llS8_llS6_PT12_llPT13_lli ; -- Begin function _ZN12_GLOBAL__N_135rocblas_gemm_batched_general_kernelIfLi16ELi16ELi32ELi32ELi8ELi32ELi8ELi8ELi32ELc84ELc84EKPKfS3_KPfEEvlllT_PT11_llS8_llS6_PT12_llPT13_lli
	.p2align	8
	.type	_ZN12_GLOBAL__N_135rocblas_gemm_batched_general_kernelIfLi16ELi16ELi32ELi32ELi8ELi32ELi8ELi8ELi32ELc84ELc84EKPKfS3_KPfEEvlllT_PT11_llS8_llS6_PT12_llPT13_lli,@function
_ZN12_GLOBAL__N_135rocblas_gemm_batched_general_kernelIfLi16ELi16ELi32ELi32ELi8ELi32ELi8ELi8ELi32ELc84ELc84EKPKfS3_KPfEEvlllT_PT11_llS8_llS6_PT12_llPT13_lli: ; @_ZN12_GLOBAL__N_135rocblas_gemm_batched_general_kernelIfLi16ELi16ELi32ELi32ELi8ELi32ELi8ELi8ELi32ELc84ELc84EKPKfS3_KPfEEvlllT_PT11_llS8_llS6_PT12_llPT13_lli
; %bb.0:
	s_clause 0x1
	s_load_dwordx8 s[12:19], s[4:5], 0x58
	s_load_dwordx2 s[34:35], s[4:5], 0x10
	s_mov_b32 s9, 0
	s_load_dwordx4 s[28:31], s[4:5], 0x0
	s_lshl_b64 s[42:43], s[8:9], 3
	s_load_dwordx4 s[8:11], s[4:5], 0x78
	s_mov_b32 s40, s7
	v_mov_b32_e32 v10, 0
	v_mov_b32_e32 v9, 0
	;; [unrolled: 1-line block ×4, first 2 shown]
	s_waitcnt lgkmcnt(0)
	s_add_u32 s0, s12, s42
	s_addc_u32 s1, s13, s43
	s_add_u32 s2, s18, s42
	s_addc_u32 s3, s19, s43
	s_load_dwordx2 s[12:13], s[0:1], 0x0
	s_load_dwordx2 s[2:3], s[2:3], 0x0
	v_cmp_lt_i64_e64 s0, s[34:35], 1
	s_ashr_i32 s7, s6, 31
	s_ashr_i32 s41, s40, 31
	s_lshl_b64 s[6:7], s[6:7], 5
	s_lshl_b64 s[18:19], s[40:41], 5
	s_and_b32 vcc_lo, exec_lo, s0
	s_cbranch_vccnz .LBB197_7
; %bb.1:
	s_clause 0x1
	s_load_dwordx4 s[36:39], s[4:5], 0x40
	s_load_dwordx8 s[20:27], s[4:5], 0x20
	v_lshl_add_u32 v2, v1, 4, v0
	v_and_b32_e32 v6, 7, v0
	v_mov_b32_e32 v3, s7
	v_mov_b32_e32 v7, 0
	v_lshlrev_b32_e32 v11, 2, v0
	v_and_b32_e32 v14, 31, v2
	v_lshrrev_b32_e32 v10, 3, v2
	v_lshrrev_b32_e32 v13, 5, v2
	v_lshlrev_b32_e32 v15, 2, v6
	v_lshl_add_u32 v12, v1, 5, 0x400
	v_or_b32_e32 v2, s6, v14
	v_add_co_u32 v4, s0, v10, s18
	v_add_co_ci_u32_e64 v5, null, 0, s19, s0
	v_add_co_u32 v17, s0, s6, v14
	v_add_co_ci_u32_e64 v18, null, s7, 0, s0
	s_waitcnt lgkmcnt(0)
	v_mad_u64_u32 v[8:9], null, s36, v6, 0
	v_cmp_gt_i64_e64 s0, s[28:29], v[2:3]
	v_lshlrev_b32_e32 v16, 2, v14
	v_cmp_gt_i64_e64 s1, s[30:31], v[4:5]
	v_mul_lo_u32 v5, s23, v17
	s_add_u32 s26, s26, s42
	s_addc_u32 s27, s27, s43
	v_mov_b32_e32 v2, v9
	v_lshl_or_b32 v14, v13, 7, v16
	v_mul_lo_u32 v16, s22, v18
	s_add_u32 s20, s20, s42
	s_addc_u32 s21, s21, s43
	v_mad_u64_u32 v[2:3], null, s37, v6, v[2:3]
	v_mad_u64_u32 v[3:4], null, s22, v17, 0
	s_load_dwordx2 s[22:23], s[26:27], 0x0
	s_load_dwordx2 s[20:21], s[20:21], 0x0
	s_lshl_b64 s[26:27], s[40:41], 7
	s_lshl_b64 s[38:39], s[38:39], 2
	v_mov_b32_e32 v9, v2
	s_add_u32 s26, s38, s26
	v_add3_u32 v4, v4, v16, v5
	s_addc_u32 s27, s39, s27
	s_lshl_b64 s[24:25], s[24:25], 2
	v_lshlrev_b64 v[8:9], 2, v[8:9]
	v_lshl_or_b32 v15, v10, 5, v15
	v_lshlrev_b64 v[2:3], 2, v[3:4]
	v_add_nc_u32_e32 v15, 0x400, v15
	v_add_co_u32 v4, vcc_lo, s26, v8
	v_lshlrev_b32_e32 v8, 2, v10
	v_add_co_ci_u32_e64 v5, null, s27, v9, vcc_lo
	v_add_co_u32 v2, vcc_lo, v2, s24
	v_lshlrev_b32_e32 v9, 2, v13
	v_add_co_ci_u32_e64 v3, null, s25, v3, vcc_lo
	v_add_co_u32 v4, vcc_lo, v4, v8
	v_add_co_ci_u32_e64 v5, null, 0, v5, vcc_lo
	v_add_co_u32 v8, vcc_lo, v2, v9
	v_add_co_ci_u32_e64 v9, null, 0, v3, vcc_lo
	s_waitcnt lgkmcnt(0)
	v_add_co_u32 v2, vcc_lo, s22, v4
	v_add_co_ci_u32_e64 v3, null, s23, v5, vcc_lo
	v_add_co_u32 v4, vcc_lo, s20, v8
	v_add_co_ci_u32_e64 v5, null, s21, v9, vcc_lo
	v_mov_b32_e32 v8, 0
	v_mov_b32_e32 v9, 0
	;; [unrolled: 1-line block ×3, first 2 shown]
	s_lshl_b64 s[20:21], s[36:37], 5
	s_mov_b64 s[22:23], 0
	s_branch .LBB197_3
.LBB197_2:                              ;   in Loop: Header=BB197_3 Depth=1
	s_or_b32 exec_lo, exec_lo, s24
	s_waitcnt vmcnt(0) lgkmcnt(0)
	ds_write_b32 v15, v17
	s_waitcnt lgkmcnt(0)
	s_barrier
	buffer_gl0_inv
	ds_read_b128 v[16:19], v12
	ds_read2_b32 v[32:33], v11 offset1:16
	ds_read_b128 v[20:23], v12 offset:512
	ds_read2_b32 v[34:35], v11 offset0:32 offset1:48
	ds_read2_b32 v[36:37], v11 offset0:64 offset1:80
	;; [unrolled: 1-line block ×3, first 2 shown]
	ds_read_b128 v[24:27], v12 offset:16
	ds_read2_b32 v[40:41], v11 offset0:128 offset1:144
	ds_read_b128 v[28:31], v12 offset:528
	ds_read2_b32 v[42:43], v11 offset0:160 offset1:176
	s_add_u32 s22, s22, 8
	s_addc_u32 s23, s23, 0
	v_add_co_u32 v2, vcc_lo, v2, s20
	v_cmp_lt_i64_e64 s24, s[22:23], s[34:35]
	v_add_co_ci_u32_e64 v3, null, s21, v3, vcc_lo
	v_add_co_u32 v4, vcc_lo, v4, 32
	v_add_co_ci_u32_e64 v5, null, 0, v5, vcc_lo
	s_waitcnt lgkmcnt(8)
	v_fmac_f32_e32 v10, v32, v16
	v_fmac_f32_e32 v9, v33, v16
	s_waitcnt lgkmcnt(7)
	v_fmac_f32_e32 v8, v32, v20
	v_fmac_f32_e32 v7, v33, v20
	ds_read2_b32 v[32:33], v11 offset0:192 offset1:208
	s_waitcnt lgkmcnt(7)
	v_fmac_f32_e32 v10, v34, v17
	v_fmac_f32_e32 v9, v35, v17
	;; [unrolled: 1-line block ×4, first 2 shown]
	ds_read2_b32 v[16:17], v11 offset0:224 offset1:240
	s_waitcnt lgkmcnt(7)
	v_fmac_f32_e32 v10, v36, v18
	v_fmac_f32_e32 v9, v37, v18
	;; [unrolled: 1-line block ×4, first 2 shown]
	s_and_b32 vcc_lo, exec_lo, s24
	s_waitcnt lgkmcnt(6)
	v_fmac_f32_e32 v10, v38, v19
	v_fmac_f32_e32 v9, v39, v19
	v_fmac_f32_e32 v8, v38, v23
	v_fmac_f32_e32 v7, v39, v23
	s_waitcnt lgkmcnt(0)
	v_fmac_f32_e32 v10, v40, v24
	v_fmac_f32_e32 v9, v41, v24
	;; [unrolled: 1-line block ×4, first 2 shown]
	s_barrier
	v_fmac_f32_e32 v10, v42, v25
	v_fmac_f32_e32 v9, v43, v25
	;; [unrolled: 1-line block ×4, first 2 shown]
	buffer_gl0_inv
	v_fmac_f32_e32 v10, v32, v26
	v_fmac_f32_e32 v9, v33, v26
	;; [unrolled: 1-line block ×8, first 2 shown]
	s_cbranch_vccz .LBB197_7
.LBB197_3:                              ; =>This Inner Loop Header: Depth=1
	v_add_co_u32 v16, s24, v13, s22
	v_add_co_ci_u32_e64 v17, null, 0, s23, s24
	v_cmp_gt_i64_e32 vcc_lo, s[34:35], v[16:17]
	v_mov_b32_e32 v16, 0
	s_and_b32 s25, s0, vcc_lo
	s_and_saveexec_b32 s24, s25
	s_cbranch_execz .LBB197_5
; %bb.4:                                ;   in Loop: Header=BB197_3 Depth=1
	flat_load_dword v16, v[4:5]
.LBB197_5:                              ;   in Loop: Header=BB197_3 Depth=1
	s_or_b32 exec_lo, exec_lo, s24
	v_add_co_u32 v17, s24, v6, s22
	v_add_co_ci_u32_e64 v18, null, 0, s23, s24
	s_waitcnt vmcnt(0) lgkmcnt(0)
	ds_write_b32 v14, v16
	v_cmp_gt_i64_e32 vcc_lo, s[34:35], v[17:18]
	v_mov_b32_e32 v17, 0
	s_and_b32 s25, vcc_lo, s1
	s_and_saveexec_b32 s24, s25
	s_cbranch_execz .LBB197_2
; %bb.6:                                ;   in Loop: Header=BB197_3 Depth=1
	flat_load_dword v17, v[2:3]
	s_branch .LBB197_2
.LBB197_7:
	s_clause 0x1
	s_load_dword s20, s[4:5], 0x50
	s_load_dword s4, s[4:5], 0x18
	v_add_co_u32 v1, s5, s18, v1
	v_add_co_ci_u32_e64 v2, null, s19, 0, s5
	s_lshl_b64 s[0:1], s[10:11], 2
	s_waitcnt lgkmcnt(0)
	s_add_u32 s5, s2, s0
	v_cmp_gt_i64_e64 s0, s[30:31], v[1:2]
	s_addc_u32 s3, s3, s1
	v_cmp_neq_f32_e64 s10, s20, 0
	s_and_b32 vcc_lo, exec_lo, s10
	s_cbranch_vccnz .LBB197_20
; %bb.8:
	s_and_saveexec_b32 s10, s0
	s_cbranch_execz .LBB197_18
; %bb.9:
	v_mul_lo_u32 v5, v2, s8
	v_mul_lo_u32 v6, v1, s9
	v_mad_u64_u32 v[3:4], null, v1, s8, 0
	v_add3_u32 v4, v4, v6, v5
	v_add_co_u32 v5, s1, s6, v0
	v_add_co_ci_u32_e64 v6, null, s7, 0, s1
	v_lshlrev_b64 v[11:12], 2, v[3:4]
	v_cmp_gt_i64_e32 vcc_lo, s[28:29], v[5:6]
	v_lshlrev_b64 v[3:4], 2, v[5:6]
	v_add_co_u32 v11, s1, s5, v11
	v_add_co_ci_u32_e64 v12, null, s3, v12, s1
	s_and_saveexec_b32 s2, vcc_lo
	s_cbranch_execz .LBB197_11
; %bb.10:
	v_add_co_u32 v13, s1, v11, v3
	v_add_co_ci_u32_e64 v14, null, v12, v4, s1
	v_mul_f32_e32 v15, s4, v10
	flat_store_dword v[13:14], v15
.LBB197_11:
	s_or_b32 exec_lo, exec_lo, s2
	v_add_co_u32 v5, s1, v5, 16
	v_add_co_ci_u32_e64 v6, null, 0, v6, s1
	v_cmp_gt_i64_e64 s1, s[28:29], v[5:6]
	s_and_saveexec_b32 s11, s1
	s_cbranch_execz .LBB197_13
; %bb.12:
	v_add_co_u32 v5, s2, v11, v3
	v_add_co_ci_u32_e64 v6, null, v12, v4, s2
	v_mul_f32_e32 v13, s4, v9
	flat_store_dword v[5:6], v13 offset:64
.LBB197_13:
	s_or_b32 exec_lo, exec_lo, s11
	v_add_co_u32 v5, s2, v1, 16
	v_add_co_ci_u32_e64 v6, null, 0, v2, s2
	v_cmp_gt_i64_e64 s2, s[30:31], v[5:6]
	s_and_b32 exec_lo, exec_lo, s2
	s_cbranch_execz .LBB197_18
; %bb.14:
	s_lshl_b64 s[18:19], s[8:9], 6
	v_add_co_u32 v5, s2, v11, s18
	v_add_co_ci_u32_e64 v6, null, s19, v12, s2
	v_add_co_u32 v3, s2, v5, v3
	v_add_co_ci_u32_e64 v4, null, v6, v4, s2
	s_and_saveexec_b32 s2, vcc_lo
	s_cbranch_execz .LBB197_16
; %bb.15:
	v_mul_f32_e32 v5, s4, v8
	flat_store_dword v[3:4], v5
.LBB197_16:
	s_or_b32 exec_lo, exec_lo, s2
	s_and_b32 exec_lo, exec_lo, s1
	s_cbranch_execz .LBB197_18
; %bb.17:
	v_mul_f32_e32 v5, s4, v7
	flat_store_dword v[3:4], v5 offset:64
.LBB197_18:
	s_or_b32 exec_lo, exec_lo, s10
	s_cbranch_execz .LBB197_21
.LBB197_19:
	s_endpgm
.LBB197_20:
.LBB197_21:
	s_and_saveexec_b32 s1, s0
	s_cbranch_execz .LBB197_19
; %bb.22:
	v_mul_lo_u32 v5, v2, s14
	v_mul_lo_u32 v6, v1, s15
	v_mad_u64_u32 v[3:4], null, v1, s14, 0
	v_mul_lo_u32 v13, v2, s8
	v_mul_lo_u32 v14, v1, s9
	v_mad_u64_u32 v[11:12], null, v1, s8, 0
	s_lshl_b64 s[0:1], s[16:17], 2
	v_add3_u32 v4, v4, v6, v5
	v_add_co_u32 v5, s2, s6, v0
	v_add_co_ci_u32_e64 v6, null, s7, 0, s2
	v_add3_u32 v12, v12, v14, v13
	v_lshlrev_b64 v[3:4], 2, v[3:4]
	s_add_u32 s0, s12, s0
	s_addc_u32 s1, s13, s1
	v_cmp_gt_i64_e32 vcc_lo, s[28:29], v[5:6]
	v_lshlrev_b64 v[12:13], 2, v[11:12]
	v_add_co_u32 v0, s0, s0, v3
	v_add_co_ci_u32_e64 v11, null, s1, v4, s0
	v_add_co_u32 v12, s0, s5, v12
	v_lshlrev_b64 v[3:4], 2, v[5:6]
	v_add_co_ci_u32_e64 v13, null, s3, v13, s0
	s_and_saveexec_b32 s1, vcc_lo
	s_cbranch_execz .LBB197_24
; %bb.23:
	v_add_co_u32 v14, s0, v0, v3
	v_add_co_ci_u32_e64 v15, null, v11, v4, s0
	flat_load_dword v14, v[14:15]
	s_waitcnt vmcnt(0) lgkmcnt(0)
	v_mul_f32_e32 v16, s20, v14
	v_add_co_u32 v14, s0, v12, v3
	v_add_co_ci_u32_e64 v15, null, v13, v4, s0
	v_fmac_f32_e32 v16, s4, v10
	flat_store_dword v[14:15], v16
.LBB197_24:
	s_or_b32 exec_lo, exec_lo, s1
	v_add_co_u32 v5, s0, v5, 16
	v_add_co_ci_u32_e64 v6, null, 0, v6, s0
	v_cmp_gt_i64_e64 s0, s[28:29], v[5:6]
	s_and_saveexec_b32 s2, s0
	s_cbranch_execz .LBB197_26
; %bb.25:
	v_add_co_u32 v5, s1, v0, v3
	v_add_co_ci_u32_e64 v6, null, v11, v4, s1
	flat_load_dword v5, v[5:6] offset:64
	s_waitcnt vmcnt(0) lgkmcnt(0)
	v_mul_f32_e32 v10, s20, v5
	v_add_co_u32 v5, s1, v12, v3
	v_add_co_ci_u32_e64 v6, null, v13, v4, s1
	v_fmac_f32_e32 v10, s4, v9
	flat_store_dword v[5:6], v10 offset:64
.LBB197_26:
	s_or_b32 exec_lo, exec_lo, s2
	v_add_co_u32 v1, s1, v1, 16
	v_add_co_ci_u32_e64 v2, null, 0, v2, s1
	v_cmp_gt_i64_e64 s1, s[30:31], v[1:2]
	s_and_b32 exec_lo, exec_lo, s1
	s_cbranch_execz .LBB197_19
; %bb.27:
	s_lshl_b64 s[2:3], s[14:15], 6
	v_add_co_u32 v0, s1, v0, s2
	v_add_co_ci_u32_e64 v1, null, s3, v11, s1
	s_lshl_b64 s[2:3], s[8:9], 6
	v_add_co_u32 v2, s1, v12, s2
	v_add_co_ci_u32_e64 v5, null, s3, v13, s1
	v_add_co_u32 v0, s1, v0, v3
	v_add_co_ci_u32_e64 v1, null, v1, v4, s1
	;; [unrolled: 2-line block ×3, first 2 shown]
	s_and_saveexec_b32 s1, vcc_lo
	s_cbranch_execz .LBB197_29
; %bb.28:
	flat_load_dword v4, v[0:1]
	s_waitcnt vmcnt(0) lgkmcnt(0)
	v_mul_f32_e32 v4, s20, v4
	v_fmac_f32_e32 v4, s4, v8
	flat_store_dword v[2:3], v4
.LBB197_29:
	s_or_b32 exec_lo, exec_lo, s1
	s_and_b32 exec_lo, exec_lo, s0
	s_cbranch_execz .LBB197_19
; %bb.30:
	flat_load_dword v0, v[0:1] offset:64
	s_waitcnt vmcnt(0) lgkmcnt(0)
	v_mul_f32_e32 v0, s20, v0
	v_fmac_f32_e32 v0, s4, v7
	flat_store_dword v[2:3], v0 offset:64
	s_endpgm
	.section	.rodata,"a",@progbits
	.p2align	6, 0x0
	.amdhsa_kernel _ZN12_GLOBAL__N_135rocblas_gemm_batched_general_kernelIfLi16ELi16ELi32ELi32ELi8ELi32ELi8ELi8ELi32ELc84ELc84EKPKfS3_KPfEEvlllT_PT11_llS8_llS6_PT12_llPT13_lli
		.amdhsa_group_segment_fixed_size 2048
		.amdhsa_private_segment_fixed_size 0
		.amdhsa_kernarg_size 140
		.amdhsa_user_sgpr_count 6
		.amdhsa_user_sgpr_private_segment_buffer 1
		.amdhsa_user_sgpr_dispatch_ptr 0
		.amdhsa_user_sgpr_queue_ptr 0
		.amdhsa_user_sgpr_kernarg_segment_ptr 1
		.amdhsa_user_sgpr_dispatch_id 0
		.amdhsa_user_sgpr_flat_scratch_init 0
		.amdhsa_user_sgpr_private_segment_size 0
		.amdhsa_wavefront_size32 1
		.amdhsa_uses_dynamic_stack 0
		.amdhsa_system_sgpr_private_segment_wavefront_offset 0
		.amdhsa_system_sgpr_workgroup_id_x 1
		.amdhsa_system_sgpr_workgroup_id_y 1
		.amdhsa_system_sgpr_workgroup_id_z 1
		.amdhsa_system_sgpr_workgroup_info 0
		.amdhsa_system_vgpr_workitem_id 1
		.amdhsa_next_free_vgpr 44
		.amdhsa_next_free_sgpr 44
		.amdhsa_reserve_vcc 1
		.amdhsa_reserve_flat_scratch 0
		.amdhsa_float_round_mode_32 0
		.amdhsa_float_round_mode_16_64 0
		.amdhsa_float_denorm_mode_32 3
		.amdhsa_float_denorm_mode_16_64 3
		.amdhsa_dx10_clamp 1
		.amdhsa_ieee_mode 1
		.amdhsa_fp16_overflow 0
		.amdhsa_workgroup_processor_mode 1
		.amdhsa_memory_ordered 1
		.amdhsa_forward_progress 1
		.amdhsa_shared_vgpr_count 0
		.amdhsa_exception_fp_ieee_invalid_op 0
		.amdhsa_exception_fp_denorm_src 0
		.amdhsa_exception_fp_ieee_div_zero 0
		.amdhsa_exception_fp_ieee_overflow 0
		.amdhsa_exception_fp_ieee_underflow 0
		.amdhsa_exception_fp_ieee_inexact 0
		.amdhsa_exception_int_div_zero 0
	.end_amdhsa_kernel
	.section	.text._ZN12_GLOBAL__N_135rocblas_gemm_batched_general_kernelIfLi16ELi16ELi32ELi32ELi8ELi32ELi8ELi8ELi32ELc84ELc84EKPKfS3_KPfEEvlllT_PT11_llS8_llS6_PT12_llPT13_lli,"axG",@progbits,_ZN12_GLOBAL__N_135rocblas_gemm_batched_general_kernelIfLi16ELi16ELi32ELi32ELi8ELi32ELi8ELi8ELi32ELc84ELc84EKPKfS3_KPfEEvlllT_PT11_llS8_llS6_PT12_llPT13_lli,comdat
.Lfunc_end197:
	.size	_ZN12_GLOBAL__N_135rocblas_gemm_batched_general_kernelIfLi16ELi16ELi32ELi32ELi8ELi32ELi8ELi8ELi32ELc84ELc84EKPKfS3_KPfEEvlllT_PT11_llS8_llS6_PT12_llPT13_lli, .Lfunc_end197-_ZN12_GLOBAL__N_135rocblas_gemm_batched_general_kernelIfLi16ELi16ELi32ELi32ELi8ELi32ELi8ELi8ELi32ELc84ELc84EKPKfS3_KPfEEvlllT_PT11_llS8_llS6_PT12_llPT13_lli
                                        ; -- End function
	.set _ZN12_GLOBAL__N_135rocblas_gemm_batched_general_kernelIfLi16ELi16ELi32ELi32ELi8ELi32ELi8ELi8ELi32ELc84ELc84EKPKfS3_KPfEEvlllT_PT11_llS8_llS6_PT12_llPT13_lli.num_vgpr, 44
	.set _ZN12_GLOBAL__N_135rocblas_gemm_batched_general_kernelIfLi16ELi16ELi32ELi32ELi8ELi32ELi8ELi8ELi32ELc84ELc84EKPKfS3_KPfEEvlllT_PT11_llS8_llS6_PT12_llPT13_lli.num_agpr, 0
	.set _ZN12_GLOBAL__N_135rocblas_gemm_batched_general_kernelIfLi16ELi16ELi32ELi32ELi8ELi32ELi8ELi8ELi32ELc84ELc84EKPKfS3_KPfEEvlllT_PT11_llS8_llS6_PT12_llPT13_lli.numbered_sgpr, 44
	.set _ZN12_GLOBAL__N_135rocblas_gemm_batched_general_kernelIfLi16ELi16ELi32ELi32ELi8ELi32ELi8ELi8ELi32ELc84ELc84EKPKfS3_KPfEEvlllT_PT11_llS8_llS6_PT12_llPT13_lli.num_named_barrier, 0
	.set _ZN12_GLOBAL__N_135rocblas_gemm_batched_general_kernelIfLi16ELi16ELi32ELi32ELi8ELi32ELi8ELi8ELi32ELc84ELc84EKPKfS3_KPfEEvlllT_PT11_llS8_llS6_PT12_llPT13_lli.private_seg_size, 0
	.set _ZN12_GLOBAL__N_135rocblas_gemm_batched_general_kernelIfLi16ELi16ELi32ELi32ELi8ELi32ELi8ELi8ELi32ELc84ELc84EKPKfS3_KPfEEvlllT_PT11_llS8_llS6_PT12_llPT13_lli.uses_vcc, 1
	.set _ZN12_GLOBAL__N_135rocblas_gemm_batched_general_kernelIfLi16ELi16ELi32ELi32ELi8ELi32ELi8ELi8ELi32ELc84ELc84EKPKfS3_KPfEEvlllT_PT11_llS8_llS6_PT12_llPT13_lli.uses_flat_scratch, 0
	.set _ZN12_GLOBAL__N_135rocblas_gemm_batched_general_kernelIfLi16ELi16ELi32ELi32ELi8ELi32ELi8ELi8ELi32ELc84ELc84EKPKfS3_KPfEEvlllT_PT11_llS8_llS6_PT12_llPT13_lli.has_dyn_sized_stack, 0
	.set _ZN12_GLOBAL__N_135rocblas_gemm_batched_general_kernelIfLi16ELi16ELi32ELi32ELi8ELi32ELi8ELi8ELi32ELc84ELc84EKPKfS3_KPfEEvlllT_PT11_llS8_llS6_PT12_llPT13_lli.has_recursion, 0
	.set _ZN12_GLOBAL__N_135rocblas_gemm_batched_general_kernelIfLi16ELi16ELi32ELi32ELi8ELi32ELi8ELi8ELi32ELc84ELc84EKPKfS3_KPfEEvlllT_PT11_llS8_llS6_PT12_llPT13_lli.has_indirect_call, 0
	.section	.AMDGPU.csdata,"",@progbits
; Kernel info:
; codeLenInByte = 1908
; TotalNumSgprs: 46
; NumVgprs: 44
; ScratchSize: 0
; MemoryBound: 0
; FloatMode: 240
; IeeeMode: 1
; LDSByteSize: 2048 bytes/workgroup (compile time only)
; SGPRBlocks: 0
; VGPRBlocks: 5
; NumSGPRsForWavesPerEU: 46
; NumVGPRsForWavesPerEU: 44
; Occupancy: 16
; WaveLimiterHint : 1
; COMPUTE_PGM_RSRC2:SCRATCH_EN: 0
; COMPUTE_PGM_RSRC2:USER_SGPR: 6
; COMPUTE_PGM_RSRC2:TRAP_HANDLER: 0
; COMPUTE_PGM_RSRC2:TGID_X_EN: 1
; COMPUTE_PGM_RSRC2:TGID_Y_EN: 1
; COMPUTE_PGM_RSRC2:TGID_Z_EN: 1
; COMPUTE_PGM_RSRC2:TIDIG_COMP_CNT: 1
	.section	.text._ZN12_GLOBAL__N_135rocblas_gemm_batched_general_kernelIfLi16ELi16ELi32ELi32ELi8ELi32ELi8ELi8ELi32ELc67ELc67EKPKfS3_KPfEEvlllT_PT11_llS8_llS6_PT12_llPT13_lli,"axG",@progbits,_ZN12_GLOBAL__N_135rocblas_gemm_batched_general_kernelIfLi16ELi16ELi32ELi32ELi8ELi32ELi8ELi8ELi32ELc67ELc67EKPKfS3_KPfEEvlllT_PT11_llS8_llS6_PT12_llPT13_lli,comdat
	.globl	_ZN12_GLOBAL__N_135rocblas_gemm_batched_general_kernelIfLi16ELi16ELi32ELi32ELi8ELi32ELi8ELi8ELi32ELc67ELc67EKPKfS3_KPfEEvlllT_PT11_llS8_llS6_PT12_llPT13_lli ; -- Begin function _ZN12_GLOBAL__N_135rocblas_gemm_batched_general_kernelIfLi16ELi16ELi32ELi32ELi8ELi32ELi8ELi8ELi32ELc67ELc67EKPKfS3_KPfEEvlllT_PT11_llS8_llS6_PT12_llPT13_lli
	.p2align	8
	.type	_ZN12_GLOBAL__N_135rocblas_gemm_batched_general_kernelIfLi16ELi16ELi32ELi32ELi8ELi32ELi8ELi8ELi32ELc67ELc67EKPKfS3_KPfEEvlllT_PT11_llS8_llS6_PT12_llPT13_lli,@function
_ZN12_GLOBAL__N_135rocblas_gemm_batched_general_kernelIfLi16ELi16ELi32ELi32ELi8ELi32ELi8ELi8ELi32ELc67ELc67EKPKfS3_KPfEEvlllT_PT11_llS8_llS6_PT12_llPT13_lli: ; @_ZN12_GLOBAL__N_135rocblas_gemm_batched_general_kernelIfLi16ELi16ELi32ELi32ELi8ELi32ELi8ELi8ELi32ELc67ELc67EKPKfS3_KPfEEvlllT_PT11_llS8_llS6_PT12_llPT13_lli
; %bb.0:
	s_clause 0x1
	s_load_dwordx8 s[12:19], s[4:5], 0x58
	s_load_dwordx2 s[34:35], s[4:5], 0x10
	s_mov_b32 s9, 0
	s_load_dwordx4 s[28:31], s[4:5], 0x0
	s_lshl_b64 s[42:43], s[8:9], 3
	s_load_dwordx4 s[8:11], s[4:5], 0x78
	s_mov_b32 s40, s7
	v_mov_b32_e32 v10, 0
	v_mov_b32_e32 v9, 0
	v_mov_b32_e32 v8, 0
	v_mov_b32_e32 v7, 0
	s_waitcnt lgkmcnt(0)
	s_add_u32 s0, s12, s42
	s_addc_u32 s1, s13, s43
	s_add_u32 s2, s18, s42
	s_addc_u32 s3, s19, s43
	s_load_dwordx2 s[12:13], s[0:1], 0x0
	s_load_dwordx2 s[2:3], s[2:3], 0x0
	v_cmp_lt_i64_e64 s0, s[34:35], 1
	s_ashr_i32 s7, s6, 31
	s_ashr_i32 s41, s40, 31
	s_lshl_b64 s[6:7], s[6:7], 5
	s_lshl_b64 s[18:19], s[40:41], 5
	s_and_b32 vcc_lo, exec_lo, s0
	s_cbranch_vccnz .LBB198_7
; %bb.1:
	s_clause 0x1
	s_load_dwordx4 s[36:39], s[4:5], 0x40
	s_load_dwordx8 s[20:27], s[4:5], 0x20
	v_lshl_add_u32 v2, v1, 4, v0
	v_and_b32_e32 v6, 7, v0
	v_mov_b32_e32 v3, s7
	v_mov_b32_e32 v7, 0
	v_lshlrev_b32_e32 v11, 2, v0
	v_and_b32_e32 v14, 31, v2
	v_lshrrev_b32_e32 v10, 3, v2
	v_lshrrev_b32_e32 v13, 5, v2
	v_lshlrev_b32_e32 v15, 2, v6
	v_lshl_add_u32 v12, v1, 5, 0x400
	v_or_b32_e32 v2, s6, v14
	v_add_co_u32 v4, s0, v10, s18
	v_add_co_ci_u32_e64 v5, null, 0, s19, s0
	v_add_co_u32 v17, s0, s6, v14
	v_add_co_ci_u32_e64 v18, null, s7, 0, s0
	s_waitcnt lgkmcnt(0)
	v_mad_u64_u32 v[8:9], null, s36, v6, 0
	v_cmp_gt_i64_e64 s0, s[28:29], v[2:3]
	v_lshlrev_b32_e32 v16, 2, v14
	v_cmp_gt_i64_e64 s1, s[30:31], v[4:5]
	v_mul_lo_u32 v5, s23, v17
	s_add_u32 s26, s26, s42
	s_addc_u32 s27, s27, s43
	v_mov_b32_e32 v2, v9
	v_lshl_or_b32 v14, v13, 7, v16
	v_mul_lo_u32 v16, s22, v18
	s_add_u32 s20, s20, s42
	s_addc_u32 s21, s21, s43
	v_mad_u64_u32 v[2:3], null, s37, v6, v[2:3]
	v_mad_u64_u32 v[3:4], null, s22, v17, 0
	s_load_dwordx2 s[22:23], s[26:27], 0x0
	s_load_dwordx2 s[20:21], s[20:21], 0x0
	s_lshl_b64 s[26:27], s[40:41], 7
	s_lshl_b64 s[38:39], s[38:39], 2
	v_mov_b32_e32 v9, v2
	s_add_u32 s26, s38, s26
	v_add3_u32 v4, v4, v16, v5
	s_addc_u32 s27, s39, s27
	s_lshl_b64 s[24:25], s[24:25], 2
	v_lshlrev_b64 v[8:9], 2, v[8:9]
	v_lshl_or_b32 v15, v10, 5, v15
	v_lshlrev_b64 v[2:3], 2, v[3:4]
	v_add_nc_u32_e32 v15, 0x400, v15
	v_add_co_u32 v4, vcc_lo, s26, v8
	v_lshlrev_b32_e32 v8, 2, v10
	v_add_co_ci_u32_e64 v5, null, s27, v9, vcc_lo
	v_add_co_u32 v2, vcc_lo, v2, s24
	v_lshlrev_b32_e32 v9, 2, v13
	v_add_co_ci_u32_e64 v3, null, s25, v3, vcc_lo
	v_add_co_u32 v4, vcc_lo, v4, v8
	v_add_co_ci_u32_e64 v5, null, 0, v5, vcc_lo
	v_add_co_u32 v8, vcc_lo, v2, v9
	v_add_co_ci_u32_e64 v9, null, 0, v3, vcc_lo
	s_waitcnt lgkmcnt(0)
	v_add_co_u32 v2, vcc_lo, s22, v4
	v_add_co_ci_u32_e64 v3, null, s23, v5, vcc_lo
	v_add_co_u32 v4, vcc_lo, s20, v8
	v_add_co_ci_u32_e64 v5, null, s21, v9, vcc_lo
	v_mov_b32_e32 v8, 0
	v_mov_b32_e32 v9, 0
	;; [unrolled: 1-line block ×3, first 2 shown]
	s_lshl_b64 s[20:21], s[36:37], 5
	s_mov_b64 s[22:23], 0
	s_branch .LBB198_3
.LBB198_2:                              ;   in Loop: Header=BB198_3 Depth=1
	s_or_b32 exec_lo, exec_lo, s24
	s_waitcnt vmcnt(0) lgkmcnt(0)
	ds_write_b32 v15, v17
	s_waitcnt lgkmcnt(0)
	s_barrier
	buffer_gl0_inv
	ds_read_b128 v[16:19], v12
	ds_read2_b32 v[32:33], v11 offset1:16
	ds_read_b128 v[20:23], v12 offset:512
	ds_read2_b32 v[34:35], v11 offset0:32 offset1:48
	ds_read2_b32 v[36:37], v11 offset0:64 offset1:80
	;; [unrolled: 1-line block ×3, first 2 shown]
	ds_read_b128 v[24:27], v12 offset:16
	ds_read2_b32 v[40:41], v11 offset0:128 offset1:144
	ds_read_b128 v[28:31], v12 offset:528
	ds_read2_b32 v[42:43], v11 offset0:160 offset1:176
	s_add_u32 s22, s22, 8
	s_addc_u32 s23, s23, 0
	v_add_co_u32 v2, vcc_lo, v2, s20
	v_cmp_lt_i64_e64 s24, s[22:23], s[34:35]
	v_add_co_ci_u32_e64 v3, null, s21, v3, vcc_lo
	v_add_co_u32 v4, vcc_lo, v4, 32
	v_add_co_ci_u32_e64 v5, null, 0, v5, vcc_lo
	s_waitcnt lgkmcnt(8)
	v_fmac_f32_e32 v10, v32, v16
	v_fmac_f32_e32 v9, v33, v16
	s_waitcnt lgkmcnt(7)
	v_fmac_f32_e32 v8, v32, v20
	v_fmac_f32_e32 v7, v33, v20
	ds_read2_b32 v[32:33], v11 offset0:192 offset1:208
	s_waitcnt lgkmcnt(7)
	v_fmac_f32_e32 v10, v34, v17
	v_fmac_f32_e32 v9, v35, v17
	;; [unrolled: 1-line block ×4, first 2 shown]
	ds_read2_b32 v[16:17], v11 offset0:224 offset1:240
	s_waitcnt lgkmcnt(7)
	v_fmac_f32_e32 v10, v36, v18
	v_fmac_f32_e32 v9, v37, v18
	;; [unrolled: 1-line block ×4, first 2 shown]
	s_and_b32 vcc_lo, exec_lo, s24
	s_waitcnt lgkmcnt(6)
	v_fmac_f32_e32 v10, v38, v19
	v_fmac_f32_e32 v9, v39, v19
	;; [unrolled: 1-line block ×4, first 2 shown]
	s_waitcnt lgkmcnt(0)
	v_fmac_f32_e32 v10, v40, v24
	v_fmac_f32_e32 v9, v41, v24
	;; [unrolled: 1-line block ×4, first 2 shown]
	s_barrier
	v_fmac_f32_e32 v10, v42, v25
	v_fmac_f32_e32 v9, v43, v25
	;; [unrolled: 1-line block ×4, first 2 shown]
	buffer_gl0_inv
	v_fmac_f32_e32 v10, v32, v26
	v_fmac_f32_e32 v9, v33, v26
	;; [unrolled: 1-line block ×8, first 2 shown]
	s_cbranch_vccz .LBB198_7
.LBB198_3:                              ; =>This Inner Loop Header: Depth=1
	v_add_co_u32 v16, s24, v13, s22
	v_add_co_ci_u32_e64 v17, null, 0, s23, s24
	v_cmp_gt_i64_e32 vcc_lo, s[34:35], v[16:17]
	v_mov_b32_e32 v16, 0
	s_and_b32 s25, s0, vcc_lo
	s_and_saveexec_b32 s24, s25
	s_cbranch_execz .LBB198_5
; %bb.4:                                ;   in Loop: Header=BB198_3 Depth=1
	flat_load_dword v16, v[4:5]
.LBB198_5:                              ;   in Loop: Header=BB198_3 Depth=1
	s_or_b32 exec_lo, exec_lo, s24
	v_add_co_u32 v17, s24, v6, s22
	v_add_co_ci_u32_e64 v18, null, 0, s23, s24
	s_waitcnt vmcnt(0) lgkmcnt(0)
	ds_write_b32 v14, v16
	v_cmp_gt_i64_e32 vcc_lo, s[34:35], v[17:18]
	v_mov_b32_e32 v17, 0
	s_and_b32 s25, vcc_lo, s1
	s_and_saveexec_b32 s24, s25
	s_cbranch_execz .LBB198_2
; %bb.6:                                ;   in Loop: Header=BB198_3 Depth=1
	flat_load_dword v17, v[2:3]
	s_branch .LBB198_2
.LBB198_7:
	s_clause 0x1
	s_load_dword s20, s[4:5], 0x50
	s_load_dword s4, s[4:5], 0x18
	v_add_co_u32 v1, s5, s18, v1
	v_add_co_ci_u32_e64 v2, null, s19, 0, s5
	s_lshl_b64 s[0:1], s[10:11], 2
	s_waitcnt lgkmcnt(0)
	s_add_u32 s5, s2, s0
	v_cmp_gt_i64_e64 s0, s[30:31], v[1:2]
	s_addc_u32 s3, s3, s1
	v_cmp_neq_f32_e64 s10, s20, 0
	s_and_b32 vcc_lo, exec_lo, s10
	s_cbranch_vccnz .LBB198_20
; %bb.8:
	s_and_saveexec_b32 s10, s0
	s_cbranch_execz .LBB198_18
; %bb.9:
	v_mul_lo_u32 v5, v2, s8
	v_mul_lo_u32 v6, v1, s9
	v_mad_u64_u32 v[3:4], null, v1, s8, 0
	v_add3_u32 v4, v4, v6, v5
	v_add_co_u32 v5, s1, s6, v0
	v_add_co_ci_u32_e64 v6, null, s7, 0, s1
	v_lshlrev_b64 v[11:12], 2, v[3:4]
	v_cmp_gt_i64_e32 vcc_lo, s[28:29], v[5:6]
	v_lshlrev_b64 v[3:4], 2, v[5:6]
	v_add_co_u32 v11, s1, s5, v11
	v_add_co_ci_u32_e64 v12, null, s3, v12, s1
	s_and_saveexec_b32 s2, vcc_lo
	s_cbranch_execz .LBB198_11
; %bb.10:
	v_add_co_u32 v13, s1, v11, v3
	v_add_co_ci_u32_e64 v14, null, v12, v4, s1
	v_mul_f32_e32 v15, s4, v10
	flat_store_dword v[13:14], v15
.LBB198_11:
	s_or_b32 exec_lo, exec_lo, s2
	v_add_co_u32 v5, s1, v5, 16
	v_add_co_ci_u32_e64 v6, null, 0, v6, s1
	v_cmp_gt_i64_e64 s1, s[28:29], v[5:6]
	s_and_saveexec_b32 s11, s1
	s_cbranch_execz .LBB198_13
; %bb.12:
	v_add_co_u32 v5, s2, v11, v3
	v_add_co_ci_u32_e64 v6, null, v12, v4, s2
	v_mul_f32_e32 v13, s4, v9
	flat_store_dword v[5:6], v13 offset:64
.LBB198_13:
	s_or_b32 exec_lo, exec_lo, s11
	v_add_co_u32 v5, s2, v1, 16
	v_add_co_ci_u32_e64 v6, null, 0, v2, s2
	v_cmp_gt_i64_e64 s2, s[30:31], v[5:6]
	s_and_b32 exec_lo, exec_lo, s2
	s_cbranch_execz .LBB198_18
; %bb.14:
	s_lshl_b64 s[18:19], s[8:9], 6
	v_add_co_u32 v5, s2, v11, s18
	v_add_co_ci_u32_e64 v6, null, s19, v12, s2
	v_add_co_u32 v3, s2, v5, v3
	v_add_co_ci_u32_e64 v4, null, v6, v4, s2
	s_and_saveexec_b32 s2, vcc_lo
	s_cbranch_execz .LBB198_16
; %bb.15:
	v_mul_f32_e32 v5, s4, v8
	flat_store_dword v[3:4], v5
.LBB198_16:
	s_or_b32 exec_lo, exec_lo, s2
	s_and_b32 exec_lo, exec_lo, s1
	s_cbranch_execz .LBB198_18
; %bb.17:
	v_mul_f32_e32 v5, s4, v7
	flat_store_dword v[3:4], v5 offset:64
.LBB198_18:
	s_or_b32 exec_lo, exec_lo, s10
	s_cbranch_execz .LBB198_21
.LBB198_19:
	s_endpgm
.LBB198_20:
.LBB198_21:
	s_and_saveexec_b32 s1, s0
	s_cbranch_execz .LBB198_19
; %bb.22:
	v_mul_lo_u32 v5, v2, s14
	v_mul_lo_u32 v6, v1, s15
	v_mad_u64_u32 v[3:4], null, v1, s14, 0
	v_mul_lo_u32 v13, v2, s8
	v_mul_lo_u32 v14, v1, s9
	v_mad_u64_u32 v[11:12], null, v1, s8, 0
	s_lshl_b64 s[0:1], s[16:17], 2
	v_add3_u32 v4, v4, v6, v5
	v_add_co_u32 v5, s2, s6, v0
	v_add_co_ci_u32_e64 v6, null, s7, 0, s2
	v_add3_u32 v12, v12, v14, v13
	v_lshlrev_b64 v[3:4], 2, v[3:4]
	s_add_u32 s0, s12, s0
	s_addc_u32 s1, s13, s1
	v_cmp_gt_i64_e32 vcc_lo, s[28:29], v[5:6]
	v_lshlrev_b64 v[12:13], 2, v[11:12]
	v_add_co_u32 v0, s0, s0, v3
	v_add_co_ci_u32_e64 v11, null, s1, v4, s0
	v_add_co_u32 v12, s0, s5, v12
	v_lshlrev_b64 v[3:4], 2, v[5:6]
	v_add_co_ci_u32_e64 v13, null, s3, v13, s0
	s_and_saveexec_b32 s1, vcc_lo
	s_cbranch_execz .LBB198_24
; %bb.23:
	v_add_co_u32 v14, s0, v0, v3
	v_add_co_ci_u32_e64 v15, null, v11, v4, s0
	flat_load_dword v14, v[14:15]
	s_waitcnt vmcnt(0) lgkmcnt(0)
	v_mul_f32_e32 v16, s20, v14
	v_add_co_u32 v14, s0, v12, v3
	v_add_co_ci_u32_e64 v15, null, v13, v4, s0
	v_fmac_f32_e32 v16, s4, v10
	flat_store_dword v[14:15], v16
.LBB198_24:
	s_or_b32 exec_lo, exec_lo, s1
	v_add_co_u32 v5, s0, v5, 16
	v_add_co_ci_u32_e64 v6, null, 0, v6, s0
	v_cmp_gt_i64_e64 s0, s[28:29], v[5:6]
	s_and_saveexec_b32 s2, s0
	s_cbranch_execz .LBB198_26
; %bb.25:
	v_add_co_u32 v5, s1, v0, v3
	v_add_co_ci_u32_e64 v6, null, v11, v4, s1
	flat_load_dword v5, v[5:6] offset:64
	s_waitcnt vmcnt(0) lgkmcnt(0)
	v_mul_f32_e32 v10, s20, v5
	v_add_co_u32 v5, s1, v12, v3
	v_add_co_ci_u32_e64 v6, null, v13, v4, s1
	v_fmac_f32_e32 v10, s4, v9
	flat_store_dword v[5:6], v10 offset:64
.LBB198_26:
	s_or_b32 exec_lo, exec_lo, s2
	v_add_co_u32 v1, s1, v1, 16
	v_add_co_ci_u32_e64 v2, null, 0, v2, s1
	v_cmp_gt_i64_e64 s1, s[30:31], v[1:2]
	s_and_b32 exec_lo, exec_lo, s1
	s_cbranch_execz .LBB198_19
; %bb.27:
	s_lshl_b64 s[2:3], s[14:15], 6
	v_add_co_u32 v0, s1, v0, s2
	v_add_co_ci_u32_e64 v1, null, s3, v11, s1
	s_lshl_b64 s[2:3], s[8:9], 6
	v_add_co_u32 v2, s1, v12, s2
	v_add_co_ci_u32_e64 v5, null, s3, v13, s1
	v_add_co_u32 v0, s1, v0, v3
	v_add_co_ci_u32_e64 v1, null, v1, v4, s1
	;; [unrolled: 2-line block ×3, first 2 shown]
	s_and_saveexec_b32 s1, vcc_lo
	s_cbranch_execz .LBB198_29
; %bb.28:
	flat_load_dword v4, v[0:1]
	s_waitcnt vmcnt(0) lgkmcnt(0)
	v_mul_f32_e32 v4, s20, v4
	v_fmac_f32_e32 v4, s4, v8
	flat_store_dword v[2:3], v4
.LBB198_29:
	s_or_b32 exec_lo, exec_lo, s1
	s_and_b32 exec_lo, exec_lo, s0
	s_cbranch_execz .LBB198_19
; %bb.30:
	flat_load_dword v0, v[0:1] offset:64
	s_waitcnt vmcnt(0) lgkmcnt(0)
	v_mul_f32_e32 v0, s20, v0
	v_fmac_f32_e32 v0, s4, v7
	flat_store_dword v[2:3], v0 offset:64
	s_endpgm
	.section	.rodata,"a",@progbits
	.p2align	6, 0x0
	.amdhsa_kernel _ZN12_GLOBAL__N_135rocblas_gemm_batched_general_kernelIfLi16ELi16ELi32ELi32ELi8ELi32ELi8ELi8ELi32ELc67ELc67EKPKfS3_KPfEEvlllT_PT11_llS8_llS6_PT12_llPT13_lli
		.amdhsa_group_segment_fixed_size 2048
		.amdhsa_private_segment_fixed_size 0
		.amdhsa_kernarg_size 140
		.amdhsa_user_sgpr_count 6
		.amdhsa_user_sgpr_private_segment_buffer 1
		.amdhsa_user_sgpr_dispatch_ptr 0
		.amdhsa_user_sgpr_queue_ptr 0
		.amdhsa_user_sgpr_kernarg_segment_ptr 1
		.amdhsa_user_sgpr_dispatch_id 0
		.amdhsa_user_sgpr_flat_scratch_init 0
		.amdhsa_user_sgpr_private_segment_size 0
		.amdhsa_wavefront_size32 1
		.amdhsa_uses_dynamic_stack 0
		.amdhsa_system_sgpr_private_segment_wavefront_offset 0
		.amdhsa_system_sgpr_workgroup_id_x 1
		.amdhsa_system_sgpr_workgroup_id_y 1
		.amdhsa_system_sgpr_workgroup_id_z 1
		.amdhsa_system_sgpr_workgroup_info 0
		.amdhsa_system_vgpr_workitem_id 1
		.amdhsa_next_free_vgpr 44
		.amdhsa_next_free_sgpr 44
		.amdhsa_reserve_vcc 1
		.amdhsa_reserve_flat_scratch 0
		.amdhsa_float_round_mode_32 0
		.amdhsa_float_round_mode_16_64 0
		.amdhsa_float_denorm_mode_32 3
		.amdhsa_float_denorm_mode_16_64 3
		.amdhsa_dx10_clamp 1
		.amdhsa_ieee_mode 1
		.amdhsa_fp16_overflow 0
		.amdhsa_workgroup_processor_mode 1
		.amdhsa_memory_ordered 1
		.amdhsa_forward_progress 1
		.amdhsa_shared_vgpr_count 0
		.amdhsa_exception_fp_ieee_invalid_op 0
		.amdhsa_exception_fp_denorm_src 0
		.amdhsa_exception_fp_ieee_div_zero 0
		.amdhsa_exception_fp_ieee_overflow 0
		.amdhsa_exception_fp_ieee_underflow 0
		.amdhsa_exception_fp_ieee_inexact 0
		.amdhsa_exception_int_div_zero 0
	.end_amdhsa_kernel
	.section	.text._ZN12_GLOBAL__N_135rocblas_gemm_batched_general_kernelIfLi16ELi16ELi32ELi32ELi8ELi32ELi8ELi8ELi32ELc67ELc67EKPKfS3_KPfEEvlllT_PT11_llS8_llS6_PT12_llPT13_lli,"axG",@progbits,_ZN12_GLOBAL__N_135rocblas_gemm_batched_general_kernelIfLi16ELi16ELi32ELi32ELi8ELi32ELi8ELi8ELi32ELc67ELc67EKPKfS3_KPfEEvlllT_PT11_llS8_llS6_PT12_llPT13_lli,comdat
.Lfunc_end198:
	.size	_ZN12_GLOBAL__N_135rocblas_gemm_batched_general_kernelIfLi16ELi16ELi32ELi32ELi8ELi32ELi8ELi8ELi32ELc67ELc67EKPKfS3_KPfEEvlllT_PT11_llS8_llS6_PT12_llPT13_lli, .Lfunc_end198-_ZN12_GLOBAL__N_135rocblas_gemm_batched_general_kernelIfLi16ELi16ELi32ELi32ELi8ELi32ELi8ELi8ELi32ELc67ELc67EKPKfS3_KPfEEvlllT_PT11_llS8_llS6_PT12_llPT13_lli
                                        ; -- End function
	.set _ZN12_GLOBAL__N_135rocblas_gemm_batched_general_kernelIfLi16ELi16ELi32ELi32ELi8ELi32ELi8ELi8ELi32ELc67ELc67EKPKfS3_KPfEEvlllT_PT11_llS8_llS6_PT12_llPT13_lli.num_vgpr, 44
	.set _ZN12_GLOBAL__N_135rocblas_gemm_batched_general_kernelIfLi16ELi16ELi32ELi32ELi8ELi32ELi8ELi8ELi32ELc67ELc67EKPKfS3_KPfEEvlllT_PT11_llS8_llS6_PT12_llPT13_lli.num_agpr, 0
	.set _ZN12_GLOBAL__N_135rocblas_gemm_batched_general_kernelIfLi16ELi16ELi32ELi32ELi8ELi32ELi8ELi8ELi32ELc67ELc67EKPKfS3_KPfEEvlllT_PT11_llS8_llS6_PT12_llPT13_lli.numbered_sgpr, 44
	.set _ZN12_GLOBAL__N_135rocblas_gemm_batched_general_kernelIfLi16ELi16ELi32ELi32ELi8ELi32ELi8ELi8ELi32ELc67ELc67EKPKfS3_KPfEEvlllT_PT11_llS8_llS6_PT12_llPT13_lli.num_named_barrier, 0
	.set _ZN12_GLOBAL__N_135rocblas_gemm_batched_general_kernelIfLi16ELi16ELi32ELi32ELi8ELi32ELi8ELi8ELi32ELc67ELc67EKPKfS3_KPfEEvlllT_PT11_llS8_llS6_PT12_llPT13_lli.private_seg_size, 0
	.set _ZN12_GLOBAL__N_135rocblas_gemm_batched_general_kernelIfLi16ELi16ELi32ELi32ELi8ELi32ELi8ELi8ELi32ELc67ELc67EKPKfS3_KPfEEvlllT_PT11_llS8_llS6_PT12_llPT13_lli.uses_vcc, 1
	.set _ZN12_GLOBAL__N_135rocblas_gemm_batched_general_kernelIfLi16ELi16ELi32ELi32ELi8ELi32ELi8ELi8ELi32ELc67ELc67EKPKfS3_KPfEEvlllT_PT11_llS8_llS6_PT12_llPT13_lli.uses_flat_scratch, 0
	.set _ZN12_GLOBAL__N_135rocblas_gemm_batched_general_kernelIfLi16ELi16ELi32ELi32ELi8ELi32ELi8ELi8ELi32ELc67ELc67EKPKfS3_KPfEEvlllT_PT11_llS8_llS6_PT12_llPT13_lli.has_dyn_sized_stack, 0
	.set _ZN12_GLOBAL__N_135rocblas_gemm_batched_general_kernelIfLi16ELi16ELi32ELi32ELi8ELi32ELi8ELi8ELi32ELc67ELc67EKPKfS3_KPfEEvlllT_PT11_llS8_llS6_PT12_llPT13_lli.has_recursion, 0
	.set _ZN12_GLOBAL__N_135rocblas_gemm_batched_general_kernelIfLi16ELi16ELi32ELi32ELi8ELi32ELi8ELi8ELi32ELc67ELc67EKPKfS3_KPfEEvlllT_PT11_llS8_llS6_PT12_llPT13_lli.has_indirect_call, 0
	.section	.AMDGPU.csdata,"",@progbits
; Kernel info:
; codeLenInByte = 1908
; TotalNumSgprs: 46
; NumVgprs: 44
; ScratchSize: 0
; MemoryBound: 0
; FloatMode: 240
; IeeeMode: 1
; LDSByteSize: 2048 bytes/workgroup (compile time only)
; SGPRBlocks: 0
; VGPRBlocks: 5
; NumSGPRsForWavesPerEU: 46
; NumVGPRsForWavesPerEU: 44
; Occupancy: 16
; WaveLimiterHint : 1
; COMPUTE_PGM_RSRC2:SCRATCH_EN: 0
; COMPUTE_PGM_RSRC2:USER_SGPR: 6
; COMPUTE_PGM_RSRC2:TRAP_HANDLER: 0
; COMPUTE_PGM_RSRC2:TGID_X_EN: 1
; COMPUTE_PGM_RSRC2:TGID_Y_EN: 1
; COMPUTE_PGM_RSRC2:TGID_Z_EN: 1
; COMPUTE_PGM_RSRC2:TIDIG_COMP_CNT: 1
	.section	.text._ZN12_GLOBAL__N_135rocblas_gemm_batched_general_kernelIfLi16ELi16ELi32ELi32ELi8ELi32ELi8ELi8ELi32ELc67ELc78EKPKfS3_KPfEEvlllT_PT11_llS8_llS6_PT12_llPT13_lli,"axG",@progbits,_ZN12_GLOBAL__N_135rocblas_gemm_batched_general_kernelIfLi16ELi16ELi32ELi32ELi8ELi32ELi8ELi8ELi32ELc67ELc78EKPKfS3_KPfEEvlllT_PT11_llS8_llS6_PT12_llPT13_lli,comdat
	.globl	_ZN12_GLOBAL__N_135rocblas_gemm_batched_general_kernelIfLi16ELi16ELi32ELi32ELi8ELi32ELi8ELi8ELi32ELc67ELc78EKPKfS3_KPfEEvlllT_PT11_llS8_llS6_PT12_llPT13_lli ; -- Begin function _ZN12_GLOBAL__N_135rocblas_gemm_batched_general_kernelIfLi16ELi16ELi32ELi32ELi8ELi32ELi8ELi8ELi32ELc67ELc78EKPKfS3_KPfEEvlllT_PT11_llS8_llS6_PT12_llPT13_lli
	.p2align	8
	.type	_ZN12_GLOBAL__N_135rocblas_gemm_batched_general_kernelIfLi16ELi16ELi32ELi32ELi8ELi32ELi8ELi8ELi32ELc67ELc78EKPKfS3_KPfEEvlllT_PT11_llS8_llS6_PT12_llPT13_lli,@function
_ZN12_GLOBAL__N_135rocblas_gemm_batched_general_kernelIfLi16ELi16ELi32ELi32ELi8ELi32ELi8ELi8ELi32ELc67ELc78EKPKfS3_KPfEEvlllT_PT11_llS8_llS6_PT12_llPT13_lli: ; @_ZN12_GLOBAL__N_135rocblas_gemm_batched_general_kernelIfLi16ELi16ELi32ELi32ELi8ELi32ELi8ELi8ELi32ELc67ELc78EKPKfS3_KPfEEvlllT_PT11_llS8_llS6_PT12_llPT13_lli
; %bb.0:
	s_clause 0x1
	s_load_dwordx8 s[12:19], s[4:5], 0x58
	s_load_dwordx2 s[34:35], s[4:5], 0x10
	s_mov_b32 s9, 0
	s_load_dwordx4 s[28:31], s[4:5], 0x0
	s_lshl_b64 s[38:39], s[8:9], 3
	s_load_dwordx4 s[8:11], s[4:5], 0x78
	s_mov_b32 s0, s7
	v_mov_b32_e32 v10, 0
	v_mov_b32_e32 v9, 0
	;; [unrolled: 1-line block ×4, first 2 shown]
	s_waitcnt lgkmcnt(0)
	s_add_u32 s2, s12, s38
	s_addc_u32 s3, s13, s39
	s_add_u32 s18, s18, s38
	s_addc_u32 s19, s19, s39
	s_load_dwordx2 s[12:13], s[2:3], 0x0
	s_load_dwordx2 s[18:19], s[18:19], 0x0
	v_cmp_lt_i64_e64 s2, s[34:35], 1
	s_ashr_i32 s7, s6, 31
	s_ashr_i32 s1, s0, 31
	s_lshl_b64 s[6:7], s[6:7], 5
	s_lshl_b64 s[36:37], s[0:1], 5
	s_and_b32 vcc_lo, exec_lo, s2
	s_cbranch_vccnz .LBB199_7
; %bb.1:
	s_clause 0x1
	s_load_dwordx8 s[20:27], s[4:5], 0x20
	s_load_dwordx4 s[0:3], s[4:5], 0x40
	v_lshl_add_u32 v2, v1, 4, v0
	v_mov_b32_e32 v3, s7
	v_and_b32_e32 v6, 7, v0
	v_mov_b32_e32 v7, 0
	v_lshrrev_b32_e32 v10, 3, v2
	v_and_b32_e32 v8, 31, v2
	v_lshrrev_b32_e32 v11, 5, v2
	v_lshlrev_b32_e32 v18, 2, v6
	v_add_co_u32 v4, s33, v10, s36
	v_add_co_ci_u32_e64 v5, null, 0, s37, s33
	v_or_b32_e32 v2, s6, v8
	v_lshlrev_b32_e32 v12, 2, v8
	v_lshl_or_b32 v10, v10, 5, v18
	s_waitcnt lgkmcnt(0)
	s_add_u32 s26, s26, s38
	v_mul_lo_u32 v13, s1, v4
	v_add_co_u32 v14, s1, s6, v8
	v_add_co_ci_u32_e64 v15, null, s7, 0, s1
	v_mul_lo_u32 v19, s0, v5
	v_mad_u64_u32 v[8:9], null, s0, v4, 0
	v_mul_lo_u32 v20, s23, v14
	v_mul_lo_u32 v15, s22, v15
	v_mad_u64_u32 v[16:17], null, s22, v14, 0
	s_addc_u32 s27, s27, s39
	s_add_u32 s20, s20, s38
	v_add3_u32 v9, v9, v19, v13
	s_load_dwordx2 s[26:27], s[26:27], 0x0
	s_addc_u32 s21, s21, s39
	v_cmp_gt_i64_e64 s0, s[28:29], v[2:3]
	v_add3_u32 v17, v17, v15, v20
	s_load_dwordx2 s[20:21], s[20:21], 0x0
	v_lshlrev_b64 v[2:3], 2, v[8:9]
	v_cmp_gt_i64_e64 s1, s[30:31], v[4:5]
	s_lshl_b64 s[2:3], s[2:3], 2
	v_lshlrev_b64 v[4:5], 2, v[16:17]
	v_lshlrev_b32_e32 v8, 2, v11
	v_lshl_or_b32 v12, v11, 7, v12
	v_add_co_u32 v2, vcc_lo, v2, s2
	v_add_co_ci_u32_e64 v3, null, s3, v3, vcc_lo
	s_lshl_b64 s[2:3], s[24:25], 2
	v_add_nc_u32_e32 v13, 0x400, v10
	v_add_co_u32 v4, vcc_lo, v4, s2
	v_add_co_ci_u32_e64 v5, null, s3, v5, vcc_lo
	v_add_co_u32 v2, vcc_lo, v2, v18
	v_add_co_ci_u32_e64 v3, null, 0, v3, vcc_lo
	;; [unrolled: 2-line block ×3, first 2 shown]
	s_waitcnt lgkmcnt(0)
	v_add_co_u32 v2, vcc_lo, s26, v2
	v_add_co_ci_u32_e64 v3, null, s27, v3, vcc_lo
	v_add_co_u32 v4, vcc_lo, s20, v4
	v_lshlrev_b32_e32 v14, 2, v0
	v_lshl_add_u32 v15, v1, 5, 0x400
	v_add_co_ci_u32_e64 v5, null, s21, v5, vcc_lo
	v_mov_b32_e32 v8, 0
	v_mov_b32_e32 v9, 0
	;; [unrolled: 1-line block ×3, first 2 shown]
	s_mov_b64 s[2:3], 0
	s_branch .LBB199_3
.LBB199_2:                              ;   in Loop: Header=BB199_3 Depth=1
	s_or_b32 exec_lo, exec_lo, s20
	s_waitcnt vmcnt(0) lgkmcnt(0)
	ds_write_b32 v13, v17
	s_waitcnt lgkmcnt(0)
	s_barrier
	buffer_gl0_inv
	ds_read_b128 v[16:19], v15
	ds_read2_b32 v[32:33], v14 offset1:16
	ds_read_b128 v[20:23], v15 offset:512
	ds_read2_b32 v[34:35], v14 offset0:32 offset1:48
	ds_read2_b32 v[36:37], v14 offset0:64 offset1:80
	;; [unrolled: 1-line block ×3, first 2 shown]
	ds_read_b128 v[24:27], v15 offset:16
	ds_read2_b32 v[40:41], v14 offset0:128 offset1:144
	ds_read_b128 v[28:31], v15 offset:528
	ds_read2_b32 v[42:43], v14 offset0:160 offset1:176
	s_add_u32 s2, s2, 8
	s_addc_u32 s3, s3, 0
	v_add_co_u32 v2, vcc_lo, v2, 32
	v_cmp_lt_i64_e64 s20, s[2:3], s[34:35]
	v_add_co_ci_u32_e64 v3, null, 0, v3, vcc_lo
	v_add_co_u32 v4, vcc_lo, v4, 32
	v_add_co_ci_u32_e64 v5, null, 0, v5, vcc_lo
	s_waitcnt lgkmcnt(8)
	v_fmac_f32_e32 v10, v32, v16
	v_fmac_f32_e32 v9, v33, v16
	s_waitcnt lgkmcnt(7)
	v_fmac_f32_e32 v8, v32, v20
	v_fmac_f32_e32 v7, v33, v20
	ds_read2_b32 v[32:33], v14 offset0:192 offset1:208
	s_waitcnt lgkmcnt(7)
	v_fmac_f32_e32 v10, v34, v17
	v_fmac_f32_e32 v9, v35, v17
	;; [unrolled: 1-line block ×4, first 2 shown]
	ds_read2_b32 v[16:17], v14 offset0:224 offset1:240
	s_waitcnt lgkmcnt(7)
	v_fmac_f32_e32 v10, v36, v18
	v_fmac_f32_e32 v9, v37, v18
	;; [unrolled: 1-line block ×4, first 2 shown]
	s_and_b32 vcc_lo, exec_lo, s20
	s_waitcnt lgkmcnt(6)
	v_fmac_f32_e32 v10, v38, v19
	v_fmac_f32_e32 v9, v39, v19
	;; [unrolled: 1-line block ×4, first 2 shown]
	s_waitcnt lgkmcnt(0)
	v_fmac_f32_e32 v10, v40, v24
	v_fmac_f32_e32 v9, v41, v24
	;; [unrolled: 1-line block ×4, first 2 shown]
	s_barrier
	v_fmac_f32_e32 v10, v42, v25
	v_fmac_f32_e32 v9, v43, v25
	;; [unrolled: 1-line block ×4, first 2 shown]
	buffer_gl0_inv
	v_fmac_f32_e32 v10, v32, v26
	v_fmac_f32_e32 v9, v33, v26
	v_fmac_f32_e32 v8, v32, v30
	v_fmac_f32_e32 v7, v33, v30
	v_fmac_f32_e32 v10, v16, v27
	v_fmac_f32_e32 v9, v17, v27
	v_fmac_f32_e32 v8, v16, v31
	v_fmac_f32_e32 v7, v17, v31
	s_cbranch_vccz .LBB199_7
.LBB199_3:                              ; =>This Inner Loop Header: Depth=1
	v_add_co_u32 v16, s20, v11, s2
	v_add_co_ci_u32_e64 v17, null, 0, s3, s20
	v_cmp_gt_i64_e32 vcc_lo, s[34:35], v[16:17]
	v_mov_b32_e32 v16, 0
	s_and_b32 s21, s0, vcc_lo
	s_and_saveexec_b32 s20, s21
	s_cbranch_execz .LBB199_5
; %bb.4:                                ;   in Loop: Header=BB199_3 Depth=1
	flat_load_dword v16, v[4:5]
.LBB199_5:                              ;   in Loop: Header=BB199_3 Depth=1
	s_or_b32 exec_lo, exec_lo, s20
	v_add_co_u32 v17, s20, v6, s2
	v_add_co_ci_u32_e64 v18, null, 0, s3, s20
	s_waitcnt vmcnt(0) lgkmcnt(0)
	ds_write_b32 v12, v16
	v_cmp_gt_i64_e32 vcc_lo, s[34:35], v[17:18]
	v_mov_b32_e32 v17, 0
	s_and_b32 s21, vcc_lo, s1
	s_and_saveexec_b32 s20, s21
	s_cbranch_execz .LBB199_2
; %bb.6:                                ;   in Loop: Header=BB199_3 Depth=1
	flat_load_dword v17, v[2:3]
	s_branch .LBB199_2
.LBB199_7:
	s_clause 0x1
	s_load_dword s20, s[4:5], 0x50
	s_load_dword s3, s[4:5], 0x18
	v_add_co_u32 v1, s2, s36, v1
	v_add_co_ci_u32_e64 v2, null, s37, 0, s2
	s_lshl_b64 s[0:1], s[10:11], 2
	s_waitcnt lgkmcnt(0)
	s_add_u32 s4, s18, s0
	v_cmp_gt_i64_e64 s0, s[30:31], v[1:2]
	s_addc_u32 s5, s19, s1
	v_cmp_neq_f32_e64 s2, s20, 0
	s_and_b32 vcc_lo, exec_lo, s2
	s_cbranch_vccnz .LBB199_20
; %bb.8:
	s_and_saveexec_b32 s10, s0
	s_cbranch_execz .LBB199_18
; %bb.9:
	v_mul_lo_u32 v5, v2, s8
	v_mul_lo_u32 v6, v1, s9
	v_mad_u64_u32 v[3:4], null, v1, s8, 0
	v_add3_u32 v4, v4, v6, v5
	v_add_co_u32 v5, s1, s6, v0
	v_add_co_ci_u32_e64 v6, null, s7, 0, s1
	v_lshlrev_b64 v[11:12], 2, v[3:4]
	v_cmp_gt_i64_e32 vcc_lo, s[28:29], v[5:6]
	v_lshlrev_b64 v[3:4], 2, v[5:6]
	v_add_co_u32 v11, s1, s4, v11
	v_add_co_ci_u32_e64 v12, null, s5, v12, s1
	s_and_saveexec_b32 s2, vcc_lo
	s_cbranch_execz .LBB199_11
; %bb.10:
	v_add_co_u32 v13, s1, v11, v3
	v_add_co_ci_u32_e64 v14, null, v12, v4, s1
	v_mul_f32_e32 v15, s3, v10
	flat_store_dword v[13:14], v15
.LBB199_11:
	s_or_b32 exec_lo, exec_lo, s2
	v_add_co_u32 v5, s1, v5, 16
	v_add_co_ci_u32_e64 v6, null, 0, v6, s1
	v_cmp_gt_i64_e64 s1, s[28:29], v[5:6]
	s_and_saveexec_b32 s11, s1
	s_cbranch_execz .LBB199_13
; %bb.12:
	v_add_co_u32 v5, s2, v11, v3
	v_add_co_ci_u32_e64 v6, null, v12, v4, s2
	v_mul_f32_e32 v13, s3, v9
	flat_store_dword v[5:6], v13 offset:64
.LBB199_13:
	s_or_b32 exec_lo, exec_lo, s11
	v_add_co_u32 v5, s2, v1, 16
	v_add_co_ci_u32_e64 v6, null, 0, v2, s2
	v_cmp_gt_i64_e64 s2, s[30:31], v[5:6]
	s_and_b32 exec_lo, exec_lo, s2
	s_cbranch_execz .LBB199_18
; %bb.14:
	s_lshl_b64 s[18:19], s[8:9], 6
	v_add_co_u32 v5, s2, v11, s18
	v_add_co_ci_u32_e64 v6, null, s19, v12, s2
	v_add_co_u32 v3, s2, v5, v3
	v_add_co_ci_u32_e64 v4, null, v6, v4, s2
	s_and_saveexec_b32 s2, vcc_lo
	s_cbranch_execz .LBB199_16
; %bb.15:
	v_mul_f32_e32 v5, s3, v8
	flat_store_dword v[3:4], v5
.LBB199_16:
	s_or_b32 exec_lo, exec_lo, s2
	s_and_b32 exec_lo, exec_lo, s1
	s_cbranch_execz .LBB199_18
; %bb.17:
	v_mul_f32_e32 v5, s3, v7
	flat_store_dword v[3:4], v5 offset:64
.LBB199_18:
	s_or_b32 exec_lo, exec_lo, s10
	s_cbranch_execz .LBB199_21
.LBB199_19:
	s_endpgm
.LBB199_20:
.LBB199_21:
	s_and_saveexec_b32 s1, s0
	s_cbranch_execz .LBB199_19
; %bb.22:
	v_mul_lo_u32 v5, v2, s14
	v_mul_lo_u32 v6, v1, s15
	v_mad_u64_u32 v[3:4], null, v1, s14, 0
	v_mul_lo_u32 v13, v2, s8
	v_mul_lo_u32 v14, v1, s9
	v_mad_u64_u32 v[11:12], null, v1, s8, 0
	s_lshl_b64 s[0:1], s[16:17], 2
	v_add3_u32 v4, v4, v6, v5
	v_add_co_u32 v5, s2, s6, v0
	v_add_co_ci_u32_e64 v6, null, s7, 0, s2
	v_add3_u32 v12, v12, v14, v13
	v_lshlrev_b64 v[3:4], 2, v[3:4]
	s_add_u32 s0, s12, s0
	s_addc_u32 s1, s13, s1
	v_cmp_gt_i64_e32 vcc_lo, s[28:29], v[5:6]
	v_lshlrev_b64 v[12:13], 2, v[11:12]
	v_add_co_u32 v0, s0, s0, v3
	v_add_co_ci_u32_e64 v11, null, s1, v4, s0
	v_add_co_u32 v12, s0, s4, v12
	v_lshlrev_b64 v[3:4], 2, v[5:6]
	v_add_co_ci_u32_e64 v13, null, s5, v13, s0
	s_and_saveexec_b32 s1, vcc_lo
	s_cbranch_execz .LBB199_24
; %bb.23:
	v_add_co_u32 v14, s0, v0, v3
	v_add_co_ci_u32_e64 v15, null, v11, v4, s0
	flat_load_dword v14, v[14:15]
	s_waitcnt vmcnt(0) lgkmcnt(0)
	v_mul_f32_e32 v16, s20, v14
	v_add_co_u32 v14, s0, v12, v3
	v_add_co_ci_u32_e64 v15, null, v13, v4, s0
	v_fmac_f32_e32 v16, s3, v10
	flat_store_dword v[14:15], v16
.LBB199_24:
	s_or_b32 exec_lo, exec_lo, s1
	v_add_co_u32 v5, s0, v5, 16
	v_add_co_ci_u32_e64 v6, null, 0, v6, s0
	v_cmp_gt_i64_e64 s0, s[28:29], v[5:6]
	s_and_saveexec_b32 s2, s0
	s_cbranch_execz .LBB199_26
; %bb.25:
	v_add_co_u32 v5, s1, v0, v3
	v_add_co_ci_u32_e64 v6, null, v11, v4, s1
	flat_load_dword v5, v[5:6] offset:64
	s_waitcnt vmcnt(0) lgkmcnt(0)
	v_mul_f32_e32 v10, s20, v5
	v_add_co_u32 v5, s1, v12, v3
	v_add_co_ci_u32_e64 v6, null, v13, v4, s1
	v_fmac_f32_e32 v10, s3, v9
	flat_store_dword v[5:6], v10 offset:64
.LBB199_26:
	s_or_b32 exec_lo, exec_lo, s2
	v_add_co_u32 v1, s1, v1, 16
	v_add_co_ci_u32_e64 v2, null, 0, v2, s1
	v_cmp_gt_i64_e64 s1, s[30:31], v[1:2]
	s_and_b32 exec_lo, exec_lo, s1
	s_cbranch_execz .LBB199_19
; %bb.27:
	s_lshl_b64 s[4:5], s[14:15], 6
	v_add_co_u32 v0, s1, v0, s4
	v_add_co_ci_u32_e64 v1, null, s5, v11, s1
	s_lshl_b64 s[4:5], s[8:9], 6
	v_add_co_u32 v2, s1, v12, s4
	v_add_co_ci_u32_e64 v5, null, s5, v13, s1
	v_add_co_u32 v0, s1, v0, v3
	v_add_co_ci_u32_e64 v1, null, v1, v4, s1
	;; [unrolled: 2-line block ×3, first 2 shown]
	s_and_saveexec_b32 s1, vcc_lo
	s_cbranch_execz .LBB199_29
; %bb.28:
	flat_load_dword v4, v[0:1]
	s_waitcnt vmcnt(0) lgkmcnt(0)
	v_mul_f32_e32 v4, s20, v4
	v_fmac_f32_e32 v4, s3, v8
	flat_store_dword v[2:3], v4
.LBB199_29:
	s_or_b32 exec_lo, exec_lo, s1
	s_and_b32 exec_lo, exec_lo, s0
	s_cbranch_execz .LBB199_19
; %bb.30:
	flat_load_dword v0, v[0:1] offset:64
	s_waitcnt vmcnt(0) lgkmcnt(0)
	v_mul_f32_e32 v0, s20, v0
	v_fmac_f32_e32 v0, s3, v7
	flat_store_dword v[2:3], v0 offset:64
	s_endpgm
	.section	.rodata,"a",@progbits
	.p2align	6, 0x0
	.amdhsa_kernel _ZN12_GLOBAL__N_135rocblas_gemm_batched_general_kernelIfLi16ELi16ELi32ELi32ELi8ELi32ELi8ELi8ELi32ELc67ELc78EKPKfS3_KPfEEvlllT_PT11_llS8_llS6_PT12_llPT13_lli
		.amdhsa_group_segment_fixed_size 2048
		.amdhsa_private_segment_fixed_size 0
		.amdhsa_kernarg_size 140
		.amdhsa_user_sgpr_count 6
		.amdhsa_user_sgpr_private_segment_buffer 1
		.amdhsa_user_sgpr_dispatch_ptr 0
		.amdhsa_user_sgpr_queue_ptr 0
		.amdhsa_user_sgpr_kernarg_segment_ptr 1
		.amdhsa_user_sgpr_dispatch_id 0
		.amdhsa_user_sgpr_flat_scratch_init 0
		.amdhsa_user_sgpr_private_segment_size 0
		.amdhsa_wavefront_size32 1
		.amdhsa_uses_dynamic_stack 0
		.amdhsa_system_sgpr_private_segment_wavefront_offset 0
		.amdhsa_system_sgpr_workgroup_id_x 1
		.amdhsa_system_sgpr_workgroup_id_y 1
		.amdhsa_system_sgpr_workgroup_id_z 1
		.amdhsa_system_sgpr_workgroup_info 0
		.amdhsa_system_vgpr_workitem_id 1
		.amdhsa_next_free_vgpr 44
		.amdhsa_next_free_sgpr 40
		.amdhsa_reserve_vcc 1
		.amdhsa_reserve_flat_scratch 0
		.amdhsa_float_round_mode_32 0
		.amdhsa_float_round_mode_16_64 0
		.amdhsa_float_denorm_mode_32 3
		.amdhsa_float_denorm_mode_16_64 3
		.amdhsa_dx10_clamp 1
		.amdhsa_ieee_mode 1
		.amdhsa_fp16_overflow 0
		.amdhsa_workgroup_processor_mode 1
		.amdhsa_memory_ordered 1
		.amdhsa_forward_progress 1
		.amdhsa_shared_vgpr_count 0
		.amdhsa_exception_fp_ieee_invalid_op 0
		.amdhsa_exception_fp_denorm_src 0
		.amdhsa_exception_fp_ieee_div_zero 0
		.amdhsa_exception_fp_ieee_overflow 0
		.amdhsa_exception_fp_ieee_underflow 0
		.amdhsa_exception_fp_ieee_inexact 0
		.amdhsa_exception_int_div_zero 0
	.end_amdhsa_kernel
	.section	.text._ZN12_GLOBAL__N_135rocblas_gemm_batched_general_kernelIfLi16ELi16ELi32ELi32ELi8ELi32ELi8ELi8ELi32ELc67ELc78EKPKfS3_KPfEEvlllT_PT11_llS8_llS6_PT12_llPT13_lli,"axG",@progbits,_ZN12_GLOBAL__N_135rocblas_gemm_batched_general_kernelIfLi16ELi16ELi32ELi32ELi8ELi32ELi8ELi8ELi32ELc67ELc78EKPKfS3_KPfEEvlllT_PT11_llS8_llS6_PT12_llPT13_lli,comdat
.Lfunc_end199:
	.size	_ZN12_GLOBAL__N_135rocblas_gemm_batched_general_kernelIfLi16ELi16ELi32ELi32ELi8ELi32ELi8ELi8ELi32ELc67ELc78EKPKfS3_KPfEEvlllT_PT11_llS8_llS6_PT12_llPT13_lli, .Lfunc_end199-_ZN12_GLOBAL__N_135rocblas_gemm_batched_general_kernelIfLi16ELi16ELi32ELi32ELi8ELi32ELi8ELi8ELi32ELc67ELc78EKPKfS3_KPfEEvlllT_PT11_llS8_llS6_PT12_llPT13_lli
                                        ; -- End function
	.set _ZN12_GLOBAL__N_135rocblas_gemm_batched_general_kernelIfLi16ELi16ELi32ELi32ELi8ELi32ELi8ELi8ELi32ELc67ELc78EKPKfS3_KPfEEvlllT_PT11_llS8_llS6_PT12_llPT13_lli.num_vgpr, 44
	.set _ZN12_GLOBAL__N_135rocblas_gemm_batched_general_kernelIfLi16ELi16ELi32ELi32ELi8ELi32ELi8ELi8ELi32ELc67ELc78EKPKfS3_KPfEEvlllT_PT11_llS8_llS6_PT12_llPT13_lli.num_agpr, 0
	.set _ZN12_GLOBAL__N_135rocblas_gemm_batched_general_kernelIfLi16ELi16ELi32ELi32ELi8ELi32ELi8ELi8ELi32ELc67ELc78EKPKfS3_KPfEEvlllT_PT11_llS8_llS6_PT12_llPT13_lli.numbered_sgpr, 40
	.set _ZN12_GLOBAL__N_135rocblas_gemm_batched_general_kernelIfLi16ELi16ELi32ELi32ELi8ELi32ELi8ELi8ELi32ELc67ELc78EKPKfS3_KPfEEvlllT_PT11_llS8_llS6_PT12_llPT13_lli.num_named_barrier, 0
	.set _ZN12_GLOBAL__N_135rocblas_gemm_batched_general_kernelIfLi16ELi16ELi32ELi32ELi8ELi32ELi8ELi8ELi32ELc67ELc78EKPKfS3_KPfEEvlllT_PT11_llS8_llS6_PT12_llPT13_lli.private_seg_size, 0
	.set _ZN12_GLOBAL__N_135rocblas_gemm_batched_general_kernelIfLi16ELi16ELi32ELi32ELi8ELi32ELi8ELi8ELi32ELc67ELc78EKPKfS3_KPfEEvlllT_PT11_llS8_llS6_PT12_llPT13_lli.uses_vcc, 1
	.set _ZN12_GLOBAL__N_135rocblas_gemm_batched_general_kernelIfLi16ELi16ELi32ELi32ELi8ELi32ELi8ELi8ELi32ELc67ELc78EKPKfS3_KPfEEvlllT_PT11_llS8_llS6_PT12_llPT13_lli.uses_flat_scratch, 0
	.set _ZN12_GLOBAL__N_135rocblas_gemm_batched_general_kernelIfLi16ELi16ELi32ELi32ELi8ELi32ELi8ELi8ELi32ELc67ELc78EKPKfS3_KPfEEvlllT_PT11_llS8_llS6_PT12_llPT13_lli.has_dyn_sized_stack, 0
	.set _ZN12_GLOBAL__N_135rocblas_gemm_batched_general_kernelIfLi16ELi16ELi32ELi32ELi8ELi32ELi8ELi8ELi32ELc67ELc78EKPKfS3_KPfEEvlllT_PT11_llS8_llS6_PT12_llPT13_lli.has_recursion, 0
	.set _ZN12_GLOBAL__N_135rocblas_gemm_batched_general_kernelIfLi16ELi16ELi32ELi32ELi8ELi32ELi8ELi8ELi32ELc67ELc78EKPKfS3_KPfEEvlllT_PT11_llS8_llS6_PT12_llPT13_lli.has_indirect_call, 0
	.section	.AMDGPU.csdata,"",@progbits
; Kernel info:
; codeLenInByte = 1896
; TotalNumSgprs: 42
; NumVgprs: 44
; ScratchSize: 0
; MemoryBound: 0
; FloatMode: 240
; IeeeMode: 1
; LDSByteSize: 2048 bytes/workgroup (compile time only)
; SGPRBlocks: 0
; VGPRBlocks: 5
; NumSGPRsForWavesPerEU: 42
; NumVGPRsForWavesPerEU: 44
; Occupancy: 16
; WaveLimiterHint : 1
; COMPUTE_PGM_RSRC2:SCRATCH_EN: 0
; COMPUTE_PGM_RSRC2:USER_SGPR: 6
; COMPUTE_PGM_RSRC2:TRAP_HANDLER: 0
; COMPUTE_PGM_RSRC2:TGID_X_EN: 1
; COMPUTE_PGM_RSRC2:TGID_Y_EN: 1
; COMPUTE_PGM_RSRC2:TGID_Z_EN: 1
; COMPUTE_PGM_RSRC2:TIDIG_COMP_CNT: 1
	.section	.text._ZN12_GLOBAL__N_135rocblas_gemm_batched_general_kernelIfLi16ELi16ELi32ELi32ELi8ELi32ELi8ELi8ELi32ELc67ELc84EKPKfS3_KPfEEvlllT_PT11_llS8_llS6_PT12_llPT13_lli,"axG",@progbits,_ZN12_GLOBAL__N_135rocblas_gemm_batched_general_kernelIfLi16ELi16ELi32ELi32ELi8ELi32ELi8ELi8ELi32ELc67ELc84EKPKfS3_KPfEEvlllT_PT11_llS8_llS6_PT12_llPT13_lli,comdat
	.globl	_ZN12_GLOBAL__N_135rocblas_gemm_batched_general_kernelIfLi16ELi16ELi32ELi32ELi8ELi32ELi8ELi8ELi32ELc67ELc84EKPKfS3_KPfEEvlllT_PT11_llS8_llS6_PT12_llPT13_lli ; -- Begin function _ZN12_GLOBAL__N_135rocblas_gemm_batched_general_kernelIfLi16ELi16ELi32ELi32ELi8ELi32ELi8ELi8ELi32ELc67ELc84EKPKfS3_KPfEEvlllT_PT11_llS8_llS6_PT12_llPT13_lli
	.p2align	8
	.type	_ZN12_GLOBAL__N_135rocblas_gemm_batched_general_kernelIfLi16ELi16ELi32ELi32ELi8ELi32ELi8ELi8ELi32ELc67ELc84EKPKfS3_KPfEEvlllT_PT11_llS8_llS6_PT12_llPT13_lli,@function
_ZN12_GLOBAL__N_135rocblas_gemm_batched_general_kernelIfLi16ELi16ELi32ELi32ELi8ELi32ELi8ELi8ELi32ELc67ELc84EKPKfS3_KPfEEvlllT_PT11_llS8_llS6_PT12_llPT13_lli: ; @_ZN12_GLOBAL__N_135rocblas_gemm_batched_general_kernelIfLi16ELi16ELi32ELi32ELi8ELi32ELi8ELi8ELi32ELc67ELc84EKPKfS3_KPfEEvlllT_PT11_llS8_llS6_PT12_llPT13_lli
; %bb.0:
	s_clause 0x1
	s_load_dwordx8 s[12:19], s[4:5], 0x58
	s_load_dwordx2 s[34:35], s[4:5], 0x10
	s_mov_b32 s9, 0
	s_load_dwordx4 s[28:31], s[4:5], 0x0
	s_lshl_b64 s[42:43], s[8:9], 3
	s_load_dwordx4 s[8:11], s[4:5], 0x78
	s_mov_b32 s40, s7
	v_mov_b32_e32 v10, 0
	v_mov_b32_e32 v9, 0
	;; [unrolled: 1-line block ×4, first 2 shown]
	s_waitcnt lgkmcnt(0)
	s_add_u32 s0, s12, s42
	s_addc_u32 s1, s13, s43
	s_add_u32 s2, s18, s42
	s_addc_u32 s3, s19, s43
	s_load_dwordx2 s[12:13], s[0:1], 0x0
	s_load_dwordx2 s[2:3], s[2:3], 0x0
	v_cmp_lt_i64_e64 s0, s[34:35], 1
	s_ashr_i32 s7, s6, 31
	s_ashr_i32 s41, s40, 31
	s_lshl_b64 s[6:7], s[6:7], 5
	s_lshl_b64 s[18:19], s[40:41], 5
	s_and_b32 vcc_lo, exec_lo, s0
	s_cbranch_vccnz .LBB200_7
; %bb.1:
	s_clause 0x1
	s_load_dwordx4 s[36:39], s[4:5], 0x40
	s_load_dwordx8 s[20:27], s[4:5], 0x20
	v_lshl_add_u32 v2, v1, 4, v0
	v_and_b32_e32 v6, 7, v0
	v_mov_b32_e32 v3, s7
	v_mov_b32_e32 v7, 0
	v_lshlrev_b32_e32 v11, 2, v0
	v_and_b32_e32 v14, 31, v2
	v_lshrrev_b32_e32 v10, 3, v2
	v_lshrrev_b32_e32 v13, 5, v2
	v_lshlrev_b32_e32 v15, 2, v6
	v_lshl_add_u32 v12, v1, 5, 0x400
	v_or_b32_e32 v2, s6, v14
	v_add_co_u32 v4, s0, v10, s18
	v_add_co_ci_u32_e64 v5, null, 0, s19, s0
	v_add_co_u32 v17, s0, s6, v14
	v_add_co_ci_u32_e64 v18, null, s7, 0, s0
	s_waitcnt lgkmcnt(0)
	v_mad_u64_u32 v[8:9], null, s36, v6, 0
	v_cmp_gt_i64_e64 s0, s[28:29], v[2:3]
	v_lshlrev_b32_e32 v16, 2, v14
	v_cmp_gt_i64_e64 s1, s[30:31], v[4:5]
	v_mul_lo_u32 v5, s23, v17
	s_add_u32 s26, s26, s42
	s_addc_u32 s27, s27, s43
	v_mov_b32_e32 v2, v9
	v_lshl_or_b32 v14, v13, 7, v16
	v_mul_lo_u32 v16, s22, v18
	s_add_u32 s20, s20, s42
	s_addc_u32 s21, s21, s43
	v_mad_u64_u32 v[2:3], null, s37, v6, v[2:3]
	v_mad_u64_u32 v[3:4], null, s22, v17, 0
	s_load_dwordx2 s[22:23], s[26:27], 0x0
	s_load_dwordx2 s[20:21], s[20:21], 0x0
	s_lshl_b64 s[26:27], s[40:41], 7
	s_lshl_b64 s[38:39], s[38:39], 2
	v_mov_b32_e32 v9, v2
	s_add_u32 s26, s38, s26
	v_add3_u32 v4, v4, v16, v5
	s_addc_u32 s27, s39, s27
	s_lshl_b64 s[24:25], s[24:25], 2
	v_lshlrev_b64 v[8:9], 2, v[8:9]
	v_lshl_or_b32 v15, v10, 5, v15
	v_lshlrev_b64 v[2:3], 2, v[3:4]
	v_add_nc_u32_e32 v15, 0x400, v15
	v_add_co_u32 v4, vcc_lo, s26, v8
	v_lshlrev_b32_e32 v8, 2, v10
	v_add_co_ci_u32_e64 v5, null, s27, v9, vcc_lo
	v_add_co_u32 v2, vcc_lo, v2, s24
	v_lshlrev_b32_e32 v9, 2, v13
	v_add_co_ci_u32_e64 v3, null, s25, v3, vcc_lo
	v_add_co_u32 v4, vcc_lo, v4, v8
	v_add_co_ci_u32_e64 v5, null, 0, v5, vcc_lo
	v_add_co_u32 v8, vcc_lo, v2, v9
	v_add_co_ci_u32_e64 v9, null, 0, v3, vcc_lo
	s_waitcnt lgkmcnt(0)
	v_add_co_u32 v2, vcc_lo, s22, v4
	v_add_co_ci_u32_e64 v3, null, s23, v5, vcc_lo
	v_add_co_u32 v4, vcc_lo, s20, v8
	v_add_co_ci_u32_e64 v5, null, s21, v9, vcc_lo
	v_mov_b32_e32 v8, 0
	v_mov_b32_e32 v9, 0
	;; [unrolled: 1-line block ×3, first 2 shown]
	s_lshl_b64 s[20:21], s[36:37], 5
	s_mov_b64 s[22:23], 0
	s_branch .LBB200_3
.LBB200_2:                              ;   in Loop: Header=BB200_3 Depth=1
	s_or_b32 exec_lo, exec_lo, s24
	s_waitcnt vmcnt(0) lgkmcnt(0)
	ds_write_b32 v15, v17
	s_waitcnt lgkmcnt(0)
	s_barrier
	buffer_gl0_inv
	ds_read_b128 v[16:19], v12
	ds_read2_b32 v[32:33], v11 offset1:16
	ds_read_b128 v[20:23], v12 offset:512
	ds_read2_b32 v[34:35], v11 offset0:32 offset1:48
	ds_read2_b32 v[36:37], v11 offset0:64 offset1:80
	;; [unrolled: 1-line block ×3, first 2 shown]
	ds_read_b128 v[24:27], v12 offset:16
	ds_read2_b32 v[40:41], v11 offset0:128 offset1:144
	ds_read_b128 v[28:31], v12 offset:528
	ds_read2_b32 v[42:43], v11 offset0:160 offset1:176
	s_add_u32 s22, s22, 8
	s_addc_u32 s23, s23, 0
	v_add_co_u32 v2, vcc_lo, v2, s20
	v_cmp_lt_i64_e64 s24, s[22:23], s[34:35]
	v_add_co_ci_u32_e64 v3, null, s21, v3, vcc_lo
	v_add_co_u32 v4, vcc_lo, v4, 32
	v_add_co_ci_u32_e64 v5, null, 0, v5, vcc_lo
	s_waitcnt lgkmcnt(8)
	v_fmac_f32_e32 v10, v32, v16
	v_fmac_f32_e32 v9, v33, v16
	s_waitcnt lgkmcnt(7)
	v_fmac_f32_e32 v8, v32, v20
	v_fmac_f32_e32 v7, v33, v20
	ds_read2_b32 v[32:33], v11 offset0:192 offset1:208
	s_waitcnt lgkmcnt(7)
	v_fmac_f32_e32 v10, v34, v17
	v_fmac_f32_e32 v9, v35, v17
	;; [unrolled: 1-line block ×4, first 2 shown]
	ds_read2_b32 v[16:17], v11 offset0:224 offset1:240
	s_waitcnt lgkmcnt(7)
	v_fmac_f32_e32 v10, v36, v18
	v_fmac_f32_e32 v9, v37, v18
	;; [unrolled: 1-line block ×4, first 2 shown]
	s_and_b32 vcc_lo, exec_lo, s24
	s_waitcnt lgkmcnt(6)
	v_fmac_f32_e32 v10, v38, v19
	v_fmac_f32_e32 v9, v39, v19
	v_fmac_f32_e32 v8, v38, v23
	v_fmac_f32_e32 v7, v39, v23
	s_waitcnt lgkmcnt(0)
	v_fmac_f32_e32 v10, v40, v24
	v_fmac_f32_e32 v9, v41, v24
	;; [unrolled: 1-line block ×4, first 2 shown]
	s_barrier
	v_fmac_f32_e32 v10, v42, v25
	v_fmac_f32_e32 v9, v43, v25
	;; [unrolled: 1-line block ×4, first 2 shown]
	buffer_gl0_inv
	v_fmac_f32_e32 v10, v32, v26
	v_fmac_f32_e32 v9, v33, v26
	;; [unrolled: 1-line block ×8, first 2 shown]
	s_cbranch_vccz .LBB200_7
.LBB200_3:                              ; =>This Inner Loop Header: Depth=1
	v_add_co_u32 v16, s24, v13, s22
	v_add_co_ci_u32_e64 v17, null, 0, s23, s24
	v_cmp_gt_i64_e32 vcc_lo, s[34:35], v[16:17]
	v_mov_b32_e32 v16, 0
	s_and_b32 s25, s0, vcc_lo
	s_and_saveexec_b32 s24, s25
	s_cbranch_execz .LBB200_5
; %bb.4:                                ;   in Loop: Header=BB200_3 Depth=1
	flat_load_dword v16, v[4:5]
.LBB200_5:                              ;   in Loop: Header=BB200_3 Depth=1
	s_or_b32 exec_lo, exec_lo, s24
	v_add_co_u32 v17, s24, v6, s22
	v_add_co_ci_u32_e64 v18, null, 0, s23, s24
	s_waitcnt vmcnt(0) lgkmcnt(0)
	ds_write_b32 v14, v16
	v_cmp_gt_i64_e32 vcc_lo, s[34:35], v[17:18]
	v_mov_b32_e32 v17, 0
	s_and_b32 s25, vcc_lo, s1
	s_and_saveexec_b32 s24, s25
	s_cbranch_execz .LBB200_2
; %bb.6:                                ;   in Loop: Header=BB200_3 Depth=1
	flat_load_dword v17, v[2:3]
	s_branch .LBB200_2
.LBB200_7:
	s_clause 0x1
	s_load_dword s20, s[4:5], 0x50
	s_load_dword s4, s[4:5], 0x18
	v_add_co_u32 v1, s5, s18, v1
	v_add_co_ci_u32_e64 v2, null, s19, 0, s5
	s_lshl_b64 s[0:1], s[10:11], 2
	s_waitcnt lgkmcnt(0)
	s_add_u32 s5, s2, s0
	v_cmp_gt_i64_e64 s0, s[30:31], v[1:2]
	s_addc_u32 s3, s3, s1
	v_cmp_neq_f32_e64 s10, s20, 0
	s_and_b32 vcc_lo, exec_lo, s10
	s_cbranch_vccnz .LBB200_20
; %bb.8:
	s_and_saveexec_b32 s10, s0
	s_cbranch_execz .LBB200_18
; %bb.9:
	v_mul_lo_u32 v5, v2, s8
	v_mul_lo_u32 v6, v1, s9
	v_mad_u64_u32 v[3:4], null, v1, s8, 0
	v_add3_u32 v4, v4, v6, v5
	v_add_co_u32 v5, s1, s6, v0
	v_add_co_ci_u32_e64 v6, null, s7, 0, s1
	v_lshlrev_b64 v[11:12], 2, v[3:4]
	v_cmp_gt_i64_e32 vcc_lo, s[28:29], v[5:6]
	v_lshlrev_b64 v[3:4], 2, v[5:6]
	v_add_co_u32 v11, s1, s5, v11
	v_add_co_ci_u32_e64 v12, null, s3, v12, s1
	s_and_saveexec_b32 s2, vcc_lo
	s_cbranch_execz .LBB200_11
; %bb.10:
	v_add_co_u32 v13, s1, v11, v3
	v_add_co_ci_u32_e64 v14, null, v12, v4, s1
	v_mul_f32_e32 v15, s4, v10
	flat_store_dword v[13:14], v15
.LBB200_11:
	s_or_b32 exec_lo, exec_lo, s2
	v_add_co_u32 v5, s1, v5, 16
	v_add_co_ci_u32_e64 v6, null, 0, v6, s1
	v_cmp_gt_i64_e64 s1, s[28:29], v[5:6]
	s_and_saveexec_b32 s11, s1
	s_cbranch_execz .LBB200_13
; %bb.12:
	v_add_co_u32 v5, s2, v11, v3
	v_add_co_ci_u32_e64 v6, null, v12, v4, s2
	v_mul_f32_e32 v13, s4, v9
	flat_store_dword v[5:6], v13 offset:64
.LBB200_13:
	s_or_b32 exec_lo, exec_lo, s11
	v_add_co_u32 v5, s2, v1, 16
	v_add_co_ci_u32_e64 v6, null, 0, v2, s2
	v_cmp_gt_i64_e64 s2, s[30:31], v[5:6]
	s_and_b32 exec_lo, exec_lo, s2
	s_cbranch_execz .LBB200_18
; %bb.14:
	s_lshl_b64 s[18:19], s[8:9], 6
	v_add_co_u32 v5, s2, v11, s18
	v_add_co_ci_u32_e64 v6, null, s19, v12, s2
	v_add_co_u32 v3, s2, v5, v3
	v_add_co_ci_u32_e64 v4, null, v6, v4, s2
	s_and_saveexec_b32 s2, vcc_lo
	s_cbranch_execz .LBB200_16
; %bb.15:
	v_mul_f32_e32 v5, s4, v8
	flat_store_dword v[3:4], v5
.LBB200_16:
	s_or_b32 exec_lo, exec_lo, s2
	s_and_b32 exec_lo, exec_lo, s1
	s_cbranch_execz .LBB200_18
; %bb.17:
	v_mul_f32_e32 v5, s4, v7
	flat_store_dword v[3:4], v5 offset:64
.LBB200_18:
	s_or_b32 exec_lo, exec_lo, s10
	s_cbranch_execz .LBB200_21
.LBB200_19:
	s_endpgm
.LBB200_20:
.LBB200_21:
	s_and_saveexec_b32 s1, s0
	s_cbranch_execz .LBB200_19
; %bb.22:
	v_mul_lo_u32 v5, v2, s14
	v_mul_lo_u32 v6, v1, s15
	v_mad_u64_u32 v[3:4], null, v1, s14, 0
	v_mul_lo_u32 v13, v2, s8
	v_mul_lo_u32 v14, v1, s9
	v_mad_u64_u32 v[11:12], null, v1, s8, 0
	s_lshl_b64 s[0:1], s[16:17], 2
	v_add3_u32 v4, v4, v6, v5
	v_add_co_u32 v5, s2, s6, v0
	v_add_co_ci_u32_e64 v6, null, s7, 0, s2
	v_add3_u32 v12, v12, v14, v13
	v_lshlrev_b64 v[3:4], 2, v[3:4]
	s_add_u32 s0, s12, s0
	s_addc_u32 s1, s13, s1
	v_cmp_gt_i64_e32 vcc_lo, s[28:29], v[5:6]
	v_lshlrev_b64 v[12:13], 2, v[11:12]
	v_add_co_u32 v0, s0, s0, v3
	v_add_co_ci_u32_e64 v11, null, s1, v4, s0
	v_add_co_u32 v12, s0, s5, v12
	v_lshlrev_b64 v[3:4], 2, v[5:6]
	v_add_co_ci_u32_e64 v13, null, s3, v13, s0
	s_and_saveexec_b32 s1, vcc_lo
	s_cbranch_execz .LBB200_24
; %bb.23:
	v_add_co_u32 v14, s0, v0, v3
	v_add_co_ci_u32_e64 v15, null, v11, v4, s0
	flat_load_dword v14, v[14:15]
	s_waitcnt vmcnt(0) lgkmcnt(0)
	v_mul_f32_e32 v16, s20, v14
	v_add_co_u32 v14, s0, v12, v3
	v_add_co_ci_u32_e64 v15, null, v13, v4, s0
	v_fmac_f32_e32 v16, s4, v10
	flat_store_dword v[14:15], v16
.LBB200_24:
	s_or_b32 exec_lo, exec_lo, s1
	v_add_co_u32 v5, s0, v5, 16
	v_add_co_ci_u32_e64 v6, null, 0, v6, s0
	v_cmp_gt_i64_e64 s0, s[28:29], v[5:6]
	s_and_saveexec_b32 s2, s0
	s_cbranch_execz .LBB200_26
; %bb.25:
	v_add_co_u32 v5, s1, v0, v3
	v_add_co_ci_u32_e64 v6, null, v11, v4, s1
	flat_load_dword v5, v[5:6] offset:64
	s_waitcnt vmcnt(0) lgkmcnt(0)
	v_mul_f32_e32 v10, s20, v5
	v_add_co_u32 v5, s1, v12, v3
	v_add_co_ci_u32_e64 v6, null, v13, v4, s1
	v_fmac_f32_e32 v10, s4, v9
	flat_store_dword v[5:6], v10 offset:64
.LBB200_26:
	s_or_b32 exec_lo, exec_lo, s2
	v_add_co_u32 v1, s1, v1, 16
	v_add_co_ci_u32_e64 v2, null, 0, v2, s1
	v_cmp_gt_i64_e64 s1, s[30:31], v[1:2]
	s_and_b32 exec_lo, exec_lo, s1
	s_cbranch_execz .LBB200_19
; %bb.27:
	s_lshl_b64 s[2:3], s[14:15], 6
	v_add_co_u32 v0, s1, v0, s2
	v_add_co_ci_u32_e64 v1, null, s3, v11, s1
	s_lshl_b64 s[2:3], s[8:9], 6
	v_add_co_u32 v2, s1, v12, s2
	v_add_co_ci_u32_e64 v5, null, s3, v13, s1
	v_add_co_u32 v0, s1, v0, v3
	v_add_co_ci_u32_e64 v1, null, v1, v4, s1
	;; [unrolled: 2-line block ×3, first 2 shown]
	s_and_saveexec_b32 s1, vcc_lo
	s_cbranch_execz .LBB200_29
; %bb.28:
	flat_load_dword v4, v[0:1]
	s_waitcnt vmcnt(0) lgkmcnt(0)
	v_mul_f32_e32 v4, s20, v4
	v_fmac_f32_e32 v4, s4, v8
	flat_store_dword v[2:3], v4
.LBB200_29:
	s_or_b32 exec_lo, exec_lo, s1
	s_and_b32 exec_lo, exec_lo, s0
	s_cbranch_execz .LBB200_19
; %bb.30:
	flat_load_dword v0, v[0:1] offset:64
	s_waitcnt vmcnt(0) lgkmcnt(0)
	v_mul_f32_e32 v0, s20, v0
	v_fmac_f32_e32 v0, s4, v7
	flat_store_dword v[2:3], v0 offset:64
	s_endpgm
	.section	.rodata,"a",@progbits
	.p2align	6, 0x0
	.amdhsa_kernel _ZN12_GLOBAL__N_135rocblas_gemm_batched_general_kernelIfLi16ELi16ELi32ELi32ELi8ELi32ELi8ELi8ELi32ELc67ELc84EKPKfS3_KPfEEvlllT_PT11_llS8_llS6_PT12_llPT13_lli
		.amdhsa_group_segment_fixed_size 2048
		.amdhsa_private_segment_fixed_size 0
		.amdhsa_kernarg_size 140
		.amdhsa_user_sgpr_count 6
		.amdhsa_user_sgpr_private_segment_buffer 1
		.amdhsa_user_sgpr_dispatch_ptr 0
		.amdhsa_user_sgpr_queue_ptr 0
		.amdhsa_user_sgpr_kernarg_segment_ptr 1
		.amdhsa_user_sgpr_dispatch_id 0
		.amdhsa_user_sgpr_flat_scratch_init 0
		.amdhsa_user_sgpr_private_segment_size 0
		.amdhsa_wavefront_size32 1
		.amdhsa_uses_dynamic_stack 0
		.amdhsa_system_sgpr_private_segment_wavefront_offset 0
		.amdhsa_system_sgpr_workgroup_id_x 1
		.amdhsa_system_sgpr_workgroup_id_y 1
		.amdhsa_system_sgpr_workgroup_id_z 1
		.amdhsa_system_sgpr_workgroup_info 0
		.amdhsa_system_vgpr_workitem_id 1
		.amdhsa_next_free_vgpr 44
		.amdhsa_next_free_sgpr 44
		.amdhsa_reserve_vcc 1
		.amdhsa_reserve_flat_scratch 0
		.amdhsa_float_round_mode_32 0
		.amdhsa_float_round_mode_16_64 0
		.amdhsa_float_denorm_mode_32 3
		.amdhsa_float_denorm_mode_16_64 3
		.amdhsa_dx10_clamp 1
		.amdhsa_ieee_mode 1
		.amdhsa_fp16_overflow 0
		.amdhsa_workgroup_processor_mode 1
		.amdhsa_memory_ordered 1
		.amdhsa_forward_progress 1
		.amdhsa_shared_vgpr_count 0
		.amdhsa_exception_fp_ieee_invalid_op 0
		.amdhsa_exception_fp_denorm_src 0
		.amdhsa_exception_fp_ieee_div_zero 0
		.amdhsa_exception_fp_ieee_overflow 0
		.amdhsa_exception_fp_ieee_underflow 0
		.amdhsa_exception_fp_ieee_inexact 0
		.amdhsa_exception_int_div_zero 0
	.end_amdhsa_kernel
	.section	.text._ZN12_GLOBAL__N_135rocblas_gemm_batched_general_kernelIfLi16ELi16ELi32ELi32ELi8ELi32ELi8ELi8ELi32ELc67ELc84EKPKfS3_KPfEEvlllT_PT11_llS8_llS6_PT12_llPT13_lli,"axG",@progbits,_ZN12_GLOBAL__N_135rocblas_gemm_batched_general_kernelIfLi16ELi16ELi32ELi32ELi8ELi32ELi8ELi8ELi32ELc67ELc84EKPKfS3_KPfEEvlllT_PT11_llS8_llS6_PT12_llPT13_lli,comdat
.Lfunc_end200:
	.size	_ZN12_GLOBAL__N_135rocblas_gemm_batched_general_kernelIfLi16ELi16ELi32ELi32ELi8ELi32ELi8ELi8ELi32ELc67ELc84EKPKfS3_KPfEEvlllT_PT11_llS8_llS6_PT12_llPT13_lli, .Lfunc_end200-_ZN12_GLOBAL__N_135rocblas_gemm_batched_general_kernelIfLi16ELi16ELi32ELi32ELi8ELi32ELi8ELi8ELi32ELc67ELc84EKPKfS3_KPfEEvlllT_PT11_llS8_llS6_PT12_llPT13_lli
                                        ; -- End function
	.set _ZN12_GLOBAL__N_135rocblas_gemm_batched_general_kernelIfLi16ELi16ELi32ELi32ELi8ELi32ELi8ELi8ELi32ELc67ELc84EKPKfS3_KPfEEvlllT_PT11_llS8_llS6_PT12_llPT13_lli.num_vgpr, 44
	.set _ZN12_GLOBAL__N_135rocblas_gemm_batched_general_kernelIfLi16ELi16ELi32ELi32ELi8ELi32ELi8ELi8ELi32ELc67ELc84EKPKfS3_KPfEEvlllT_PT11_llS8_llS6_PT12_llPT13_lli.num_agpr, 0
	.set _ZN12_GLOBAL__N_135rocblas_gemm_batched_general_kernelIfLi16ELi16ELi32ELi32ELi8ELi32ELi8ELi8ELi32ELc67ELc84EKPKfS3_KPfEEvlllT_PT11_llS8_llS6_PT12_llPT13_lli.numbered_sgpr, 44
	.set _ZN12_GLOBAL__N_135rocblas_gemm_batched_general_kernelIfLi16ELi16ELi32ELi32ELi8ELi32ELi8ELi8ELi32ELc67ELc84EKPKfS3_KPfEEvlllT_PT11_llS8_llS6_PT12_llPT13_lli.num_named_barrier, 0
	.set _ZN12_GLOBAL__N_135rocblas_gemm_batched_general_kernelIfLi16ELi16ELi32ELi32ELi8ELi32ELi8ELi8ELi32ELc67ELc84EKPKfS3_KPfEEvlllT_PT11_llS8_llS6_PT12_llPT13_lli.private_seg_size, 0
	.set _ZN12_GLOBAL__N_135rocblas_gemm_batched_general_kernelIfLi16ELi16ELi32ELi32ELi8ELi32ELi8ELi8ELi32ELc67ELc84EKPKfS3_KPfEEvlllT_PT11_llS8_llS6_PT12_llPT13_lli.uses_vcc, 1
	.set _ZN12_GLOBAL__N_135rocblas_gemm_batched_general_kernelIfLi16ELi16ELi32ELi32ELi8ELi32ELi8ELi8ELi32ELc67ELc84EKPKfS3_KPfEEvlllT_PT11_llS8_llS6_PT12_llPT13_lli.uses_flat_scratch, 0
	.set _ZN12_GLOBAL__N_135rocblas_gemm_batched_general_kernelIfLi16ELi16ELi32ELi32ELi8ELi32ELi8ELi8ELi32ELc67ELc84EKPKfS3_KPfEEvlllT_PT11_llS8_llS6_PT12_llPT13_lli.has_dyn_sized_stack, 0
	.set _ZN12_GLOBAL__N_135rocblas_gemm_batched_general_kernelIfLi16ELi16ELi32ELi32ELi8ELi32ELi8ELi8ELi32ELc67ELc84EKPKfS3_KPfEEvlllT_PT11_llS8_llS6_PT12_llPT13_lli.has_recursion, 0
	.set _ZN12_GLOBAL__N_135rocblas_gemm_batched_general_kernelIfLi16ELi16ELi32ELi32ELi8ELi32ELi8ELi8ELi32ELc67ELc84EKPKfS3_KPfEEvlllT_PT11_llS8_llS6_PT12_llPT13_lli.has_indirect_call, 0
	.section	.AMDGPU.csdata,"",@progbits
; Kernel info:
; codeLenInByte = 1908
; TotalNumSgprs: 46
; NumVgprs: 44
; ScratchSize: 0
; MemoryBound: 0
; FloatMode: 240
; IeeeMode: 1
; LDSByteSize: 2048 bytes/workgroup (compile time only)
; SGPRBlocks: 0
; VGPRBlocks: 5
; NumSGPRsForWavesPerEU: 46
; NumVGPRsForWavesPerEU: 44
; Occupancy: 16
; WaveLimiterHint : 1
; COMPUTE_PGM_RSRC2:SCRATCH_EN: 0
; COMPUTE_PGM_RSRC2:USER_SGPR: 6
; COMPUTE_PGM_RSRC2:TRAP_HANDLER: 0
; COMPUTE_PGM_RSRC2:TGID_X_EN: 1
; COMPUTE_PGM_RSRC2:TGID_Y_EN: 1
; COMPUTE_PGM_RSRC2:TGID_Z_EN: 1
; COMPUTE_PGM_RSRC2:TIDIG_COMP_CNT: 1
	.section	.text._ZN12_GLOBAL__N_135rocblas_gemm_batched_general_kernelIfLi16ELi16ELi32ELi32ELi8ELi32ELi8ELi8ELi32ELc78ELc67EKPKfS3_KPfEEvlllT_PT11_llS8_llS6_PT12_llPT13_lli,"axG",@progbits,_ZN12_GLOBAL__N_135rocblas_gemm_batched_general_kernelIfLi16ELi16ELi32ELi32ELi8ELi32ELi8ELi8ELi32ELc78ELc67EKPKfS3_KPfEEvlllT_PT11_llS8_llS6_PT12_llPT13_lli,comdat
	.globl	_ZN12_GLOBAL__N_135rocblas_gemm_batched_general_kernelIfLi16ELi16ELi32ELi32ELi8ELi32ELi8ELi8ELi32ELc78ELc67EKPKfS3_KPfEEvlllT_PT11_llS8_llS6_PT12_llPT13_lli ; -- Begin function _ZN12_GLOBAL__N_135rocblas_gemm_batched_general_kernelIfLi16ELi16ELi32ELi32ELi8ELi32ELi8ELi8ELi32ELc78ELc67EKPKfS3_KPfEEvlllT_PT11_llS8_llS6_PT12_llPT13_lli
	.p2align	8
	.type	_ZN12_GLOBAL__N_135rocblas_gemm_batched_general_kernelIfLi16ELi16ELi32ELi32ELi8ELi32ELi8ELi8ELi32ELc78ELc67EKPKfS3_KPfEEvlllT_PT11_llS8_llS6_PT12_llPT13_lli,@function
_ZN12_GLOBAL__N_135rocblas_gemm_batched_general_kernelIfLi16ELi16ELi32ELi32ELi8ELi32ELi8ELi8ELi32ELc78ELc67EKPKfS3_KPfEEvlllT_PT11_llS8_llS6_PT12_llPT13_lli: ; @_ZN12_GLOBAL__N_135rocblas_gemm_batched_general_kernelIfLi16ELi16ELi32ELi32ELi8ELi32ELi8ELi8ELi32ELc78ELc67EKPKfS3_KPfEEvlllT_PT11_llS8_llS6_PT12_llPT13_lli
; %bb.0:
	s_clause 0x1
	s_load_dwordx8 s[12:19], s[4:5], 0x58
	s_load_dwordx2 s[34:35], s[4:5], 0x10
	s_mov_b32 s9, 0
	s_load_dwordx4 s[28:31], s[4:5], 0x0
	s_lshl_b64 s[44:45], s[8:9], 3
	s_load_dwordx4 s[8:11], s[4:5], 0x78
	s_mov_b32 s42, s7
	v_mov_b32_e32 v10, 0
	v_mov_b32_e32 v9, 0
	;; [unrolled: 1-line block ×4, first 2 shown]
	s_waitcnt lgkmcnt(0)
	s_add_u32 s0, s12, s44
	s_addc_u32 s1, s13, s45
	s_add_u32 s2, s18, s44
	s_addc_u32 s3, s19, s45
	s_load_dwordx2 s[12:13], s[0:1], 0x0
	s_load_dwordx2 s[2:3], s[2:3], 0x0
	v_cmp_lt_i64_e64 s0, s[34:35], 1
	s_ashr_i32 s7, s6, 31
	s_ashr_i32 s43, s42, 31
	s_lshl_b64 s[18:19], s[6:7], 5
	s_lshl_b64 s[40:41], s[42:43], 5
	s_and_b32 vcc_lo, exec_lo, s0
	s_cbranch_vccnz .LBB201_7
; %bb.1:
	s_clause 0x1
	s_load_dwordx4 s[36:39], s[4:5], 0x40
	s_load_dwordx8 s[20:27], s[4:5], 0x20
	v_lshl_add_u32 v2, v1, 4, v0
	v_and_b32_e32 v6, 7, v0
	v_mov_b32_e32 v3, s19
	v_mov_b32_e32 v7, 0
	v_lshlrev_b32_e32 v11, 2, v0
	v_lshrrev_b32_e32 v13, 5, v2
	v_and_b32_e32 v14, 31, v2
	v_lshrrev_b32_e32 v10, 3, v2
	v_lshlrev_b32_e32 v15, 2, v6
	v_lshl_add_u32 v12, v1, 5, 0x400
	v_or_b32_e32 v2, s18, v14
	v_add_co_u32 v4, s0, v10, s40
	v_add_co_ci_u32_e64 v5, null, 0, s41, s0
	v_cmp_gt_i64_e64 s0, s[28:29], v[2:3]
	v_lshl_or_b32 v15, v10, 5, v15
	s_waitcnt lgkmcnt(0)
	v_mad_u64_u32 v[8:9], null, s36, v6, 0
	v_mad_u64_u32 v[16:17], null, s22, v13, 0
	v_cmp_gt_i64_e64 s1, s[30:31], v[4:5]
	s_add_u32 s26, s26, s44
	s_addc_u32 s27, s27, s45
	s_add_u32 s20, s20, s44
	v_mov_b32_e32 v2, v9
	s_load_dwordx2 s[26:27], s[26:27], 0x0
	v_mov_b32_e32 v3, v17
	s_addc_u32 s21, s21, s45
	s_lshl_b64 s[42:43], s[42:43], 7
	s_load_dwordx2 s[20:21], s[20:21], 0x0
	s_lshl_b64 s[38:39], s[38:39], 2
	v_mad_u64_u32 v[4:5], null, s37, v6, v[2:3]
	s_add_u32 s33, s38, s42
	s_addc_u32 s42, s39, s43
	s_lshl_b64 s[38:39], s[6:7], 7
	s_lshl_b64 s[24:25], s[24:25], 2
	s_lshl_b64 s[6:7], s[36:37], 5
	v_lshlrev_b32_e32 v10, 2, v10
	v_mad_u64_u32 v[2:3], null, s23, v13, v[3:4]
	v_mov_b32_e32 v9, v4
	s_add_u32 s24, s24, s38
	v_lshlrev_b32_e32 v18, 2, v14
	s_addc_u32 s25, s25, s39
	v_add_nc_u32_e32 v15, 0x400, v15
	v_mov_b32_e32 v17, v2
	v_lshlrev_b64 v[2:3], 2, v[8:9]
	v_lshl_or_b32 v14, v13, 7, v18
	v_mov_b32_e32 v8, 0
	v_mov_b32_e32 v9, 0
	v_lshlrev_b64 v[4:5], 2, v[16:17]
	v_add_co_u32 v2, vcc_lo, s33, v2
	v_add_co_ci_u32_e64 v3, null, s42, v3, vcc_lo
	v_add_co_u32 v4, vcc_lo, s24, v4
	v_add_co_ci_u32_e64 v5, null, s25, v5, vcc_lo
	;; [unrolled: 2-line block ×4, first 2 shown]
	s_waitcnt lgkmcnt(0)
	v_add_co_u32 v2, vcc_lo, s26, v2
	v_add_co_ci_u32_e64 v3, null, s27, v3, vcc_lo
	v_add_co_u32 v4, vcc_lo, s20, v4
	v_add_co_ci_u32_e64 v5, null, s21, v5, vcc_lo
	v_mov_b32_e32 v10, 0
	s_lshl_b64 s[20:21], s[22:23], 5
	s_mov_b64 s[22:23], 0
	s_branch .LBB201_3
.LBB201_2:                              ;   in Loop: Header=BB201_3 Depth=1
	s_or_b32 exec_lo, exec_lo, s24
	s_waitcnt vmcnt(0) lgkmcnt(0)
	ds_write_b32 v15, v17
	s_waitcnt lgkmcnt(0)
	s_barrier
	buffer_gl0_inv
	ds_read_b128 v[16:19], v12
	ds_read2_b32 v[32:33], v11 offset1:16
	ds_read_b128 v[20:23], v12 offset:512
	ds_read2_b32 v[34:35], v11 offset0:32 offset1:48
	ds_read2_b32 v[36:37], v11 offset0:64 offset1:80
	ds_read2_b32 v[38:39], v11 offset0:96 offset1:112
	ds_read_b128 v[24:27], v12 offset:16
	ds_read2_b32 v[40:41], v11 offset0:128 offset1:144
	ds_read_b128 v[28:31], v12 offset:528
	ds_read2_b32 v[42:43], v11 offset0:160 offset1:176
	s_add_u32 s22, s22, 8
	s_addc_u32 s23, s23, 0
	v_add_co_u32 v2, vcc_lo, v2, s6
	v_cmp_lt_i64_e64 s24, s[22:23], s[34:35]
	v_add_co_ci_u32_e64 v3, null, s7, v3, vcc_lo
	v_add_co_u32 v4, vcc_lo, v4, s20
	v_add_co_ci_u32_e64 v5, null, s21, v5, vcc_lo
	s_waitcnt lgkmcnt(8)
	v_fmac_f32_e32 v10, v32, v16
	v_fmac_f32_e32 v9, v33, v16
	s_waitcnt lgkmcnt(7)
	v_fmac_f32_e32 v8, v32, v20
	v_fmac_f32_e32 v7, v33, v20
	ds_read2_b32 v[32:33], v11 offset0:192 offset1:208
	s_waitcnt lgkmcnt(7)
	v_fmac_f32_e32 v10, v34, v17
	v_fmac_f32_e32 v9, v35, v17
	;; [unrolled: 1-line block ×4, first 2 shown]
	ds_read2_b32 v[16:17], v11 offset0:224 offset1:240
	s_waitcnt lgkmcnt(7)
	v_fmac_f32_e32 v10, v36, v18
	v_fmac_f32_e32 v9, v37, v18
	;; [unrolled: 1-line block ×4, first 2 shown]
	s_and_b32 vcc_lo, exec_lo, s24
	s_waitcnt lgkmcnt(6)
	v_fmac_f32_e32 v10, v38, v19
	v_fmac_f32_e32 v9, v39, v19
	;; [unrolled: 1-line block ×4, first 2 shown]
	s_waitcnt lgkmcnt(0)
	v_fmac_f32_e32 v10, v40, v24
	v_fmac_f32_e32 v9, v41, v24
	;; [unrolled: 1-line block ×4, first 2 shown]
	s_barrier
	v_fmac_f32_e32 v10, v42, v25
	v_fmac_f32_e32 v9, v43, v25
	;; [unrolled: 1-line block ×4, first 2 shown]
	buffer_gl0_inv
	v_fmac_f32_e32 v10, v32, v26
	v_fmac_f32_e32 v9, v33, v26
	;; [unrolled: 1-line block ×8, first 2 shown]
	s_cbranch_vccz .LBB201_7
.LBB201_3:                              ; =>This Inner Loop Header: Depth=1
	v_add_co_u32 v16, s24, v13, s22
	v_add_co_ci_u32_e64 v17, null, 0, s23, s24
	v_cmp_gt_i64_e32 vcc_lo, s[34:35], v[16:17]
	v_mov_b32_e32 v16, 0
	s_and_b32 s25, s0, vcc_lo
	s_and_saveexec_b32 s24, s25
	s_cbranch_execz .LBB201_5
; %bb.4:                                ;   in Loop: Header=BB201_3 Depth=1
	flat_load_dword v16, v[4:5]
.LBB201_5:                              ;   in Loop: Header=BB201_3 Depth=1
	s_or_b32 exec_lo, exec_lo, s24
	v_add_co_u32 v17, s24, v6, s22
	v_add_co_ci_u32_e64 v18, null, 0, s23, s24
	s_waitcnt vmcnt(0) lgkmcnt(0)
	ds_write_b32 v14, v16
	v_cmp_gt_i64_e32 vcc_lo, s[34:35], v[17:18]
	v_mov_b32_e32 v17, 0
	s_and_b32 s25, vcc_lo, s1
	s_and_saveexec_b32 s24, s25
	s_cbranch_execz .LBB201_2
; %bb.6:                                ;   in Loop: Header=BB201_3 Depth=1
	flat_load_dword v17, v[2:3]
	s_branch .LBB201_2
.LBB201_7:
	s_clause 0x1
	s_load_dword s6, s[4:5], 0x50
	s_load_dword s4, s[4:5], 0x18
	v_add_co_u32 v1, s5, s40, v1
	v_add_co_ci_u32_e64 v2, null, s41, 0, s5
	s_lshl_b64 s[0:1], s[10:11], 2
	s_waitcnt lgkmcnt(0)
	s_add_u32 s5, s2, s0
	v_cmp_gt_i64_e64 s0, s[30:31], v[1:2]
	s_addc_u32 s3, s3, s1
	v_cmp_neq_f32_e64 s7, s6, 0
	s_and_b32 vcc_lo, exec_lo, s7
	s_cbranch_vccnz .LBB201_20
; %bb.8:
	s_and_saveexec_b32 s7, s0
	s_cbranch_execz .LBB201_18
; %bb.9:
	v_mul_lo_u32 v5, v2, s8
	v_mul_lo_u32 v6, v1, s9
	v_mad_u64_u32 v[3:4], null, v1, s8, 0
	v_add3_u32 v4, v4, v6, v5
	v_add_co_u32 v5, s1, s18, v0
	v_add_co_ci_u32_e64 v6, null, s19, 0, s1
	v_lshlrev_b64 v[11:12], 2, v[3:4]
	v_cmp_gt_i64_e32 vcc_lo, s[28:29], v[5:6]
	v_lshlrev_b64 v[3:4], 2, v[5:6]
	v_add_co_u32 v11, s1, s5, v11
	v_add_co_ci_u32_e64 v12, null, s3, v12, s1
	s_and_saveexec_b32 s2, vcc_lo
	s_cbranch_execz .LBB201_11
; %bb.10:
	v_add_co_u32 v13, s1, v11, v3
	v_add_co_ci_u32_e64 v14, null, v12, v4, s1
	v_mul_f32_e32 v15, s4, v10
	flat_store_dword v[13:14], v15
.LBB201_11:
	s_or_b32 exec_lo, exec_lo, s2
	v_add_co_u32 v5, s1, v5, 16
	v_add_co_ci_u32_e64 v6, null, 0, v6, s1
	v_cmp_gt_i64_e64 s1, s[28:29], v[5:6]
	s_and_saveexec_b32 s10, s1
	s_cbranch_execz .LBB201_13
; %bb.12:
	v_add_co_u32 v5, s2, v11, v3
	v_add_co_ci_u32_e64 v6, null, v12, v4, s2
	v_mul_f32_e32 v13, s4, v9
	flat_store_dword v[5:6], v13 offset:64
.LBB201_13:
	s_or_b32 exec_lo, exec_lo, s10
	v_add_co_u32 v5, s2, v1, 16
	v_add_co_ci_u32_e64 v6, null, 0, v2, s2
	v_cmp_gt_i64_e64 s2, s[30:31], v[5:6]
	s_and_b32 exec_lo, exec_lo, s2
	s_cbranch_execz .LBB201_18
; %bb.14:
	s_lshl_b64 s[10:11], s[8:9], 6
	v_add_co_u32 v5, s2, v11, s10
	v_add_co_ci_u32_e64 v6, null, s11, v12, s2
	v_add_co_u32 v3, s2, v5, v3
	v_add_co_ci_u32_e64 v4, null, v6, v4, s2
	s_and_saveexec_b32 s2, vcc_lo
	s_cbranch_execz .LBB201_16
; %bb.15:
	v_mul_f32_e32 v5, s4, v8
	flat_store_dword v[3:4], v5
.LBB201_16:
	s_or_b32 exec_lo, exec_lo, s2
	s_and_b32 exec_lo, exec_lo, s1
	s_cbranch_execz .LBB201_18
; %bb.17:
	v_mul_f32_e32 v5, s4, v7
	flat_store_dword v[3:4], v5 offset:64
.LBB201_18:
	s_or_b32 exec_lo, exec_lo, s7
	s_cbranch_execz .LBB201_21
.LBB201_19:
	s_endpgm
.LBB201_20:
.LBB201_21:
	s_and_saveexec_b32 s1, s0
	s_cbranch_execz .LBB201_19
; %bb.22:
	v_mul_lo_u32 v5, v2, s14
	v_mul_lo_u32 v6, v1, s15
	v_mad_u64_u32 v[3:4], null, v1, s14, 0
	v_mul_lo_u32 v13, v2, s8
	v_mul_lo_u32 v14, v1, s9
	v_mad_u64_u32 v[11:12], null, v1, s8, 0
	s_lshl_b64 s[0:1], s[16:17], 2
	v_add3_u32 v4, v4, v6, v5
	v_add_co_u32 v5, s2, s18, v0
	v_add_co_ci_u32_e64 v6, null, s19, 0, s2
	v_add3_u32 v12, v12, v14, v13
	v_lshlrev_b64 v[3:4], 2, v[3:4]
	s_add_u32 s0, s12, s0
	s_addc_u32 s1, s13, s1
	v_cmp_gt_i64_e32 vcc_lo, s[28:29], v[5:6]
	v_lshlrev_b64 v[12:13], 2, v[11:12]
	v_add_co_u32 v0, s0, s0, v3
	v_add_co_ci_u32_e64 v11, null, s1, v4, s0
	v_add_co_u32 v12, s0, s5, v12
	v_lshlrev_b64 v[3:4], 2, v[5:6]
	v_add_co_ci_u32_e64 v13, null, s3, v13, s0
	s_and_saveexec_b32 s1, vcc_lo
	s_cbranch_execz .LBB201_24
; %bb.23:
	v_add_co_u32 v14, s0, v0, v3
	v_add_co_ci_u32_e64 v15, null, v11, v4, s0
	flat_load_dword v14, v[14:15]
	s_waitcnt vmcnt(0) lgkmcnt(0)
	v_mul_f32_e32 v16, s6, v14
	v_add_co_u32 v14, s0, v12, v3
	v_add_co_ci_u32_e64 v15, null, v13, v4, s0
	v_fmac_f32_e32 v16, s4, v10
	flat_store_dword v[14:15], v16
.LBB201_24:
	s_or_b32 exec_lo, exec_lo, s1
	v_add_co_u32 v5, s0, v5, 16
	v_add_co_ci_u32_e64 v6, null, 0, v6, s0
	v_cmp_gt_i64_e64 s0, s[28:29], v[5:6]
	s_and_saveexec_b32 s2, s0
	s_cbranch_execz .LBB201_26
; %bb.25:
	v_add_co_u32 v5, s1, v0, v3
	v_add_co_ci_u32_e64 v6, null, v11, v4, s1
	flat_load_dword v5, v[5:6] offset:64
	s_waitcnt vmcnt(0) lgkmcnt(0)
	v_mul_f32_e32 v10, s6, v5
	v_add_co_u32 v5, s1, v12, v3
	v_add_co_ci_u32_e64 v6, null, v13, v4, s1
	v_fmac_f32_e32 v10, s4, v9
	flat_store_dword v[5:6], v10 offset:64
.LBB201_26:
	s_or_b32 exec_lo, exec_lo, s2
	v_add_co_u32 v1, s1, v1, 16
	v_add_co_ci_u32_e64 v2, null, 0, v2, s1
	v_cmp_gt_i64_e64 s1, s[30:31], v[1:2]
	s_and_b32 exec_lo, exec_lo, s1
	s_cbranch_execz .LBB201_19
; %bb.27:
	s_lshl_b64 s[2:3], s[14:15], 6
	v_add_co_u32 v0, s1, v0, s2
	v_add_co_ci_u32_e64 v1, null, s3, v11, s1
	s_lshl_b64 s[2:3], s[8:9], 6
	v_add_co_u32 v2, s1, v12, s2
	v_add_co_ci_u32_e64 v5, null, s3, v13, s1
	v_add_co_u32 v0, s1, v0, v3
	v_add_co_ci_u32_e64 v1, null, v1, v4, s1
	;; [unrolled: 2-line block ×3, first 2 shown]
	s_and_saveexec_b32 s1, vcc_lo
	s_cbranch_execz .LBB201_29
; %bb.28:
	flat_load_dword v4, v[0:1]
	s_waitcnt vmcnt(0) lgkmcnt(0)
	v_mul_f32_e32 v4, s6, v4
	v_fmac_f32_e32 v4, s4, v8
	flat_store_dword v[2:3], v4
.LBB201_29:
	s_or_b32 exec_lo, exec_lo, s1
	s_and_b32 exec_lo, exec_lo, s0
	s_cbranch_execz .LBB201_19
; %bb.30:
	flat_load_dword v0, v[0:1] offset:64
	s_waitcnt vmcnt(0) lgkmcnt(0)
	v_mul_f32_e32 v0, s6, v0
	v_fmac_f32_e32 v0, s4, v7
	flat_store_dword v[2:3], v0 offset:64
	s_endpgm
	.section	.rodata,"a",@progbits
	.p2align	6, 0x0
	.amdhsa_kernel _ZN12_GLOBAL__N_135rocblas_gemm_batched_general_kernelIfLi16ELi16ELi32ELi32ELi8ELi32ELi8ELi8ELi32ELc78ELc67EKPKfS3_KPfEEvlllT_PT11_llS8_llS6_PT12_llPT13_lli
		.amdhsa_group_segment_fixed_size 2048
		.amdhsa_private_segment_fixed_size 0
		.amdhsa_kernarg_size 140
		.amdhsa_user_sgpr_count 6
		.amdhsa_user_sgpr_private_segment_buffer 1
		.amdhsa_user_sgpr_dispatch_ptr 0
		.amdhsa_user_sgpr_queue_ptr 0
		.amdhsa_user_sgpr_kernarg_segment_ptr 1
		.amdhsa_user_sgpr_dispatch_id 0
		.amdhsa_user_sgpr_flat_scratch_init 0
		.amdhsa_user_sgpr_private_segment_size 0
		.amdhsa_wavefront_size32 1
		.amdhsa_uses_dynamic_stack 0
		.amdhsa_system_sgpr_private_segment_wavefront_offset 0
		.amdhsa_system_sgpr_workgroup_id_x 1
		.amdhsa_system_sgpr_workgroup_id_y 1
		.amdhsa_system_sgpr_workgroup_id_z 1
		.amdhsa_system_sgpr_workgroup_info 0
		.amdhsa_system_vgpr_workitem_id 1
		.amdhsa_next_free_vgpr 44
		.amdhsa_next_free_sgpr 46
		.amdhsa_reserve_vcc 1
		.amdhsa_reserve_flat_scratch 0
		.amdhsa_float_round_mode_32 0
		.amdhsa_float_round_mode_16_64 0
		.amdhsa_float_denorm_mode_32 3
		.amdhsa_float_denorm_mode_16_64 3
		.amdhsa_dx10_clamp 1
		.amdhsa_ieee_mode 1
		.amdhsa_fp16_overflow 0
		.amdhsa_workgroup_processor_mode 1
		.amdhsa_memory_ordered 1
		.amdhsa_forward_progress 1
		.amdhsa_shared_vgpr_count 0
		.amdhsa_exception_fp_ieee_invalid_op 0
		.amdhsa_exception_fp_denorm_src 0
		.amdhsa_exception_fp_ieee_div_zero 0
		.amdhsa_exception_fp_ieee_overflow 0
		.amdhsa_exception_fp_ieee_underflow 0
		.amdhsa_exception_fp_ieee_inexact 0
		.amdhsa_exception_int_div_zero 0
	.end_amdhsa_kernel
	.section	.text._ZN12_GLOBAL__N_135rocblas_gemm_batched_general_kernelIfLi16ELi16ELi32ELi32ELi8ELi32ELi8ELi8ELi32ELc78ELc67EKPKfS3_KPfEEvlllT_PT11_llS8_llS6_PT12_llPT13_lli,"axG",@progbits,_ZN12_GLOBAL__N_135rocblas_gemm_batched_general_kernelIfLi16ELi16ELi32ELi32ELi8ELi32ELi8ELi8ELi32ELc78ELc67EKPKfS3_KPfEEvlllT_PT11_llS8_llS6_PT12_llPT13_lli,comdat
.Lfunc_end201:
	.size	_ZN12_GLOBAL__N_135rocblas_gemm_batched_general_kernelIfLi16ELi16ELi32ELi32ELi8ELi32ELi8ELi8ELi32ELc78ELc67EKPKfS3_KPfEEvlllT_PT11_llS8_llS6_PT12_llPT13_lli, .Lfunc_end201-_ZN12_GLOBAL__N_135rocblas_gemm_batched_general_kernelIfLi16ELi16ELi32ELi32ELi8ELi32ELi8ELi8ELi32ELc78ELc67EKPKfS3_KPfEEvlllT_PT11_llS8_llS6_PT12_llPT13_lli
                                        ; -- End function
	.set _ZN12_GLOBAL__N_135rocblas_gemm_batched_general_kernelIfLi16ELi16ELi32ELi32ELi8ELi32ELi8ELi8ELi32ELc78ELc67EKPKfS3_KPfEEvlllT_PT11_llS8_llS6_PT12_llPT13_lli.num_vgpr, 44
	.set _ZN12_GLOBAL__N_135rocblas_gemm_batched_general_kernelIfLi16ELi16ELi32ELi32ELi8ELi32ELi8ELi8ELi32ELc78ELc67EKPKfS3_KPfEEvlllT_PT11_llS8_llS6_PT12_llPT13_lli.num_agpr, 0
	.set _ZN12_GLOBAL__N_135rocblas_gemm_batched_general_kernelIfLi16ELi16ELi32ELi32ELi8ELi32ELi8ELi8ELi32ELc78ELc67EKPKfS3_KPfEEvlllT_PT11_llS8_llS6_PT12_llPT13_lli.numbered_sgpr, 46
	.set _ZN12_GLOBAL__N_135rocblas_gemm_batched_general_kernelIfLi16ELi16ELi32ELi32ELi8ELi32ELi8ELi8ELi32ELc78ELc67EKPKfS3_KPfEEvlllT_PT11_llS8_llS6_PT12_llPT13_lli.num_named_barrier, 0
	.set _ZN12_GLOBAL__N_135rocblas_gemm_batched_general_kernelIfLi16ELi16ELi32ELi32ELi8ELi32ELi8ELi8ELi32ELc78ELc67EKPKfS3_KPfEEvlllT_PT11_llS8_llS6_PT12_llPT13_lli.private_seg_size, 0
	.set _ZN12_GLOBAL__N_135rocblas_gemm_batched_general_kernelIfLi16ELi16ELi32ELi32ELi8ELi32ELi8ELi8ELi32ELc78ELc67EKPKfS3_KPfEEvlllT_PT11_llS8_llS6_PT12_llPT13_lli.uses_vcc, 1
	.set _ZN12_GLOBAL__N_135rocblas_gemm_batched_general_kernelIfLi16ELi16ELi32ELi32ELi8ELi32ELi8ELi8ELi32ELc78ELc67EKPKfS3_KPfEEvlllT_PT11_llS8_llS6_PT12_llPT13_lli.uses_flat_scratch, 0
	.set _ZN12_GLOBAL__N_135rocblas_gemm_batched_general_kernelIfLi16ELi16ELi32ELi32ELi8ELi32ELi8ELi8ELi32ELc78ELc67EKPKfS3_KPfEEvlllT_PT11_llS8_llS6_PT12_llPT13_lli.has_dyn_sized_stack, 0
	.set _ZN12_GLOBAL__N_135rocblas_gemm_batched_general_kernelIfLi16ELi16ELi32ELi32ELi8ELi32ELi8ELi8ELi32ELc78ELc67EKPKfS3_KPfEEvlllT_PT11_llS8_llS6_PT12_llPT13_lli.has_recursion, 0
	.set _ZN12_GLOBAL__N_135rocblas_gemm_batched_general_kernelIfLi16ELi16ELi32ELi32ELi8ELi32ELi8ELi8ELi32ELc78ELc67EKPKfS3_KPfEEvlllT_PT11_llS8_llS6_PT12_llPT13_lli.has_indirect_call, 0
	.section	.AMDGPU.csdata,"",@progbits
; Kernel info:
; codeLenInByte = 1896
; TotalNumSgprs: 48
; NumVgprs: 44
; ScratchSize: 0
; MemoryBound: 0
; FloatMode: 240
; IeeeMode: 1
; LDSByteSize: 2048 bytes/workgroup (compile time only)
; SGPRBlocks: 0
; VGPRBlocks: 5
; NumSGPRsForWavesPerEU: 48
; NumVGPRsForWavesPerEU: 44
; Occupancy: 16
; WaveLimiterHint : 1
; COMPUTE_PGM_RSRC2:SCRATCH_EN: 0
; COMPUTE_PGM_RSRC2:USER_SGPR: 6
; COMPUTE_PGM_RSRC2:TRAP_HANDLER: 0
; COMPUTE_PGM_RSRC2:TGID_X_EN: 1
; COMPUTE_PGM_RSRC2:TGID_Y_EN: 1
; COMPUTE_PGM_RSRC2:TGID_Z_EN: 1
; COMPUTE_PGM_RSRC2:TIDIG_COMP_CNT: 1
	.section	.text._ZN12_GLOBAL__N_135rocblas_gemm_batched_general_kernelIfLi16ELi16ELi32ELi32ELi8ELi32ELi8ELi8ELi32ELc84ELc67EKPKfS3_KPfEEvlllT_PT11_llS8_llS6_PT12_llPT13_lli,"axG",@progbits,_ZN12_GLOBAL__N_135rocblas_gemm_batched_general_kernelIfLi16ELi16ELi32ELi32ELi8ELi32ELi8ELi8ELi32ELc84ELc67EKPKfS3_KPfEEvlllT_PT11_llS8_llS6_PT12_llPT13_lli,comdat
	.globl	_ZN12_GLOBAL__N_135rocblas_gemm_batched_general_kernelIfLi16ELi16ELi32ELi32ELi8ELi32ELi8ELi8ELi32ELc84ELc67EKPKfS3_KPfEEvlllT_PT11_llS8_llS6_PT12_llPT13_lli ; -- Begin function _ZN12_GLOBAL__N_135rocblas_gemm_batched_general_kernelIfLi16ELi16ELi32ELi32ELi8ELi32ELi8ELi8ELi32ELc84ELc67EKPKfS3_KPfEEvlllT_PT11_llS8_llS6_PT12_llPT13_lli
	.p2align	8
	.type	_ZN12_GLOBAL__N_135rocblas_gemm_batched_general_kernelIfLi16ELi16ELi32ELi32ELi8ELi32ELi8ELi8ELi32ELc84ELc67EKPKfS3_KPfEEvlllT_PT11_llS8_llS6_PT12_llPT13_lli,@function
_ZN12_GLOBAL__N_135rocblas_gemm_batched_general_kernelIfLi16ELi16ELi32ELi32ELi8ELi32ELi8ELi8ELi32ELc84ELc67EKPKfS3_KPfEEvlllT_PT11_llS8_llS6_PT12_llPT13_lli: ; @_ZN12_GLOBAL__N_135rocblas_gemm_batched_general_kernelIfLi16ELi16ELi32ELi32ELi8ELi32ELi8ELi8ELi32ELc84ELc67EKPKfS3_KPfEEvlllT_PT11_llS8_llS6_PT12_llPT13_lli
; %bb.0:
	s_clause 0x1
	s_load_dwordx8 s[12:19], s[4:5], 0x58
	s_load_dwordx2 s[34:35], s[4:5], 0x10
	s_mov_b32 s9, 0
	s_load_dwordx4 s[28:31], s[4:5], 0x0
	s_lshl_b64 s[42:43], s[8:9], 3
	s_load_dwordx4 s[8:11], s[4:5], 0x78
	s_mov_b32 s40, s7
	v_mov_b32_e32 v10, 0
	v_mov_b32_e32 v9, 0
	v_mov_b32_e32 v8, 0
	v_mov_b32_e32 v7, 0
	s_waitcnt lgkmcnt(0)
	s_add_u32 s0, s12, s42
	s_addc_u32 s1, s13, s43
	s_add_u32 s2, s18, s42
	s_addc_u32 s3, s19, s43
	s_load_dwordx2 s[12:13], s[0:1], 0x0
	s_load_dwordx2 s[2:3], s[2:3], 0x0
	v_cmp_lt_i64_e64 s0, s[34:35], 1
	s_ashr_i32 s7, s6, 31
	s_ashr_i32 s41, s40, 31
	s_lshl_b64 s[6:7], s[6:7], 5
	s_lshl_b64 s[18:19], s[40:41], 5
	s_and_b32 vcc_lo, exec_lo, s0
	s_cbranch_vccnz .LBB202_7
; %bb.1:
	s_clause 0x1
	s_load_dwordx4 s[36:39], s[4:5], 0x40
	s_load_dwordx8 s[20:27], s[4:5], 0x20
	v_lshl_add_u32 v2, v1, 4, v0
	v_and_b32_e32 v6, 7, v0
	v_mov_b32_e32 v3, s7
	v_mov_b32_e32 v7, 0
	v_lshlrev_b32_e32 v11, 2, v0
	v_and_b32_e32 v14, 31, v2
	v_lshrrev_b32_e32 v10, 3, v2
	v_lshrrev_b32_e32 v13, 5, v2
	v_lshlrev_b32_e32 v15, 2, v6
	v_lshl_add_u32 v12, v1, 5, 0x400
	v_or_b32_e32 v2, s6, v14
	v_add_co_u32 v4, s0, v10, s18
	v_add_co_ci_u32_e64 v5, null, 0, s19, s0
	v_add_co_u32 v17, s0, s6, v14
	v_add_co_ci_u32_e64 v18, null, s7, 0, s0
	s_waitcnt lgkmcnt(0)
	v_mad_u64_u32 v[8:9], null, s36, v6, 0
	v_cmp_gt_i64_e64 s0, s[28:29], v[2:3]
	v_lshlrev_b32_e32 v16, 2, v14
	v_cmp_gt_i64_e64 s1, s[30:31], v[4:5]
	v_mul_lo_u32 v5, s23, v17
	s_add_u32 s26, s26, s42
	s_addc_u32 s27, s27, s43
	v_mov_b32_e32 v2, v9
	v_lshl_or_b32 v14, v13, 7, v16
	v_mul_lo_u32 v16, s22, v18
	s_add_u32 s20, s20, s42
	s_addc_u32 s21, s21, s43
	v_mad_u64_u32 v[2:3], null, s37, v6, v[2:3]
	v_mad_u64_u32 v[3:4], null, s22, v17, 0
	s_load_dwordx2 s[22:23], s[26:27], 0x0
	s_load_dwordx2 s[20:21], s[20:21], 0x0
	s_lshl_b64 s[26:27], s[40:41], 7
	s_lshl_b64 s[38:39], s[38:39], 2
	v_mov_b32_e32 v9, v2
	s_add_u32 s26, s38, s26
	v_add3_u32 v4, v4, v16, v5
	s_addc_u32 s27, s39, s27
	s_lshl_b64 s[24:25], s[24:25], 2
	v_lshlrev_b64 v[8:9], 2, v[8:9]
	v_lshl_or_b32 v15, v10, 5, v15
	v_lshlrev_b64 v[2:3], 2, v[3:4]
	v_add_nc_u32_e32 v15, 0x400, v15
	v_add_co_u32 v4, vcc_lo, s26, v8
	v_lshlrev_b32_e32 v8, 2, v10
	v_add_co_ci_u32_e64 v5, null, s27, v9, vcc_lo
	v_add_co_u32 v2, vcc_lo, v2, s24
	v_lshlrev_b32_e32 v9, 2, v13
	v_add_co_ci_u32_e64 v3, null, s25, v3, vcc_lo
	v_add_co_u32 v4, vcc_lo, v4, v8
	v_add_co_ci_u32_e64 v5, null, 0, v5, vcc_lo
	v_add_co_u32 v8, vcc_lo, v2, v9
	v_add_co_ci_u32_e64 v9, null, 0, v3, vcc_lo
	s_waitcnt lgkmcnt(0)
	v_add_co_u32 v2, vcc_lo, s22, v4
	v_add_co_ci_u32_e64 v3, null, s23, v5, vcc_lo
	v_add_co_u32 v4, vcc_lo, s20, v8
	v_add_co_ci_u32_e64 v5, null, s21, v9, vcc_lo
	v_mov_b32_e32 v8, 0
	v_mov_b32_e32 v9, 0
	;; [unrolled: 1-line block ×3, first 2 shown]
	s_lshl_b64 s[20:21], s[36:37], 5
	s_mov_b64 s[22:23], 0
	s_branch .LBB202_3
.LBB202_2:                              ;   in Loop: Header=BB202_3 Depth=1
	s_or_b32 exec_lo, exec_lo, s24
	s_waitcnt vmcnt(0) lgkmcnt(0)
	ds_write_b32 v15, v17
	s_waitcnt lgkmcnt(0)
	s_barrier
	buffer_gl0_inv
	ds_read_b128 v[16:19], v12
	ds_read2_b32 v[32:33], v11 offset1:16
	ds_read_b128 v[20:23], v12 offset:512
	ds_read2_b32 v[34:35], v11 offset0:32 offset1:48
	ds_read2_b32 v[36:37], v11 offset0:64 offset1:80
	ds_read2_b32 v[38:39], v11 offset0:96 offset1:112
	ds_read_b128 v[24:27], v12 offset:16
	ds_read2_b32 v[40:41], v11 offset0:128 offset1:144
	ds_read_b128 v[28:31], v12 offset:528
	ds_read2_b32 v[42:43], v11 offset0:160 offset1:176
	s_add_u32 s22, s22, 8
	s_addc_u32 s23, s23, 0
	v_add_co_u32 v2, vcc_lo, v2, s20
	v_cmp_lt_i64_e64 s24, s[22:23], s[34:35]
	v_add_co_ci_u32_e64 v3, null, s21, v3, vcc_lo
	v_add_co_u32 v4, vcc_lo, v4, 32
	v_add_co_ci_u32_e64 v5, null, 0, v5, vcc_lo
	s_waitcnt lgkmcnt(8)
	v_fmac_f32_e32 v10, v32, v16
	v_fmac_f32_e32 v9, v33, v16
	s_waitcnt lgkmcnt(7)
	v_fmac_f32_e32 v8, v32, v20
	v_fmac_f32_e32 v7, v33, v20
	ds_read2_b32 v[32:33], v11 offset0:192 offset1:208
	s_waitcnt lgkmcnt(7)
	v_fmac_f32_e32 v10, v34, v17
	v_fmac_f32_e32 v9, v35, v17
	;; [unrolled: 1-line block ×4, first 2 shown]
	ds_read2_b32 v[16:17], v11 offset0:224 offset1:240
	s_waitcnt lgkmcnt(7)
	v_fmac_f32_e32 v10, v36, v18
	v_fmac_f32_e32 v9, v37, v18
	;; [unrolled: 1-line block ×4, first 2 shown]
	s_and_b32 vcc_lo, exec_lo, s24
	s_waitcnt lgkmcnt(6)
	v_fmac_f32_e32 v10, v38, v19
	v_fmac_f32_e32 v9, v39, v19
	;; [unrolled: 1-line block ×4, first 2 shown]
	s_waitcnt lgkmcnt(0)
	v_fmac_f32_e32 v10, v40, v24
	v_fmac_f32_e32 v9, v41, v24
	;; [unrolled: 1-line block ×4, first 2 shown]
	s_barrier
	v_fmac_f32_e32 v10, v42, v25
	v_fmac_f32_e32 v9, v43, v25
	;; [unrolled: 1-line block ×4, first 2 shown]
	buffer_gl0_inv
	v_fmac_f32_e32 v10, v32, v26
	v_fmac_f32_e32 v9, v33, v26
	;; [unrolled: 1-line block ×8, first 2 shown]
	s_cbranch_vccz .LBB202_7
.LBB202_3:                              ; =>This Inner Loop Header: Depth=1
	v_add_co_u32 v16, s24, v13, s22
	v_add_co_ci_u32_e64 v17, null, 0, s23, s24
	v_cmp_gt_i64_e32 vcc_lo, s[34:35], v[16:17]
	v_mov_b32_e32 v16, 0
	s_and_b32 s25, s0, vcc_lo
	s_and_saveexec_b32 s24, s25
	s_cbranch_execz .LBB202_5
; %bb.4:                                ;   in Loop: Header=BB202_3 Depth=1
	flat_load_dword v16, v[4:5]
.LBB202_5:                              ;   in Loop: Header=BB202_3 Depth=1
	s_or_b32 exec_lo, exec_lo, s24
	v_add_co_u32 v17, s24, v6, s22
	v_add_co_ci_u32_e64 v18, null, 0, s23, s24
	s_waitcnt vmcnt(0) lgkmcnt(0)
	ds_write_b32 v14, v16
	v_cmp_gt_i64_e32 vcc_lo, s[34:35], v[17:18]
	v_mov_b32_e32 v17, 0
	s_and_b32 s25, vcc_lo, s1
	s_and_saveexec_b32 s24, s25
	s_cbranch_execz .LBB202_2
; %bb.6:                                ;   in Loop: Header=BB202_3 Depth=1
	flat_load_dword v17, v[2:3]
	s_branch .LBB202_2
.LBB202_7:
	s_clause 0x1
	s_load_dword s20, s[4:5], 0x50
	s_load_dword s4, s[4:5], 0x18
	v_add_co_u32 v1, s5, s18, v1
	v_add_co_ci_u32_e64 v2, null, s19, 0, s5
	s_lshl_b64 s[0:1], s[10:11], 2
	s_waitcnt lgkmcnt(0)
	s_add_u32 s5, s2, s0
	v_cmp_gt_i64_e64 s0, s[30:31], v[1:2]
	s_addc_u32 s3, s3, s1
	v_cmp_neq_f32_e64 s10, s20, 0
	s_and_b32 vcc_lo, exec_lo, s10
	s_cbranch_vccnz .LBB202_20
; %bb.8:
	s_and_saveexec_b32 s10, s0
	s_cbranch_execz .LBB202_18
; %bb.9:
	v_mul_lo_u32 v5, v2, s8
	v_mul_lo_u32 v6, v1, s9
	v_mad_u64_u32 v[3:4], null, v1, s8, 0
	v_add3_u32 v4, v4, v6, v5
	v_add_co_u32 v5, s1, s6, v0
	v_add_co_ci_u32_e64 v6, null, s7, 0, s1
	v_lshlrev_b64 v[11:12], 2, v[3:4]
	v_cmp_gt_i64_e32 vcc_lo, s[28:29], v[5:6]
	v_lshlrev_b64 v[3:4], 2, v[5:6]
	v_add_co_u32 v11, s1, s5, v11
	v_add_co_ci_u32_e64 v12, null, s3, v12, s1
	s_and_saveexec_b32 s2, vcc_lo
	s_cbranch_execz .LBB202_11
; %bb.10:
	v_add_co_u32 v13, s1, v11, v3
	v_add_co_ci_u32_e64 v14, null, v12, v4, s1
	v_mul_f32_e32 v15, s4, v10
	flat_store_dword v[13:14], v15
.LBB202_11:
	s_or_b32 exec_lo, exec_lo, s2
	v_add_co_u32 v5, s1, v5, 16
	v_add_co_ci_u32_e64 v6, null, 0, v6, s1
	v_cmp_gt_i64_e64 s1, s[28:29], v[5:6]
	s_and_saveexec_b32 s11, s1
	s_cbranch_execz .LBB202_13
; %bb.12:
	v_add_co_u32 v5, s2, v11, v3
	v_add_co_ci_u32_e64 v6, null, v12, v4, s2
	v_mul_f32_e32 v13, s4, v9
	flat_store_dword v[5:6], v13 offset:64
.LBB202_13:
	s_or_b32 exec_lo, exec_lo, s11
	v_add_co_u32 v5, s2, v1, 16
	v_add_co_ci_u32_e64 v6, null, 0, v2, s2
	v_cmp_gt_i64_e64 s2, s[30:31], v[5:6]
	s_and_b32 exec_lo, exec_lo, s2
	s_cbranch_execz .LBB202_18
; %bb.14:
	s_lshl_b64 s[18:19], s[8:9], 6
	v_add_co_u32 v5, s2, v11, s18
	v_add_co_ci_u32_e64 v6, null, s19, v12, s2
	v_add_co_u32 v3, s2, v5, v3
	v_add_co_ci_u32_e64 v4, null, v6, v4, s2
	s_and_saveexec_b32 s2, vcc_lo
	s_cbranch_execz .LBB202_16
; %bb.15:
	v_mul_f32_e32 v5, s4, v8
	flat_store_dword v[3:4], v5
.LBB202_16:
	s_or_b32 exec_lo, exec_lo, s2
	s_and_b32 exec_lo, exec_lo, s1
	s_cbranch_execz .LBB202_18
; %bb.17:
	v_mul_f32_e32 v5, s4, v7
	flat_store_dword v[3:4], v5 offset:64
.LBB202_18:
	s_or_b32 exec_lo, exec_lo, s10
	s_cbranch_execz .LBB202_21
.LBB202_19:
	s_endpgm
.LBB202_20:
.LBB202_21:
	s_and_saveexec_b32 s1, s0
	s_cbranch_execz .LBB202_19
; %bb.22:
	v_mul_lo_u32 v5, v2, s14
	v_mul_lo_u32 v6, v1, s15
	v_mad_u64_u32 v[3:4], null, v1, s14, 0
	v_mul_lo_u32 v13, v2, s8
	v_mul_lo_u32 v14, v1, s9
	v_mad_u64_u32 v[11:12], null, v1, s8, 0
	s_lshl_b64 s[0:1], s[16:17], 2
	v_add3_u32 v4, v4, v6, v5
	v_add_co_u32 v5, s2, s6, v0
	v_add_co_ci_u32_e64 v6, null, s7, 0, s2
	v_add3_u32 v12, v12, v14, v13
	v_lshlrev_b64 v[3:4], 2, v[3:4]
	s_add_u32 s0, s12, s0
	s_addc_u32 s1, s13, s1
	v_cmp_gt_i64_e32 vcc_lo, s[28:29], v[5:6]
	v_lshlrev_b64 v[12:13], 2, v[11:12]
	v_add_co_u32 v0, s0, s0, v3
	v_add_co_ci_u32_e64 v11, null, s1, v4, s0
	v_add_co_u32 v12, s0, s5, v12
	v_lshlrev_b64 v[3:4], 2, v[5:6]
	v_add_co_ci_u32_e64 v13, null, s3, v13, s0
	s_and_saveexec_b32 s1, vcc_lo
	s_cbranch_execz .LBB202_24
; %bb.23:
	v_add_co_u32 v14, s0, v0, v3
	v_add_co_ci_u32_e64 v15, null, v11, v4, s0
	flat_load_dword v14, v[14:15]
	s_waitcnt vmcnt(0) lgkmcnt(0)
	v_mul_f32_e32 v16, s20, v14
	v_add_co_u32 v14, s0, v12, v3
	v_add_co_ci_u32_e64 v15, null, v13, v4, s0
	v_fmac_f32_e32 v16, s4, v10
	flat_store_dword v[14:15], v16
.LBB202_24:
	s_or_b32 exec_lo, exec_lo, s1
	v_add_co_u32 v5, s0, v5, 16
	v_add_co_ci_u32_e64 v6, null, 0, v6, s0
	v_cmp_gt_i64_e64 s0, s[28:29], v[5:6]
	s_and_saveexec_b32 s2, s0
	s_cbranch_execz .LBB202_26
; %bb.25:
	v_add_co_u32 v5, s1, v0, v3
	v_add_co_ci_u32_e64 v6, null, v11, v4, s1
	flat_load_dword v5, v[5:6] offset:64
	s_waitcnt vmcnt(0) lgkmcnt(0)
	v_mul_f32_e32 v10, s20, v5
	v_add_co_u32 v5, s1, v12, v3
	v_add_co_ci_u32_e64 v6, null, v13, v4, s1
	v_fmac_f32_e32 v10, s4, v9
	flat_store_dword v[5:6], v10 offset:64
.LBB202_26:
	s_or_b32 exec_lo, exec_lo, s2
	v_add_co_u32 v1, s1, v1, 16
	v_add_co_ci_u32_e64 v2, null, 0, v2, s1
	v_cmp_gt_i64_e64 s1, s[30:31], v[1:2]
	s_and_b32 exec_lo, exec_lo, s1
	s_cbranch_execz .LBB202_19
; %bb.27:
	s_lshl_b64 s[2:3], s[14:15], 6
	v_add_co_u32 v0, s1, v0, s2
	v_add_co_ci_u32_e64 v1, null, s3, v11, s1
	s_lshl_b64 s[2:3], s[8:9], 6
	v_add_co_u32 v2, s1, v12, s2
	v_add_co_ci_u32_e64 v5, null, s3, v13, s1
	v_add_co_u32 v0, s1, v0, v3
	v_add_co_ci_u32_e64 v1, null, v1, v4, s1
	;; [unrolled: 2-line block ×3, first 2 shown]
	s_and_saveexec_b32 s1, vcc_lo
	s_cbranch_execz .LBB202_29
; %bb.28:
	flat_load_dword v4, v[0:1]
	s_waitcnt vmcnt(0) lgkmcnt(0)
	v_mul_f32_e32 v4, s20, v4
	v_fmac_f32_e32 v4, s4, v8
	flat_store_dword v[2:3], v4
.LBB202_29:
	s_or_b32 exec_lo, exec_lo, s1
	s_and_b32 exec_lo, exec_lo, s0
	s_cbranch_execz .LBB202_19
; %bb.30:
	flat_load_dword v0, v[0:1] offset:64
	s_waitcnt vmcnt(0) lgkmcnt(0)
	v_mul_f32_e32 v0, s20, v0
	v_fmac_f32_e32 v0, s4, v7
	flat_store_dword v[2:3], v0 offset:64
	s_endpgm
	.section	.rodata,"a",@progbits
	.p2align	6, 0x0
	.amdhsa_kernel _ZN12_GLOBAL__N_135rocblas_gemm_batched_general_kernelIfLi16ELi16ELi32ELi32ELi8ELi32ELi8ELi8ELi32ELc84ELc67EKPKfS3_KPfEEvlllT_PT11_llS8_llS6_PT12_llPT13_lli
		.amdhsa_group_segment_fixed_size 2048
		.amdhsa_private_segment_fixed_size 0
		.amdhsa_kernarg_size 140
		.amdhsa_user_sgpr_count 6
		.amdhsa_user_sgpr_private_segment_buffer 1
		.amdhsa_user_sgpr_dispatch_ptr 0
		.amdhsa_user_sgpr_queue_ptr 0
		.amdhsa_user_sgpr_kernarg_segment_ptr 1
		.amdhsa_user_sgpr_dispatch_id 0
		.amdhsa_user_sgpr_flat_scratch_init 0
		.amdhsa_user_sgpr_private_segment_size 0
		.amdhsa_wavefront_size32 1
		.amdhsa_uses_dynamic_stack 0
		.amdhsa_system_sgpr_private_segment_wavefront_offset 0
		.amdhsa_system_sgpr_workgroup_id_x 1
		.amdhsa_system_sgpr_workgroup_id_y 1
		.amdhsa_system_sgpr_workgroup_id_z 1
		.amdhsa_system_sgpr_workgroup_info 0
		.amdhsa_system_vgpr_workitem_id 1
		.amdhsa_next_free_vgpr 44
		.amdhsa_next_free_sgpr 44
		.amdhsa_reserve_vcc 1
		.amdhsa_reserve_flat_scratch 0
		.amdhsa_float_round_mode_32 0
		.amdhsa_float_round_mode_16_64 0
		.amdhsa_float_denorm_mode_32 3
		.amdhsa_float_denorm_mode_16_64 3
		.amdhsa_dx10_clamp 1
		.amdhsa_ieee_mode 1
		.amdhsa_fp16_overflow 0
		.amdhsa_workgroup_processor_mode 1
		.amdhsa_memory_ordered 1
		.amdhsa_forward_progress 1
		.amdhsa_shared_vgpr_count 0
		.amdhsa_exception_fp_ieee_invalid_op 0
		.amdhsa_exception_fp_denorm_src 0
		.amdhsa_exception_fp_ieee_div_zero 0
		.amdhsa_exception_fp_ieee_overflow 0
		.amdhsa_exception_fp_ieee_underflow 0
		.amdhsa_exception_fp_ieee_inexact 0
		.amdhsa_exception_int_div_zero 0
	.end_amdhsa_kernel
	.section	.text._ZN12_GLOBAL__N_135rocblas_gemm_batched_general_kernelIfLi16ELi16ELi32ELi32ELi8ELi32ELi8ELi8ELi32ELc84ELc67EKPKfS3_KPfEEvlllT_PT11_llS8_llS6_PT12_llPT13_lli,"axG",@progbits,_ZN12_GLOBAL__N_135rocblas_gemm_batched_general_kernelIfLi16ELi16ELi32ELi32ELi8ELi32ELi8ELi8ELi32ELc84ELc67EKPKfS3_KPfEEvlllT_PT11_llS8_llS6_PT12_llPT13_lli,comdat
.Lfunc_end202:
	.size	_ZN12_GLOBAL__N_135rocblas_gemm_batched_general_kernelIfLi16ELi16ELi32ELi32ELi8ELi32ELi8ELi8ELi32ELc84ELc67EKPKfS3_KPfEEvlllT_PT11_llS8_llS6_PT12_llPT13_lli, .Lfunc_end202-_ZN12_GLOBAL__N_135rocblas_gemm_batched_general_kernelIfLi16ELi16ELi32ELi32ELi8ELi32ELi8ELi8ELi32ELc84ELc67EKPKfS3_KPfEEvlllT_PT11_llS8_llS6_PT12_llPT13_lli
                                        ; -- End function
	.set _ZN12_GLOBAL__N_135rocblas_gemm_batched_general_kernelIfLi16ELi16ELi32ELi32ELi8ELi32ELi8ELi8ELi32ELc84ELc67EKPKfS3_KPfEEvlllT_PT11_llS8_llS6_PT12_llPT13_lli.num_vgpr, 44
	.set _ZN12_GLOBAL__N_135rocblas_gemm_batched_general_kernelIfLi16ELi16ELi32ELi32ELi8ELi32ELi8ELi8ELi32ELc84ELc67EKPKfS3_KPfEEvlllT_PT11_llS8_llS6_PT12_llPT13_lli.num_agpr, 0
	.set _ZN12_GLOBAL__N_135rocblas_gemm_batched_general_kernelIfLi16ELi16ELi32ELi32ELi8ELi32ELi8ELi8ELi32ELc84ELc67EKPKfS3_KPfEEvlllT_PT11_llS8_llS6_PT12_llPT13_lli.numbered_sgpr, 44
	.set _ZN12_GLOBAL__N_135rocblas_gemm_batched_general_kernelIfLi16ELi16ELi32ELi32ELi8ELi32ELi8ELi8ELi32ELc84ELc67EKPKfS3_KPfEEvlllT_PT11_llS8_llS6_PT12_llPT13_lli.num_named_barrier, 0
	.set _ZN12_GLOBAL__N_135rocblas_gemm_batched_general_kernelIfLi16ELi16ELi32ELi32ELi8ELi32ELi8ELi8ELi32ELc84ELc67EKPKfS3_KPfEEvlllT_PT11_llS8_llS6_PT12_llPT13_lli.private_seg_size, 0
	.set _ZN12_GLOBAL__N_135rocblas_gemm_batched_general_kernelIfLi16ELi16ELi32ELi32ELi8ELi32ELi8ELi8ELi32ELc84ELc67EKPKfS3_KPfEEvlllT_PT11_llS8_llS6_PT12_llPT13_lli.uses_vcc, 1
	.set _ZN12_GLOBAL__N_135rocblas_gemm_batched_general_kernelIfLi16ELi16ELi32ELi32ELi8ELi32ELi8ELi8ELi32ELc84ELc67EKPKfS3_KPfEEvlllT_PT11_llS8_llS6_PT12_llPT13_lli.uses_flat_scratch, 0
	.set _ZN12_GLOBAL__N_135rocblas_gemm_batched_general_kernelIfLi16ELi16ELi32ELi32ELi8ELi32ELi8ELi8ELi32ELc84ELc67EKPKfS3_KPfEEvlllT_PT11_llS8_llS6_PT12_llPT13_lli.has_dyn_sized_stack, 0
	.set _ZN12_GLOBAL__N_135rocblas_gemm_batched_general_kernelIfLi16ELi16ELi32ELi32ELi8ELi32ELi8ELi8ELi32ELc84ELc67EKPKfS3_KPfEEvlllT_PT11_llS8_llS6_PT12_llPT13_lli.has_recursion, 0
	.set _ZN12_GLOBAL__N_135rocblas_gemm_batched_general_kernelIfLi16ELi16ELi32ELi32ELi8ELi32ELi8ELi8ELi32ELc84ELc67EKPKfS3_KPfEEvlllT_PT11_llS8_llS6_PT12_llPT13_lli.has_indirect_call, 0
	.section	.AMDGPU.csdata,"",@progbits
; Kernel info:
; codeLenInByte = 1908
; TotalNumSgprs: 46
; NumVgprs: 44
; ScratchSize: 0
; MemoryBound: 0
; FloatMode: 240
; IeeeMode: 1
; LDSByteSize: 2048 bytes/workgroup (compile time only)
; SGPRBlocks: 0
; VGPRBlocks: 5
; NumSGPRsForWavesPerEU: 46
; NumVGPRsForWavesPerEU: 44
; Occupancy: 16
; WaveLimiterHint : 1
; COMPUTE_PGM_RSRC2:SCRATCH_EN: 0
; COMPUTE_PGM_RSRC2:USER_SGPR: 6
; COMPUTE_PGM_RSRC2:TRAP_HANDLER: 0
; COMPUTE_PGM_RSRC2:TGID_X_EN: 1
; COMPUTE_PGM_RSRC2:TGID_Y_EN: 1
; COMPUTE_PGM_RSRC2:TGID_Z_EN: 1
; COMPUTE_PGM_RSRC2:TIDIG_COMP_CNT: 1
	.section	.text._ZN12_GLOBAL__N_125rocblas_gemm_scale_kernelILi32ELi32EdPKPdEEviiT1_T2_llli,"axG",@progbits,_ZN12_GLOBAL__N_125rocblas_gemm_scale_kernelILi32ELi32EdPKPdEEviiT1_T2_llli,comdat
	.globl	_ZN12_GLOBAL__N_125rocblas_gemm_scale_kernelILi32ELi32EdPKPdEEviiT1_T2_llli ; -- Begin function _ZN12_GLOBAL__N_125rocblas_gemm_scale_kernelILi32ELi32EdPKPdEEviiT1_T2_llli
	.p2align	8
	.type	_ZN12_GLOBAL__N_125rocblas_gemm_scale_kernelILi32ELi32EdPKPdEEviiT1_T2_llli,@function
_ZN12_GLOBAL__N_125rocblas_gemm_scale_kernelILi32ELi32EdPKPdEEviiT1_T2_llli: ; @_ZN12_GLOBAL__N_125rocblas_gemm_scale_kernelILi32ELi32EdPKPdEEviiT1_T2_llli
; %bb.0:
	s_load_dwordx2 s[0:1], s[4:5], 0x0
	v_lshl_add_u32 v0, s6, 5, v0
	v_lshl_add_u32 v1, s7, 5, v1
	s_waitcnt lgkmcnt(0)
	v_cmp_gt_u32_e32 vcc_lo, s0, v0
	v_cmp_gt_u32_e64 s0, s1, v1
	s_and_b32 s0, vcc_lo, s0
	s_and_saveexec_b32 s1, s0
	s_cbranch_execz .LBB203_4
; %bb.1:
	s_load_dwordx8 s[0:7], s[4:5], 0x8
	s_mov_b32 s9, 0
	s_lshl_b64 s[8:9], s[8:9], 3
	s_waitcnt lgkmcnt(0)
	v_mad_u64_u32 v[4:5], null, s6, v1, 0
	s_add_u32 s2, s2, s8
	s_addc_u32 s3, s3, s9
	v_cmp_eq_f64_e64 s6, s[0:1], 0
	s_load_dwordx2 s[2:3], s[2:3], 0x0
	s_lshl_b64 s[4:5], s[4:5], 3
	v_mov_b32_e32 v2, v5
	v_mad_u64_u32 v[2:3], null, s7, v1, v[2:3]
	v_mov_b32_e32 v1, 0
	v_lshlrev_b64 v[0:1], 3, v[0:1]
	v_mov_b32_e32 v5, v2
	v_mov_b32_e32 v2, 0
	;; [unrolled: 1-line block ×3, first 2 shown]
	s_waitcnt lgkmcnt(0)
	s_add_u32 s2, s2, s4
	v_lshlrev_b64 v[4:5], 3, v[4:5]
	s_addc_u32 s3, s3, s5
	s_and_b32 vcc_lo, exec_lo, s6
	s_cbranch_vccnz .LBB203_3
; %bb.2:
	v_add_co_u32 v2, vcc_lo, s2, v4
	v_add_co_ci_u32_e64 v3, null, s3, v5, vcc_lo
	v_add_co_u32 v2, vcc_lo, v2, v0
	v_add_co_ci_u32_e64 v3, null, v3, v1, vcc_lo
	flat_load_dwordx2 v[2:3], v[2:3]
	s_waitcnt vmcnt(0) lgkmcnt(0)
	v_mul_f64 v[2:3], s[0:1], v[2:3]
.LBB203_3:
	v_add_co_u32 v4, vcc_lo, s2, v4
	v_add_co_ci_u32_e64 v5, null, s3, v5, vcc_lo
	v_add_co_u32 v0, vcc_lo, v4, v0
	v_add_co_ci_u32_e64 v1, null, v5, v1, vcc_lo
	flat_store_dwordx2 v[0:1], v[2:3]
.LBB203_4:
	s_endpgm
	.section	.rodata,"a",@progbits
	.p2align	6, 0x0
	.amdhsa_kernel _ZN12_GLOBAL__N_125rocblas_gemm_scale_kernelILi32ELi32EdPKPdEEviiT1_T2_llli
		.amdhsa_group_segment_fixed_size 0
		.amdhsa_private_segment_fixed_size 0
		.amdhsa_kernarg_size 52
		.amdhsa_user_sgpr_count 6
		.amdhsa_user_sgpr_private_segment_buffer 1
		.amdhsa_user_sgpr_dispatch_ptr 0
		.amdhsa_user_sgpr_queue_ptr 0
		.amdhsa_user_sgpr_kernarg_segment_ptr 1
		.amdhsa_user_sgpr_dispatch_id 0
		.amdhsa_user_sgpr_flat_scratch_init 0
		.amdhsa_user_sgpr_private_segment_size 0
		.amdhsa_wavefront_size32 1
		.amdhsa_uses_dynamic_stack 0
		.amdhsa_system_sgpr_private_segment_wavefront_offset 0
		.amdhsa_system_sgpr_workgroup_id_x 1
		.amdhsa_system_sgpr_workgroup_id_y 1
		.amdhsa_system_sgpr_workgroup_id_z 1
		.amdhsa_system_sgpr_workgroup_info 0
		.amdhsa_system_vgpr_workitem_id 1
		.amdhsa_next_free_vgpr 6
		.amdhsa_next_free_sgpr 10
		.amdhsa_reserve_vcc 1
		.amdhsa_reserve_flat_scratch 0
		.amdhsa_float_round_mode_32 0
		.amdhsa_float_round_mode_16_64 0
		.amdhsa_float_denorm_mode_32 3
		.amdhsa_float_denorm_mode_16_64 3
		.amdhsa_dx10_clamp 1
		.amdhsa_ieee_mode 1
		.amdhsa_fp16_overflow 0
		.amdhsa_workgroup_processor_mode 1
		.amdhsa_memory_ordered 1
		.amdhsa_forward_progress 1
		.amdhsa_shared_vgpr_count 0
		.amdhsa_exception_fp_ieee_invalid_op 0
		.amdhsa_exception_fp_denorm_src 0
		.amdhsa_exception_fp_ieee_div_zero 0
		.amdhsa_exception_fp_ieee_overflow 0
		.amdhsa_exception_fp_ieee_underflow 0
		.amdhsa_exception_fp_ieee_inexact 0
		.amdhsa_exception_int_div_zero 0
	.end_amdhsa_kernel
	.section	.text._ZN12_GLOBAL__N_125rocblas_gemm_scale_kernelILi32ELi32EdPKPdEEviiT1_T2_llli,"axG",@progbits,_ZN12_GLOBAL__N_125rocblas_gemm_scale_kernelILi32ELi32EdPKPdEEviiT1_T2_llli,comdat
.Lfunc_end203:
	.size	_ZN12_GLOBAL__N_125rocblas_gemm_scale_kernelILi32ELi32EdPKPdEEviiT1_T2_llli, .Lfunc_end203-_ZN12_GLOBAL__N_125rocblas_gemm_scale_kernelILi32ELi32EdPKPdEEviiT1_T2_llli
                                        ; -- End function
	.set _ZN12_GLOBAL__N_125rocblas_gemm_scale_kernelILi32ELi32EdPKPdEEviiT1_T2_llli.num_vgpr, 6
	.set _ZN12_GLOBAL__N_125rocblas_gemm_scale_kernelILi32ELi32EdPKPdEEviiT1_T2_llli.num_agpr, 0
	.set _ZN12_GLOBAL__N_125rocblas_gemm_scale_kernelILi32ELi32EdPKPdEEviiT1_T2_llli.numbered_sgpr, 10
	.set _ZN12_GLOBAL__N_125rocblas_gemm_scale_kernelILi32ELi32EdPKPdEEviiT1_T2_llli.num_named_barrier, 0
	.set _ZN12_GLOBAL__N_125rocblas_gemm_scale_kernelILi32ELi32EdPKPdEEviiT1_T2_llli.private_seg_size, 0
	.set _ZN12_GLOBAL__N_125rocblas_gemm_scale_kernelILi32ELi32EdPKPdEEviiT1_T2_llli.uses_vcc, 1
	.set _ZN12_GLOBAL__N_125rocblas_gemm_scale_kernelILi32ELi32EdPKPdEEviiT1_T2_llli.uses_flat_scratch, 0
	.set _ZN12_GLOBAL__N_125rocblas_gemm_scale_kernelILi32ELi32EdPKPdEEviiT1_T2_llli.has_dyn_sized_stack, 0
	.set _ZN12_GLOBAL__N_125rocblas_gemm_scale_kernelILi32ELi32EdPKPdEEviiT1_T2_llli.has_recursion, 0
	.set _ZN12_GLOBAL__N_125rocblas_gemm_scale_kernelILi32ELi32EdPKPdEEviiT1_T2_llli.has_indirect_call, 0
	.section	.AMDGPU.csdata,"",@progbits
; Kernel info:
; codeLenInByte = 268
; TotalNumSgprs: 12
; NumVgprs: 6
; ScratchSize: 0
; MemoryBound: 0
; FloatMode: 240
; IeeeMode: 1
; LDSByteSize: 0 bytes/workgroup (compile time only)
; SGPRBlocks: 0
; VGPRBlocks: 0
; NumSGPRsForWavesPerEU: 12
; NumVGPRsForWavesPerEU: 6
; Occupancy: 16
; WaveLimiterHint : 1
; COMPUTE_PGM_RSRC2:SCRATCH_EN: 0
; COMPUTE_PGM_RSRC2:USER_SGPR: 6
; COMPUTE_PGM_RSRC2:TRAP_HANDLER: 0
; COMPUTE_PGM_RSRC2:TGID_X_EN: 1
; COMPUTE_PGM_RSRC2:TGID_Y_EN: 1
; COMPUTE_PGM_RSRC2:TGID_Z_EN: 1
; COMPUTE_PGM_RSRC2:TIDIG_COMP_CNT: 1
	.section	.text._ZN12_GLOBAL__N_120gemm_ex_scale_kernelILi32ELi32EdPKPKdPKPdEEviiT1_T2_lllT3_llli,"axG",@progbits,_ZN12_GLOBAL__N_120gemm_ex_scale_kernelILi32ELi32EdPKPKdPKPdEEviiT1_T2_lllT3_llli,comdat
	.globl	_ZN12_GLOBAL__N_120gemm_ex_scale_kernelILi32ELi32EdPKPKdPKPdEEviiT1_T2_lllT3_llli ; -- Begin function _ZN12_GLOBAL__N_120gemm_ex_scale_kernelILi32ELi32EdPKPKdPKPdEEviiT1_T2_lllT3_llli
	.p2align	8
	.type	_ZN12_GLOBAL__N_120gemm_ex_scale_kernelILi32ELi32EdPKPKdPKPdEEviiT1_T2_lllT3_llli,@function
_ZN12_GLOBAL__N_120gemm_ex_scale_kernelILi32ELi32EdPKPKdPKPdEEviiT1_T2_lllT3_llli: ; @_ZN12_GLOBAL__N_120gemm_ex_scale_kernelILi32ELi32EdPKPKdPKPdEEviiT1_T2_lllT3_llli
; %bb.0:
	s_load_dwordx8 s[12:19], s[4:5], 0x8
	s_mov_b64 s[10:11], 0
	s_mov_b32 s9, 0
	s_waitcnt lgkmcnt(0)
	v_cmp_eq_f64_e64 s20, s[12:13], 0
	s_and_b32 vcc_lo, exec_lo, s20
	s_cbranch_vccnz .LBB204_2
; %bb.1:
	s_lshl_b64 s[0:1], s[8:9], 3
	s_add_u32 s0, s14, s0
	s_addc_u32 s1, s15, s1
	s_lshl_b64 s[2:3], s[16:17], 3
	s_load_dwordx2 s[0:1], s[0:1], 0x0
	s_waitcnt lgkmcnt(0)
	s_add_u32 s10, s0, s2
	s_addc_u32 s11, s1, s3
.LBB204_2:
	s_load_dwordx2 s[0:1], s[4:5], 0x0
	v_lshl_add_u32 v0, s6, 5, v0
	v_lshl_add_u32 v4, s7, 5, v1
	s_waitcnt lgkmcnt(0)
	v_cmp_gt_u32_e32 vcc_lo, s0, v0
	v_cmp_gt_u32_e64 s0, s1, v4
	s_and_b32 s0, vcc_lo, s0
	s_and_saveexec_b32 s1, s0
	s_cbranch_execz .LBB204_8
; %bb.3:
	s_load_dwordx4 s[0:3], s[4:5], 0x30
	s_lshl_b64 s[6:7], s[8:9], 3
	s_load_dwordx2 s[4:5], s[4:5], 0x40
	v_mov_b32_e32 v1, 0
	s_waitcnt lgkmcnt(0)
	s_add_u32 s0, s0, s6
	s_addc_u32 s1, s1, s7
	s_andn2_b32 vcc_lo, exec_lo, s20
	s_load_dwordx2 s[0:1], s[0:1], 0x0
	s_cbranch_vccnz .LBB204_5
; %bb.4:
	v_mov_b32_e32 v2, 0
	v_mov_b32_e32 v3, 0
	s_cbranch_execz .LBB204_6
	s_branch .LBB204_7
.LBB204_5:
	v_mov_b32_e32 v2, 0
	v_mov_b32_e32 v3, 0
.LBB204_6:
	v_mad_u64_u32 v[2:3], null, s18, v4, 0
	v_mad_u64_u32 v[5:6], null, s19, v4, v[3:4]
	v_mov_b32_e32 v3, v5
	v_lshlrev_b64 v[5:6], 3, v[0:1]
	v_lshlrev_b64 v[2:3], 3, v[2:3]
	v_add_co_u32 v2, vcc_lo, s10, v2
	v_add_co_ci_u32_e64 v3, null, s11, v3, vcc_lo
	v_add_co_u32 v2, vcc_lo, v2, v5
	v_add_co_ci_u32_e64 v3, null, v3, v6, vcc_lo
	flat_load_dwordx2 v[2:3], v[2:3]
	s_waitcnt vmcnt(0) lgkmcnt(0)
	v_mul_f64 v[2:3], s[12:13], v[2:3]
.LBB204_7:
	v_mad_u64_u32 v[5:6], null, s4, v4, 0
	s_lshl_b64 s[2:3], s[2:3], 3
	v_lshlrev_b64 v[0:1], 3, v[0:1]
	s_waitcnt lgkmcnt(0)
	s_add_u32 s0, s0, s2
	s_addc_u32 s1, s1, s3
	v_mad_u64_u32 v[6:7], null, s5, v4, v[6:7]
	v_lshlrev_b64 v[4:5], 3, v[5:6]
	v_add_co_u32 v4, vcc_lo, s0, v4
	v_add_co_ci_u32_e64 v5, null, s1, v5, vcc_lo
	v_add_co_u32 v0, vcc_lo, v4, v0
	v_add_co_ci_u32_e64 v1, null, v5, v1, vcc_lo
	flat_store_dwordx2 v[0:1], v[2:3]
.LBB204_8:
	s_endpgm
	.section	.rodata,"a",@progbits
	.p2align	6, 0x0
	.amdhsa_kernel _ZN12_GLOBAL__N_120gemm_ex_scale_kernelILi32ELi32EdPKPKdPKPdEEviiT1_T2_lllT3_llli
		.amdhsa_group_segment_fixed_size 0
		.amdhsa_private_segment_fixed_size 0
		.amdhsa_kernarg_size 84
		.amdhsa_user_sgpr_count 6
		.amdhsa_user_sgpr_private_segment_buffer 1
		.amdhsa_user_sgpr_dispatch_ptr 0
		.amdhsa_user_sgpr_queue_ptr 0
		.amdhsa_user_sgpr_kernarg_segment_ptr 1
		.amdhsa_user_sgpr_dispatch_id 0
		.amdhsa_user_sgpr_flat_scratch_init 0
		.amdhsa_user_sgpr_private_segment_size 0
		.amdhsa_wavefront_size32 1
		.amdhsa_uses_dynamic_stack 0
		.amdhsa_system_sgpr_private_segment_wavefront_offset 0
		.amdhsa_system_sgpr_workgroup_id_x 1
		.amdhsa_system_sgpr_workgroup_id_y 1
		.amdhsa_system_sgpr_workgroup_id_z 1
		.amdhsa_system_sgpr_workgroup_info 0
		.amdhsa_system_vgpr_workitem_id 1
		.amdhsa_next_free_vgpr 8
		.amdhsa_next_free_sgpr 21
		.amdhsa_reserve_vcc 1
		.amdhsa_reserve_flat_scratch 0
		.amdhsa_float_round_mode_32 0
		.amdhsa_float_round_mode_16_64 0
		.amdhsa_float_denorm_mode_32 3
		.amdhsa_float_denorm_mode_16_64 3
		.amdhsa_dx10_clamp 1
		.amdhsa_ieee_mode 1
		.amdhsa_fp16_overflow 0
		.amdhsa_workgroup_processor_mode 1
		.amdhsa_memory_ordered 1
		.amdhsa_forward_progress 1
		.amdhsa_shared_vgpr_count 0
		.amdhsa_exception_fp_ieee_invalid_op 0
		.amdhsa_exception_fp_denorm_src 0
		.amdhsa_exception_fp_ieee_div_zero 0
		.amdhsa_exception_fp_ieee_overflow 0
		.amdhsa_exception_fp_ieee_underflow 0
		.amdhsa_exception_fp_ieee_inexact 0
		.amdhsa_exception_int_div_zero 0
	.end_amdhsa_kernel
	.section	.text._ZN12_GLOBAL__N_120gemm_ex_scale_kernelILi32ELi32EdPKPKdPKPdEEviiT1_T2_lllT3_llli,"axG",@progbits,_ZN12_GLOBAL__N_120gemm_ex_scale_kernelILi32ELi32EdPKPKdPKPdEEviiT1_T2_lllT3_llli,comdat
.Lfunc_end204:
	.size	_ZN12_GLOBAL__N_120gemm_ex_scale_kernelILi32ELi32EdPKPKdPKPdEEviiT1_T2_lllT3_llli, .Lfunc_end204-_ZN12_GLOBAL__N_120gemm_ex_scale_kernelILi32ELi32EdPKPKdPKPdEEviiT1_T2_lllT3_llli
                                        ; -- End function
	.set _ZN12_GLOBAL__N_120gemm_ex_scale_kernelILi32ELi32EdPKPKdPKPdEEviiT1_T2_lllT3_llli.num_vgpr, 8
	.set _ZN12_GLOBAL__N_120gemm_ex_scale_kernelILi32ELi32EdPKPKdPKPdEEviiT1_T2_lllT3_llli.num_agpr, 0
	.set _ZN12_GLOBAL__N_120gemm_ex_scale_kernelILi32ELi32EdPKPKdPKPdEEviiT1_T2_lllT3_llli.numbered_sgpr, 21
	.set _ZN12_GLOBAL__N_120gemm_ex_scale_kernelILi32ELi32EdPKPKdPKPdEEviiT1_T2_lllT3_llli.num_named_barrier, 0
	.set _ZN12_GLOBAL__N_120gemm_ex_scale_kernelILi32ELi32EdPKPKdPKPdEEviiT1_T2_lllT3_llli.private_seg_size, 0
	.set _ZN12_GLOBAL__N_120gemm_ex_scale_kernelILi32ELi32EdPKPKdPKPdEEviiT1_T2_lllT3_llli.uses_vcc, 1
	.set _ZN12_GLOBAL__N_120gemm_ex_scale_kernelILi32ELi32EdPKPKdPKPdEEviiT1_T2_lllT3_llli.uses_flat_scratch, 0
	.set _ZN12_GLOBAL__N_120gemm_ex_scale_kernelILi32ELi32EdPKPKdPKPdEEviiT1_T2_lllT3_llli.has_dyn_sized_stack, 0
	.set _ZN12_GLOBAL__N_120gemm_ex_scale_kernelILi32ELi32EdPKPKdPKPdEEviiT1_T2_lllT3_llli.has_recursion, 0
	.set _ZN12_GLOBAL__N_120gemm_ex_scale_kernelILi32ELi32EdPKPKdPKPdEEviiT1_T2_lllT3_llli.has_indirect_call, 0
	.section	.AMDGPU.csdata,"",@progbits
; Kernel info:
; codeLenInByte = 380
; TotalNumSgprs: 23
; NumVgprs: 8
; ScratchSize: 0
; MemoryBound: 0
; FloatMode: 240
; IeeeMode: 1
; LDSByteSize: 0 bytes/workgroup (compile time only)
; SGPRBlocks: 0
; VGPRBlocks: 0
; NumSGPRsForWavesPerEU: 23
; NumVGPRsForWavesPerEU: 8
; Occupancy: 16
; WaveLimiterHint : 1
; COMPUTE_PGM_RSRC2:SCRATCH_EN: 0
; COMPUTE_PGM_RSRC2:USER_SGPR: 6
; COMPUTE_PGM_RSRC2:TRAP_HANDLER: 0
; COMPUTE_PGM_RSRC2:TGID_X_EN: 1
; COMPUTE_PGM_RSRC2:TGID_Y_EN: 1
; COMPUTE_PGM_RSRC2:TGID_Z_EN: 1
; COMPUTE_PGM_RSRC2:TIDIG_COMP_CNT: 1
	.section	.text._ZN12_GLOBAL__N_127rocblas_gemm_batched_kernelIdLi16ELi16ELi64ELi64ELi4ELi64ELi4ELi4ELi64ELc78ELc78EKPKdS3_KPdEEvlllT_PT11_llS8_llS6_PT12_llPT13_lli,"axG",@progbits,_ZN12_GLOBAL__N_127rocblas_gemm_batched_kernelIdLi16ELi16ELi64ELi64ELi4ELi64ELi4ELi4ELi64ELc78ELc78EKPKdS3_KPdEEvlllT_PT11_llS8_llS6_PT12_llPT13_lli,comdat
	.globl	_ZN12_GLOBAL__N_127rocblas_gemm_batched_kernelIdLi16ELi16ELi64ELi64ELi4ELi64ELi4ELi4ELi64ELc78ELc78EKPKdS3_KPdEEvlllT_PT11_llS8_llS6_PT12_llPT13_lli ; -- Begin function _ZN12_GLOBAL__N_127rocblas_gemm_batched_kernelIdLi16ELi16ELi64ELi64ELi4ELi64ELi4ELi4ELi64ELc78ELc78EKPKdS3_KPdEEvlllT_PT11_llS8_llS6_PT12_llPT13_lli
	.p2align	8
	.type	_ZN12_GLOBAL__N_127rocblas_gemm_batched_kernelIdLi16ELi16ELi64ELi64ELi4ELi64ELi4ELi4ELi64ELc78ELc78EKPKdS3_KPdEEvlllT_PT11_llS8_llS6_PT12_llPT13_lli,@function
_ZN12_GLOBAL__N_127rocblas_gemm_batched_kernelIdLi16ELi16ELi64ELi64ELi4ELi64ELi4ELi4ELi64ELc78ELc78EKPKdS3_KPdEEvlllT_PT11_llS8_llS6_PT12_llPT13_lli: ; @_ZN12_GLOBAL__N_127rocblas_gemm_batched_kernelIdLi16ELi16ELi64ELi64ELi4ELi64ELi4ELi4ELi64ELc78ELc78EKPKdS3_KPdEEvlllT_PT11_llS8_llS6_PT12_llPT13_lli
; %bb.0:
	s_clause 0x2
	s_load_dwordx8 s[36:43], s[4:5], 0x50
	s_load_dwordx8 s[44:51], s[4:5], 0x70
	s_load_dwordx16 s[12:27], s[4:5], 0x10
	s_mov_b32 s9, 0
	s_mov_b32 s10, s7
	s_lshl_b64 s[0:1], s[8:9], 3
	s_waitcnt lgkmcnt(0)
	s_add_u32 s2, s38, s0
	s_addc_u32 s3, s39, s1
	s_add_u32 s4, s44, s0
	s_addc_u32 s5, s45, s1
	s_load_dwordx2 s[2:3], s[2:3], 0x0
	s_load_dwordx2 s[4:5], s[4:5], 0x0
	v_cmp_lt_i64_e64 s8, s[12:13], 1
	s_ashr_i32 s7, s6, 31
	s_ashr_i32 s11, s10, 31
	s_lshl_b64 s[6:7], s[6:7], 6
	s_and_b32 vcc_lo, exec_lo, s8
	s_lshl_b64 s[8:9], s[10:11], 6
	s_cbranch_vccnz .LBB205_3
; %bb.1:
	v_lshl_add_u32 v4, v1, 4, v0
	v_and_b32_e32 v5, 3, v0
	s_add_u32 s10, s16, s0
	v_mov_b32_e32 v12, 0
	v_mov_b32_e32 v14, 0
	v_lshrrev_b32_e32 v6, 2, v4
	v_lshlrev_b32_e32 v11, 3, v5
	v_lshrrev_b32_e32 v9, 6, v4
	v_and_b32_e32 v10, 63, v4
	v_mov_b32_e32 v22, 0
	v_add_co_u32 v2, s11, v6, s8
	v_add_co_ci_u32_e64 v3, null, 0, s9, s11
	s_addc_u32 s11, s17, s1
	v_mul_lo_u32 v7, s25, v2
	s_add_u32 s0, s22, s0
	v_mul_lo_u32 v8, s24, v3
	v_mad_u64_u32 v[2:3], null, s24, v2, 0
	v_lshl_or_b32 v6, v6, 5, v11
	s_addc_u32 s1, s23, s1
	v_mad_u64_u32 v[4:5], null, s18, v9, s[6:7]
	s_load_dwordx2 s[0:1], s[0:1], 0x0
	s_lshl_b64 s[16:17], s[26:27], 3
	v_add3_u32 v3, v3, v8, v7
	v_lshlrev_b32_e32 v7, 3, v10
	v_add_nc_u32_e32 v41, 0x800, v6
	s_load_dwordx2 s[10:11], s[10:11], 0x0
	v_mov_b32_e32 v20, 0
	v_lshlrev_b64 v[2:3], 3, v[2:3]
	v_lshl_or_b32 v40, v9, 9, v7
	v_mov_b32_e32 v24, 0
	v_mov_b32_e32 v28, 0
	v_mov_b32_e32 v32, 0
	v_mov_b32_e32 v16, 0
	v_add_co_u32 v6, vcc_lo, v2, s16
	v_add_co_ci_u32_e64 v7, null, s17, v3, vcc_lo
	v_mov_b32_e32 v18, 0
	v_mad_u64_u32 v[2:3], null, s19, v9, v[5:6]
	v_add_co_u32 v5, vcc_lo, v6, v11
	v_add_co_ci_u32_e64 v6, null, 0, v7, vcc_lo
	v_add_co_u32 v3, vcc_lo, v4, v10
	v_add_co_ci_u32_e64 v4, null, 0, v2, vcc_lo
	s_waitcnt lgkmcnt(0)
	v_add_co_u32 v34, vcc_lo, s0, v5
	v_add_co_ci_u32_e64 v35, null, s1, v6, vcc_lo
	v_lshlrev_b64 v[36:37], 3, v[3:4]
	s_lshl_b64 s[0:1], s[20:21], 3
	v_mov_b32_e32 v2, 0
	s_add_u32 s0, s10, s0
	s_addc_u32 s1, s11, s1
	v_mov_b32_e32 v4, 0
	v_add_co_u32 v36, vcc_lo, s0, v36
	v_mov_b32_e32 v6, 0
	v_mov_b32_e32 v8, 0
	v_mov_b32_e32 v10, 0
	v_mov_b32_e32 v26, 0
	v_mov_b32_e32 v30, 0
	v_lshlrev_b32_e32 v38, 3, v0
	v_lshl_add_u32 v39, v1, 5, 0x800
	v_mov_b32_e32 v3, 0
	v_mov_b32_e32 v5, 0
	;; [unrolled: 1-line block ×16, first 2 shown]
	v_add_co_ci_u32_e64 v37, null, s1, v37, vcc_lo
	s_lshl_b64 s[10:11], s[18:19], 5
	s_mov_b64 s[16:17], 0
.LBB205_2:                              ; =>This Inner Loop Header: Depth=1
	flat_load_dwordx2 v[42:43], v[36:37]
	s_add_u32 s16, s16, 4
	s_addc_u32 s17, s17, 0
	v_add_co_u32 v36, vcc_lo, v36, s10
	v_cmp_lt_i64_e64 s0, s[16:17], s[12:13]
	v_add_co_ci_u32_e64 v37, null, s11, v37, vcc_lo
	s_and_b32 vcc_lo, exec_lo, s0
	s_waitcnt vmcnt(0) lgkmcnt(0)
	ds_write_b64 v40, v[42:43]
	flat_load_dwordx2 v[42:43], v[34:35]
	v_add_co_u32 v34, s0, v34, 32
	v_add_co_ci_u32_e64 v35, null, 0, v35, s0
	s_waitcnt vmcnt(0) lgkmcnt(0)
	ds_write_b64 v41, v[42:43]
	s_waitcnt lgkmcnt(0)
	s_barrier
	buffer_gl0_inv
	ds_read_b128 v[42:45], v39
	ds_read2_b64 v[46:49], v38 offset1:16
	ds_read_b128 v[50:53], v39 offset:512
	ds_read_b128 v[54:57], v39 offset:16
	;; [unrolled: 1-line block ×3, first 2 shown]
	s_waitcnt lgkmcnt(3)
	v_fma_f64 v[70:71], v[46:47], v[42:43], v[30:31]
	v_fma_f64 v[72:73], v[48:49], v[42:43], v[26:27]
	s_waitcnt lgkmcnt(2)
	v_fma_f64 v[74:75], v[46:47], v[50:51], v[32:33]
	v_fma_f64 v[76:77], v[48:49], v[50:51], v[28:29]
	ds_read_b128 v[26:29], v39 offset:1024
	ds_read_b128 v[62:65], v39 offset:1040
	ds_read_b128 v[30:33], v39 offset:1536
	ds_read_b128 v[66:69], v39 offset:1552
	s_waitcnt lgkmcnt(3)
	v_fma_f64 v[22:23], v[46:47], v[26:27], v[22:23]
	v_fma_f64 v[14:15], v[48:49], v[26:27], v[14:15]
	s_waitcnt lgkmcnt(1)
	v_fma_f64 v[46:47], v[46:47], v[30:31], v[8:9]
	v_fma_f64 v[48:49], v[48:49], v[30:31], v[6:7]
	ds_read2_b64 v[6:9], v38 offset0:32 offset1:48
	s_waitcnt lgkmcnt(0)
	v_fma_f64 v[18:19], v[6:7], v[42:43], v[18:19]
	v_fma_f64 v[16:17], v[8:9], v[42:43], v[16:17]
	;; [unrolled: 1-line block ×8, first 2 shown]
	ds_read2_b64 v[2:5], v38 offset0:64 offset1:80
	ds_read2_b64 v[6:9], v38 offset0:96 offset1:112
	s_waitcnt lgkmcnt(1)
	v_fma_f64 v[42:43], v[2:3], v[44:45], v[70:71]
	v_fma_f64 v[50:51], v[4:5], v[44:45], v[72:73]
	s_waitcnt lgkmcnt(0)
	v_fma_f64 v[18:19], v[6:7], v[44:45], v[18:19]
	v_fma_f64 v[16:17], v[8:9], v[44:45], v[16:17]
	;; [unrolled: 1-line block ×10, first 2 shown]
	ds_read2_b64 v[2:5], v38 offset0:128 offset1:144
	v_fma_f64 v[24:25], v[6:7], v[52:53], v[24:25]
	v_fma_f64 v[20:21], v[8:9], v[52:53], v[20:21]
	;; [unrolled: 1-line block ×4, first 2 shown]
	s_waitcnt lgkmcnt(0)
	v_fma_f64 v[26:27], v[2:3], v[54:55], v[42:43]
	v_fma_f64 v[32:33], v[4:5], v[54:55], v[50:51]
	;; [unrolled: 1-line block ×8, first 2 shown]
	ds_read2_b64 v[2:5], v38 offset0:160 offset1:176
	ds_read2_b64 v[42:45], v38 offset0:224 offset1:240
	s_waitcnt lgkmcnt(1)
	v_fma_f64 v[18:19], v[2:3], v[54:55], v[18:19]
	v_fma_f64 v[16:17], v[4:5], v[54:55], v[16:17]
	;; [unrolled: 1-line block ×8, first 2 shown]
	ds_read2_b64 v[2:5], v38 offset0:192 offset1:208
	s_waitcnt lgkmcnt(0)
	s_barrier
	buffer_gl0_inv
	v_fma_f64 v[18:19], v[42:43], v[56:57], v[18:19]
	v_fma_f64 v[16:17], v[44:45], v[56:57], v[16:17]
	v_fma_f64 v[24:25], v[42:43], v[60:61], v[24:25]
	v_fma_f64 v[20:21], v[44:45], v[60:61], v[20:21]
	v_fma_f64 v[12:13], v[42:43], v[64:65], v[12:13]
	v_fma_f64 v[10:11], v[44:45], v[64:65], v[10:11]
	v_fma_f64 v[30:31], v[2:3], v[56:57], v[26:27]
	v_fma_f64 v[26:27], v[4:5], v[56:57], v[32:33]
	v_fma_f64 v[32:33], v[2:3], v[60:61], v[48:49]
	v_fma_f64 v[28:29], v[4:5], v[60:61], v[50:51]
	v_fma_f64 v[22:23], v[2:3], v[64:65], v[22:23]
	v_fma_f64 v[14:15], v[4:5], v[64:65], v[14:15]
	v_fma_f64 v[8:9], v[2:3], v[68:69], v[52:53]
	v_fma_f64 v[6:7], v[4:5], v[68:69], v[46:47]
	v_fma_f64 v[4:5], v[42:43], v[68:69], v[54:55]
	v_fma_f64 v[2:3], v[44:45], v[68:69], v[58:59]
	s_cbranch_vccnz .LBB205_2
	s_branch .LBB205_4
.LBB205_3:
	v_mov_b32_e32 v30, 0
	v_mov_b32_e32 v26, 0
	;; [unrolled: 1-line block ×32, first 2 shown]
.LBB205_4:
	v_cmp_neq_f64_e64 s10, s[36:37], 0
	v_add_co_u32 v34, s8, s8, v1
	v_add_co_ci_u32_e64 v37, null, s9, 0, s8
	v_add_co_u32 v0, s6, s6, v0
	v_add_co_ci_u32_e64 v1, null, s7, 0, s6
	v_mul_lo_u32 v35, v37, s46
	v_mul_lo_u32 v36, v34, s47
	s_lshl_b64 s[0:1], s[48:49], 3
	v_lshlrev_b64 v[0:1], 3, v[0:1]
	s_waitcnt lgkmcnt(0)
	s_add_u32 s0, s4, s0
	s_addc_u32 s1, s5, s1
	s_and_b32 vcc_lo, exec_lo, s10
	s_cbranch_vccnz .LBB205_8
; %bb.5:
	v_mad_u64_u32 v[38:39], null, v34, s46, 0
	v_mul_f64 v[40:41], s[14:15], v[30:31]
	v_mul_f64 v[42:43], s[14:15], v[26:27]
	;; [unrolled: 1-line block ×6, first 2 shown]
	v_add3_u32 v39, v39, v36, v35
	v_mul_f64 v[52:53], s[14:15], v[24:25]
	s_lshl_b64 s[4:5], s[46:47], 7
	v_lshlrev_b64 v[38:39], 3, v[38:39]
	v_add_co_u32 v54, vcc_lo, s0, v38
	v_add_co_ci_u32_e64 v55, null, s1, v39, vcc_lo
	v_mul_f64 v[38:39], s[14:15], v[20:21]
	v_add_co_u32 v58, vcc_lo, v54, s4
	v_add_co_ci_u32_e64 v59, null, s5, v55, vcc_lo
	v_add_co_u32 v54, vcc_lo, v54, v0
	v_add_co_ci_u32_e64 v55, null, v55, v1, vcc_lo
	;; [unrolled: 2-line block ×3, first 2 shown]
	flat_store_dwordx2 v[54:55], v[40:41]
	flat_store_dwordx2 v[54:55], v[42:43] offset:128
	flat_store_dwordx2 v[54:55], v[44:45] offset:256
	;; [unrolled: 1-line block ×3, first 2 shown]
	flat_store_dwordx2 v[56:57], v[48:49]
	flat_store_dwordx2 v[56:57], v[50:51] offset:128
	flat_store_dwordx2 v[56:57], v[52:53] offset:256
	v_mul_f64 v[40:41], s[14:15], v[22:23]
	v_mul_f64 v[54:55], s[14:15], v[2:3]
	v_mul_f64 v[42:43], s[14:15], v[14:15]
	v_mul_f64 v[44:45], s[14:15], v[12:13]
	v_mul_f64 v[46:47], s[14:15], v[10:11]
	v_mul_f64 v[48:49], s[14:15], v[8:9]
	v_mul_f64 v[50:51], s[14:15], v[6:7]
	v_add_co_u32 v58, vcc_lo, v58, s4
	v_mul_f64 v[52:53], s[14:15], v[4:5]
	v_add_co_ci_u32_e64 v59, null, s5, v59, vcc_lo
	flat_store_dwordx2 v[56:57], v[38:39] offset:384
	v_add_co_u32 v56, vcc_lo, v58, s4
	v_add_co_ci_u32_e64 v57, null, s5, v59, vcc_lo
	v_add_co_u32 v38, vcc_lo, v58, v0
	v_add_co_ci_u32_e64 v39, null, v59, v1, vcc_lo
	;; [unrolled: 2-line block ×3, first 2 shown]
	flat_store_dwordx2 v[38:39], v[40:41]
	flat_store_dwordx2 v[38:39], v[42:43] offset:128
	flat_store_dwordx2 v[38:39], v[44:45] offset:256
	;; [unrolled: 1-line block ×3, first 2 shown]
	flat_store_dwordx2 v[56:57], v[48:49]
	flat_store_dwordx2 v[56:57], v[50:51] offset:128
	flat_store_dwordx2 v[56:57], v[52:53] offset:256
	;; [unrolled: 1-line block ×3, first 2 shown]
	s_cbranch_execnz .LBB205_7
.LBB205_6:
	v_mul_lo_u32 v39, v37, s40
	v_mul_lo_u32 v40, v34, s41
	v_mad_u64_u32 v[37:38], null, v34, s40, 0
	s_lshl_b64 s[4:5], s[42:43], 3
	v_mad_u64_u32 v[41:42], null, v34, s46, 0
	s_add_u32 s2, s2, s4
	s_addc_u32 s3, s3, s5
	v_add3_u32 v38, v38, v40, v39
	v_add3_u32 v42, v42, v36, v35
	v_lshlrev_b64 v[37:38], 3, v[37:38]
	v_lshlrev_b64 v[34:35], 3, v[41:42]
	v_add_co_u32 v43, vcc_lo, s2, v37
	v_add_co_ci_u32_e64 v44, null, s3, v38, vcc_lo
	s_lshl_b64 s[2:3], s[46:47], 7
	v_add_co_u32 v37, vcc_lo, v43, v0
	v_add_co_ci_u32_e64 v38, null, v44, v1, vcc_lo
	v_add_co_u32 v36, vcc_lo, s0, v34
	flat_load_dwordx2 v[39:40], v[37:38]
	s_waitcnt vmcnt(0) lgkmcnt(0)
	v_mul_f64 v[39:40], s[36:37], v[39:40]
	v_fma_f64 v[30:31], s[14:15], v[30:31], v[39:40]
	v_add_co_ci_u32_e64 v39, null, s1, v35, vcc_lo
	v_add_co_u32 v34, vcc_lo, v36, v0
	s_lshl_b64 s[0:1], s[40:41], 7
	v_add_co_ci_u32_e64 v35, null, v39, v1, vcc_lo
	flat_store_dwordx2 v[34:35], v[30:31]
	flat_load_dwordx2 v[30:31], v[37:38] offset:128
	s_waitcnt vmcnt(0) lgkmcnt(0)
	v_mul_f64 v[30:31], s[36:37], v[30:31]
	v_fma_f64 v[26:27], s[14:15], v[26:27], v[30:31]
	v_add_co_u32 v30, vcc_lo, v43, s0
	v_add_co_ci_u32_e64 v31, null, s1, v44, vcc_lo
	flat_store_dwordx2 v[34:35], v[26:27] offset:128
	flat_load_dwordx2 v[26:27], v[37:38] offset:256
	s_waitcnt vmcnt(0) lgkmcnt(0)
	v_mul_f64 v[26:27], s[36:37], v[26:27]
	v_fma_f64 v[18:19], s[14:15], v[18:19], v[26:27]
	flat_store_dwordx2 v[34:35], v[18:19] offset:256
	flat_load_dwordx2 v[18:19], v[37:38] offset:384
	s_waitcnt vmcnt(0) lgkmcnt(0)
	v_mul_f64 v[18:19], s[36:37], v[18:19]
	v_fma_f64 v[16:17], s[14:15], v[16:17], v[18:19]
	v_add_co_u32 v18, vcc_lo, v30, v0
	v_add_co_ci_u32_e64 v19, null, v31, v1, vcc_lo
	flat_store_dwordx2 v[34:35], v[16:17] offset:384
	flat_load_dwordx2 v[16:17], v[18:19]
	s_waitcnt vmcnt(0) lgkmcnt(0)
	v_mul_f64 v[16:17], s[36:37], v[16:17]
	v_fma_f64 v[16:17], s[14:15], v[32:33], v[16:17]
	v_add_co_u32 v32, vcc_lo, v36, s2
	v_add_co_ci_u32_e64 v33, null, s3, v39, vcc_lo
	v_add_co_u32 v26, vcc_lo, v32, v0
	v_add_co_ci_u32_e64 v27, null, v33, v1, vcc_lo
	flat_store_dwordx2 v[26:27], v[16:17]
	flat_load_dwordx2 v[16:17], v[18:19] offset:128
	s_waitcnt vmcnt(0) lgkmcnt(0)
	v_mul_f64 v[16:17], s[36:37], v[16:17]
	v_fma_f64 v[16:17], s[14:15], v[28:29], v[16:17]
	flat_store_dwordx2 v[26:27], v[16:17] offset:128
	flat_load_dwordx2 v[16:17], v[18:19] offset:256
	s_waitcnt vmcnt(0) lgkmcnt(0)
	v_mul_f64 v[16:17], s[36:37], v[16:17]
	v_fma_f64 v[16:17], s[14:15], v[24:25], v[16:17]
	v_add_co_u32 v24, vcc_lo, v30, s0
	v_add_co_ci_u32_e64 v25, null, s1, v31, vcc_lo
	flat_store_dwordx2 v[26:27], v[16:17] offset:256
	flat_load_dwordx2 v[16:17], v[18:19] offset:384
	v_add_co_u32 v18, vcc_lo, v24, v0
	v_add_co_ci_u32_e64 v19, null, v25, v1, vcc_lo
	s_waitcnt vmcnt(0) lgkmcnt(0)
	v_mul_f64 v[16:17], s[36:37], v[16:17]
	v_fma_f64 v[16:17], s[14:15], v[20:21], v[16:17]
	flat_store_dwordx2 v[26:27], v[16:17] offset:384
	flat_load_dwordx2 v[16:17], v[18:19]
	s_waitcnt vmcnt(0) lgkmcnt(0)
	v_mul_f64 v[16:17], s[36:37], v[16:17]
	v_fma_f64 v[16:17], s[14:15], v[22:23], v[16:17]
	v_add_co_u32 v22, vcc_lo, v32, s2
	v_add_co_ci_u32_e64 v23, null, s3, v33, vcc_lo
	v_add_co_u32 v20, vcc_lo, v22, v0
	v_add_co_ci_u32_e64 v21, null, v23, v1, vcc_lo
	flat_store_dwordx2 v[20:21], v[16:17]
	flat_load_dwordx2 v[16:17], v[18:19] offset:128
	s_waitcnt vmcnt(0) lgkmcnt(0)
	v_mul_f64 v[16:17], s[36:37], v[16:17]
	v_fma_f64 v[14:15], s[14:15], v[14:15], v[16:17]
	flat_store_dwordx2 v[20:21], v[14:15] offset:128
	flat_load_dwordx2 v[14:15], v[18:19] offset:256
	s_waitcnt vmcnt(0) lgkmcnt(0)
	v_mul_f64 v[14:15], s[36:37], v[14:15]
	v_fma_f64 v[12:13], s[14:15], v[12:13], v[14:15]
	flat_store_dwordx2 v[20:21], v[12:13] offset:256
	flat_load_dwordx2 v[12:13], v[18:19] offset:384
	s_waitcnt vmcnt(0) lgkmcnt(0)
	v_mul_f64 v[12:13], s[36:37], v[12:13]
	v_fma_f64 v[10:11], s[14:15], v[10:11], v[12:13]
	v_add_co_u32 v12, vcc_lo, v24, s0
	v_add_co_ci_u32_e64 v13, null, s1, v25, vcc_lo
	v_add_co_u32 v12, vcc_lo, v12, v0
	v_add_co_ci_u32_e64 v13, null, v13, v1, vcc_lo
	flat_store_dwordx2 v[20:21], v[10:11] offset:384
	flat_load_dwordx2 v[10:11], v[12:13]
	s_waitcnt vmcnt(0) lgkmcnt(0)
	v_mul_f64 v[10:11], s[36:37], v[10:11]
	v_fma_f64 v[8:9], s[14:15], v[8:9], v[10:11]
	v_add_co_u32 v10, vcc_lo, v22, s2
	v_add_co_ci_u32_e64 v11, null, s3, v23, vcc_lo
	v_add_co_u32 v0, vcc_lo, v10, v0
	v_add_co_ci_u32_e64 v1, null, v11, v1, vcc_lo
	flat_store_dwordx2 v[0:1], v[8:9]
	flat_load_dwordx2 v[8:9], v[12:13] offset:128
	s_waitcnt vmcnt(0) lgkmcnt(0)
	v_mul_f64 v[8:9], s[36:37], v[8:9]
	v_fma_f64 v[6:7], s[14:15], v[6:7], v[8:9]
	flat_store_dwordx2 v[0:1], v[6:7] offset:128
	flat_load_dwordx2 v[6:7], v[12:13] offset:256
	s_waitcnt vmcnt(0) lgkmcnt(0)
	v_mul_f64 v[6:7], s[36:37], v[6:7]
	v_fma_f64 v[4:5], s[14:15], v[4:5], v[6:7]
	flat_store_dwordx2 v[0:1], v[4:5] offset:256
	;; [unrolled: 5-line block ×3, first 2 shown]
.LBB205_7:
	s_endpgm
.LBB205_8:
	s_branch .LBB205_6
	.section	.rodata,"a",@progbits
	.p2align	6, 0x0
	.amdhsa_kernel _ZN12_GLOBAL__N_127rocblas_gemm_batched_kernelIdLi16ELi16ELi64ELi64ELi4ELi64ELi4ELi4ELi64ELc78ELc78EKPKdS3_KPdEEvlllT_PT11_llS8_llS6_PT12_llPT13_lli
		.amdhsa_group_segment_fixed_size 4096
		.amdhsa_private_segment_fixed_size 0
		.amdhsa_kernarg_size 140
		.amdhsa_user_sgpr_count 6
		.amdhsa_user_sgpr_private_segment_buffer 1
		.amdhsa_user_sgpr_dispatch_ptr 0
		.amdhsa_user_sgpr_queue_ptr 0
		.amdhsa_user_sgpr_kernarg_segment_ptr 1
		.amdhsa_user_sgpr_dispatch_id 0
		.amdhsa_user_sgpr_flat_scratch_init 0
		.amdhsa_user_sgpr_private_segment_size 0
		.amdhsa_wavefront_size32 1
		.amdhsa_uses_dynamic_stack 0
		.amdhsa_system_sgpr_private_segment_wavefront_offset 0
		.amdhsa_system_sgpr_workgroup_id_x 1
		.amdhsa_system_sgpr_workgroup_id_y 1
		.amdhsa_system_sgpr_workgroup_id_z 1
		.amdhsa_system_sgpr_workgroup_info 0
		.amdhsa_system_vgpr_workitem_id 1
		.amdhsa_next_free_vgpr 78
		.amdhsa_next_free_sgpr 52
		.amdhsa_reserve_vcc 1
		.amdhsa_reserve_flat_scratch 0
		.amdhsa_float_round_mode_32 0
		.amdhsa_float_round_mode_16_64 0
		.amdhsa_float_denorm_mode_32 3
		.amdhsa_float_denorm_mode_16_64 3
		.amdhsa_dx10_clamp 1
		.amdhsa_ieee_mode 1
		.amdhsa_fp16_overflow 0
		.amdhsa_workgroup_processor_mode 1
		.amdhsa_memory_ordered 1
		.amdhsa_forward_progress 1
		.amdhsa_shared_vgpr_count 0
		.amdhsa_exception_fp_ieee_invalid_op 0
		.amdhsa_exception_fp_denorm_src 0
		.amdhsa_exception_fp_ieee_div_zero 0
		.amdhsa_exception_fp_ieee_overflow 0
		.amdhsa_exception_fp_ieee_underflow 0
		.amdhsa_exception_fp_ieee_inexact 0
		.amdhsa_exception_int_div_zero 0
	.end_amdhsa_kernel
	.section	.text._ZN12_GLOBAL__N_127rocblas_gemm_batched_kernelIdLi16ELi16ELi64ELi64ELi4ELi64ELi4ELi4ELi64ELc78ELc78EKPKdS3_KPdEEvlllT_PT11_llS8_llS6_PT12_llPT13_lli,"axG",@progbits,_ZN12_GLOBAL__N_127rocblas_gemm_batched_kernelIdLi16ELi16ELi64ELi64ELi4ELi64ELi4ELi4ELi64ELc78ELc78EKPKdS3_KPdEEvlllT_PT11_llS8_llS6_PT12_llPT13_lli,comdat
.Lfunc_end205:
	.size	_ZN12_GLOBAL__N_127rocblas_gemm_batched_kernelIdLi16ELi16ELi64ELi64ELi4ELi64ELi4ELi4ELi64ELc78ELc78EKPKdS3_KPdEEvlllT_PT11_llS8_llS6_PT12_llPT13_lli, .Lfunc_end205-_ZN12_GLOBAL__N_127rocblas_gemm_batched_kernelIdLi16ELi16ELi64ELi64ELi4ELi64ELi4ELi4ELi64ELc78ELc78EKPKdS3_KPdEEvlllT_PT11_llS8_llS6_PT12_llPT13_lli
                                        ; -- End function
	.set _ZN12_GLOBAL__N_127rocblas_gemm_batched_kernelIdLi16ELi16ELi64ELi64ELi4ELi64ELi4ELi4ELi64ELc78ELc78EKPKdS3_KPdEEvlllT_PT11_llS8_llS6_PT12_llPT13_lli.num_vgpr, 78
	.set _ZN12_GLOBAL__N_127rocblas_gemm_batched_kernelIdLi16ELi16ELi64ELi64ELi4ELi64ELi4ELi4ELi64ELc78ELc78EKPKdS3_KPdEEvlllT_PT11_llS8_llS6_PT12_llPT13_lli.num_agpr, 0
	.set _ZN12_GLOBAL__N_127rocblas_gemm_batched_kernelIdLi16ELi16ELi64ELi64ELi4ELi64ELi4ELi4ELi64ELc78ELc78EKPKdS3_KPdEEvlllT_PT11_llS8_llS6_PT12_llPT13_lli.numbered_sgpr, 52
	.set _ZN12_GLOBAL__N_127rocblas_gemm_batched_kernelIdLi16ELi16ELi64ELi64ELi4ELi64ELi4ELi4ELi64ELc78ELc78EKPKdS3_KPdEEvlllT_PT11_llS8_llS6_PT12_llPT13_lli.num_named_barrier, 0
	.set _ZN12_GLOBAL__N_127rocblas_gemm_batched_kernelIdLi16ELi16ELi64ELi64ELi4ELi64ELi4ELi4ELi64ELc78ELc78EKPKdS3_KPdEEvlllT_PT11_llS8_llS6_PT12_llPT13_lli.private_seg_size, 0
	.set _ZN12_GLOBAL__N_127rocblas_gemm_batched_kernelIdLi16ELi16ELi64ELi64ELi4ELi64ELi4ELi4ELi64ELc78ELc78EKPKdS3_KPdEEvlllT_PT11_llS8_llS6_PT12_llPT13_lli.uses_vcc, 1
	.set _ZN12_GLOBAL__N_127rocblas_gemm_batched_kernelIdLi16ELi16ELi64ELi64ELi4ELi64ELi4ELi4ELi64ELc78ELc78EKPKdS3_KPdEEvlllT_PT11_llS8_llS6_PT12_llPT13_lli.uses_flat_scratch, 0
	.set _ZN12_GLOBAL__N_127rocblas_gemm_batched_kernelIdLi16ELi16ELi64ELi64ELi4ELi64ELi4ELi4ELi64ELc78ELc78EKPKdS3_KPdEEvlllT_PT11_llS8_llS6_PT12_llPT13_lli.has_dyn_sized_stack, 0
	.set _ZN12_GLOBAL__N_127rocblas_gemm_batched_kernelIdLi16ELi16ELi64ELi64ELi4ELi64ELi4ELi4ELi64ELc78ELc78EKPKdS3_KPdEEvlllT_PT11_llS8_llS6_PT12_llPT13_lli.has_recursion, 0
	.set _ZN12_GLOBAL__N_127rocblas_gemm_batched_kernelIdLi16ELi16ELi64ELi64ELi4ELi64ELi4ELi4ELi64ELc78ELc78EKPKdS3_KPdEEvlllT_PT11_llS8_llS6_PT12_llPT13_lli.has_indirect_call, 0
	.section	.AMDGPU.csdata,"",@progbits
; Kernel info:
; codeLenInByte = 2892
; TotalNumSgprs: 54
; NumVgprs: 78
; ScratchSize: 0
; MemoryBound: 0
; FloatMode: 240
; IeeeMode: 1
; LDSByteSize: 4096 bytes/workgroup (compile time only)
; SGPRBlocks: 0
; VGPRBlocks: 9
; NumSGPRsForWavesPerEU: 54
; NumVGPRsForWavesPerEU: 78
; Occupancy: 12
; WaveLimiterHint : 1
; COMPUTE_PGM_RSRC2:SCRATCH_EN: 0
; COMPUTE_PGM_RSRC2:USER_SGPR: 6
; COMPUTE_PGM_RSRC2:TRAP_HANDLER: 0
; COMPUTE_PGM_RSRC2:TGID_X_EN: 1
; COMPUTE_PGM_RSRC2:TGID_Y_EN: 1
; COMPUTE_PGM_RSRC2:TGID_Z_EN: 1
; COMPUTE_PGM_RSRC2:TIDIG_COMP_CNT: 1
	.section	.text._ZN12_GLOBAL__N_127rocblas_gemm_batched_kernelIdLi16ELi16ELi64ELi64ELi4ELi64ELi4ELi4ELi64ELc84ELc78EKPKdS3_KPdEEvlllT_PT11_llS8_llS6_PT12_llPT13_lli,"axG",@progbits,_ZN12_GLOBAL__N_127rocblas_gemm_batched_kernelIdLi16ELi16ELi64ELi64ELi4ELi64ELi4ELi4ELi64ELc84ELc78EKPKdS3_KPdEEvlllT_PT11_llS8_llS6_PT12_llPT13_lli,comdat
	.globl	_ZN12_GLOBAL__N_127rocblas_gemm_batched_kernelIdLi16ELi16ELi64ELi64ELi4ELi64ELi4ELi4ELi64ELc84ELc78EKPKdS3_KPdEEvlllT_PT11_llS8_llS6_PT12_llPT13_lli ; -- Begin function _ZN12_GLOBAL__N_127rocblas_gemm_batched_kernelIdLi16ELi16ELi64ELi64ELi4ELi64ELi4ELi4ELi64ELc84ELc78EKPKdS3_KPdEEvlllT_PT11_llS8_llS6_PT12_llPT13_lli
	.p2align	8
	.type	_ZN12_GLOBAL__N_127rocblas_gemm_batched_kernelIdLi16ELi16ELi64ELi64ELi4ELi64ELi4ELi4ELi64ELc84ELc78EKPKdS3_KPdEEvlllT_PT11_llS8_llS6_PT12_llPT13_lli,@function
_ZN12_GLOBAL__N_127rocblas_gemm_batched_kernelIdLi16ELi16ELi64ELi64ELi4ELi64ELi4ELi4ELi64ELc84ELc78EKPKdS3_KPdEEvlllT_PT11_llS8_llS6_PT12_llPT13_lli: ; @_ZN12_GLOBAL__N_127rocblas_gemm_batched_kernelIdLi16ELi16ELi64ELi64ELi4ELi64ELi4ELi4ELi64ELc84ELc78EKPKdS3_KPdEEvlllT_PT11_llS8_llS6_PT12_llPT13_lli
; %bb.0:
	s_clause 0x2
	s_load_dwordx8 s[36:43], s[4:5], 0x50
	s_load_dwordx8 s[44:51], s[4:5], 0x70
	s_load_dwordx16 s[12:27], s[4:5], 0x10
	s_mov_b32 s9, 0
	s_mov_b32 s10, s7
	s_lshl_b64 s[0:1], s[8:9], 3
	s_waitcnt lgkmcnt(0)
	s_add_u32 s2, s38, s0
	s_addc_u32 s3, s39, s1
	s_add_u32 s4, s44, s0
	s_addc_u32 s5, s45, s1
	s_load_dwordx2 s[2:3], s[2:3], 0x0
	s_load_dwordx2 s[4:5], s[4:5], 0x0
	v_cmp_lt_i64_e64 s8, s[12:13], 1
	s_ashr_i32 s7, s6, 31
	s_ashr_i32 s11, s10, 31
	s_lshl_b64 s[6:7], s[6:7], 6
	s_and_b32 vcc_lo, exec_lo, s8
	s_lshl_b64 s[8:9], s[10:11], 6
	s_cbranch_vccnz .LBB206_3
; %bb.1:
	v_lshl_add_u32 v2, v1, 4, v0
	s_add_u32 s10, s16, s0
	v_and_b32_e32 v4, 3, v0
	s_addc_u32 s11, s17, s1
	s_add_u32 s0, s22, s0
	v_lshrrev_b32_e32 v5, 2, v2
	v_and_b32_e32 v7, 63, v2
	v_lshrrev_b32_e32 v8, 6, v2
	v_lshlrev_b32_e32 v10, 3, v4
	s_addc_u32 s1, s23, s1
	v_add_co_u32 v3, s16, v5, s8
	v_add_co_ci_u32_e64 v6, null, 0, s9, s16
	v_add_co_u32 v4, s16, s6, v7
	v_mul_lo_u32 v9, s25, v3
	v_mul_lo_u32 v6, s24, v6
	v_mad_u64_u32 v[2:3], null, s24, v3, 0
	v_add_co_ci_u32_e64 v11, null, s7, 0, s16
	v_lshl_or_b32 v12, v5, 5, v10
	s_load_dwordx2 s[0:1], s[0:1], 0x0
	v_lshlrev_b32_e32 v7, 3, v7
	s_load_dwordx2 s[10:11], s[10:11], 0x0
	v_add3_u32 v3, v3, v6, v9
	v_mul_lo_u32 v6, s19, v4
	v_mul_lo_u32 v9, s18, v11
	v_mad_u64_u32 v[4:5], null, s18, v4, 0
	v_lshlrev_b64 v[2:3], 3, v[2:3]
	s_lshl_b64 s[16:17], s[26:27], 3
	v_lshl_or_b32 v38, v8, 9, v7
	v_add_nc_u32_e32 v39, 0x800, v12
	v_mov_b32_e32 v12, 0
	v_mov_b32_e32 v14, 0
	v_add3_u32 v5, v5, v9, v6
	v_add_co_u32 v6, vcc_lo, v2, s16
	v_add_co_ci_u32_e64 v7, null, s17, v3, vcc_lo
	v_lshlrev_b64 v[2:3], 3, v[4:5]
	v_add_co_u32 v4, vcc_lo, v6, v10
	s_lshl_b64 s[16:17], s[20:21], 3
	v_add_co_ci_u32_e64 v5, null, 0, v7, vcc_lo
	v_add_co_u32 v2, vcc_lo, v2, s16
	v_lshlrev_b32_e32 v6, 3, v8
	v_add_co_ci_u32_e64 v3, null, s17, v3, vcc_lo
	s_waitcnt lgkmcnt(0)
	v_add_co_u32 v34, vcc_lo, s0, v4
	v_add_co_ci_u32_e64 v35, null, s1, v5, vcc_lo
	v_add_co_u32 v36, vcc_lo, v2, v6
	v_add_co_ci_u32_e64 v37, null, 0, v3, vcc_lo
	v_mov_b32_e32 v2, 0
	v_add_co_u32 v36, vcc_lo, s10, v36
	v_mov_b32_e32 v4, 0
	v_mov_b32_e32 v6, 0
	;; [unrolled: 1-line block ×13, first 2 shown]
	v_lshlrev_b32_e32 v40, 3, v0
	v_lshl_add_u32 v41, v1, 5, 0x800
	v_mov_b32_e32 v3, 0
	v_mov_b32_e32 v5, 0
	;; [unrolled: 1-line block ×16, first 2 shown]
	v_add_co_ci_u32_e64 v37, null, s11, v37, vcc_lo
	s_mov_b64 s[10:11], 0
.LBB206_2:                              ; =>This Inner Loop Header: Depth=1
	flat_load_dwordx2 v[42:43], v[36:37]
	s_add_u32 s10, s10, 4
	s_addc_u32 s11, s11, 0
	v_add_co_u32 v36, vcc_lo, v36, 32
	v_cmp_lt_i64_e64 s0, s[10:11], s[12:13]
	v_add_co_ci_u32_e64 v37, null, 0, v37, vcc_lo
	s_and_b32 vcc_lo, exec_lo, s0
	s_waitcnt vmcnt(0) lgkmcnt(0)
	ds_write_b64 v38, v[42:43]
	flat_load_dwordx2 v[42:43], v[34:35]
	v_add_co_u32 v34, s0, v34, 32
	v_add_co_ci_u32_e64 v35, null, 0, v35, s0
	s_waitcnt vmcnt(0) lgkmcnt(0)
	ds_write_b64 v39, v[42:43]
	s_waitcnt lgkmcnt(0)
	s_barrier
	buffer_gl0_inv
	ds_read_b128 v[42:45], v41
	ds_read2_b64 v[46:49], v40 offset1:16
	ds_read_b128 v[50:53], v41 offset:512
	ds_read_b128 v[54:57], v41 offset:16
	ds_read_b128 v[58:61], v41 offset:528
	s_waitcnt lgkmcnt(3)
	v_fma_f64 v[70:71], v[46:47], v[42:43], v[30:31]
	v_fma_f64 v[72:73], v[48:49], v[42:43], v[26:27]
	s_waitcnt lgkmcnt(2)
	v_fma_f64 v[74:75], v[46:47], v[50:51], v[32:33]
	v_fma_f64 v[76:77], v[48:49], v[50:51], v[28:29]
	ds_read_b128 v[26:29], v41 offset:1024
	ds_read_b128 v[62:65], v41 offset:1040
	;; [unrolled: 1-line block ×4, first 2 shown]
	s_waitcnt lgkmcnt(3)
	v_fma_f64 v[22:23], v[46:47], v[26:27], v[22:23]
	v_fma_f64 v[14:15], v[48:49], v[26:27], v[14:15]
	s_waitcnt lgkmcnt(1)
	v_fma_f64 v[46:47], v[46:47], v[30:31], v[8:9]
	v_fma_f64 v[48:49], v[48:49], v[30:31], v[6:7]
	ds_read2_b64 v[6:9], v40 offset0:32 offset1:48
	s_waitcnt lgkmcnt(0)
	v_fma_f64 v[18:19], v[6:7], v[42:43], v[18:19]
	v_fma_f64 v[16:17], v[8:9], v[42:43], v[16:17]
	;; [unrolled: 1-line block ×8, first 2 shown]
	ds_read2_b64 v[2:5], v40 offset0:64 offset1:80
	ds_read2_b64 v[6:9], v40 offset0:96 offset1:112
	s_waitcnt lgkmcnt(1)
	v_fma_f64 v[42:43], v[2:3], v[44:45], v[70:71]
	v_fma_f64 v[50:51], v[4:5], v[44:45], v[72:73]
	s_waitcnt lgkmcnt(0)
	v_fma_f64 v[18:19], v[6:7], v[44:45], v[18:19]
	v_fma_f64 v[16:17], v[8:9], v[44:45], v[16:17]
	;; [unrolled: 1-line block ×10, first 2 shown]
	ds_read2_b64 v[2:5], v40 offset0:128 offset1:144
	v_fma_f64 v[24:25], v[6:7], v[52:53], v[24:25]
	v_fma_f64 v[20:21], v[8:9], v[52:53], v[20:21]
	;; [unrolled: 1-line block ×4, first 2 shown]
	s_waitcnt lgkmcnt(0)
	v_fma_f64 v[26:27], v[2:3], v[54:55], v[42:43]
	v_fma_f64 v[32:33], v[4:5], v[54:55], v[50:51]
	;; [unrolled: 1-line block ×8, first 2 shown]
	ds_read2_b64 v[2:5], v40 offset0:160 offset1:176
	ds_read2_b64 v[42:45], v40 offset0:224 offset1:240
	s_waitcnt lgkmcnt(1)
	v_fma_f64 v[18:19], v[2:3], v[54:55], v[18:19]
	v_fma_f64 v[16:17], v[4:5], v[54:55], v[16:17]
	;; [unrolled: 1-line block ×8, first 2 shown]
	ds_read2_b64 v[2:5], v40 offset0:192 offset1:208
	s_waitcnt lgkmcnt(0)
	s_barrier
	buffer_gl0_inv
	v_fma_f64 v[18:19], v[42:43], v[56:57], v[18:19]
	v_fma_f64 v[16:17], v[44:45], v[56:57], v[16:17]
	;; [unrolled: 1-line block ×16, first 2 shown]
	s_cbranch_vccnz .LBB206_2
	s_branch .LBB206_4
.LBB206_3:
	v_mov_b32_e32 v30, 0
	v_mov_b32_e32 v26, 0
	;; [unrolled: 1-line block ×32, first 2 shown]
.LBB206_4:
	v_cmp_neq_f64_e64 s10, s[36:37], 0
	v_add_co_u32 v34, s8, s8, v1
	v_add_co_ci_u32_e64 v37, null, s9, 0, s8
	v_add_co_u32 v0, s6, s6, v0
	v_add_co_ci_u32_e64 v1, null, s7, 0, s6
	v_mul_lo_u32 v35, v37, s46
	v_mul_lo_u32 v36, v34, s47
	s_lshl_b64 s[0:1], s[48:49], 3
	v_lshlrev_b64 v[0:1], 3, v[0:1]
	s_waitcnt lgkmcnt(0)
	s_add_u32 s0, s4, s0
	s_addc_u32 s1, s5, s1
	s_and_b32 vcc_lo, exec_lo, s10
	s_cbranch_vccnz .LBB206_8
; %bb.5:
	v_mad_u64_u32 v[38:39], null, v34, s46, 0
	v_mul_f64 v[40:41], s[14:15], v[30:31]
	v_mul_f64 v[42:43], s[14:15], v[26:27]
	;; [unrolled: 1-line block ×6, first 2 shown]
	v_add3_u32 v39, v39, v36, v35
	v_mul_f64 v[52:53], s[14:15], v[24:25]
	s_lshl_b64 s[4:5], s[46:47], 7
	v_lshlrev_b64 v[38:39], 3, v[38:39]
	v_add_co_u32 v54, vcc_lo, s0, v38
	v_add_co_ci_u32_e64 v55, null, s1, v39, vcc_lo
	v_mul_f64 v[38:39], s[14:15], v[20:21]
	v_add_co_u32 v58, vcc_lo, v54, s4
	v_add_co_ci_u32_e64 v59, null, s5, v55, vcc_lo
	v_add_co_u32 v54, vcc_lo, v54, v0
	v_add_co_ci_u32_e64 v55, null, v55, v1, vcc_lo
	;; [unrolled: 2-line block ×3, first 2 shown]
	flat_store_dwordx2 v[54:55], v[40:41]
	flat_store_dwordx2 v[54:55], v[42:43] offset:128
	flat_store_dwordx2 v[54:55], v[44:45] offset:256
	;; [unrolled: 1-line block ×3, first 2 shown]
	flat_store_dwordx2 v[56:57], v[48:49]
	flat_store_dwordx2 v[56:57], v[50:51] offset:128
	flat_store_dwordx2 v[56:57], v[52:53] offset:256
	v_mul_f64 v[40:41], s[14:15], v[22:23]
	v_mul_f64 v[54:55], s[14:15], v[2:3]
	;; [unrolled: 1-line block ×7, first 2 shown]
	v_add_co_u32 v58, vcc_lo, v58, s4
	v_mul_f64 v[52:53], s[14:15], v[4:5]
	v_add_co_ci_u32_e64 v59, null, s5, v59, vcc_lo
	flat_store_dwordx2 v[56:57], v[38:39] offset:384
	v_add_co_u32 v56, vcc_lo, v58, s4
	v_add_co_ci_u32_e64 v57, null, s5, v59, vcc_lo
	v_add_co_u32 v38, vcc_lo, v58, v0
	v_add_co_ci_u32_e64 v39, null, v59, v1, vcc_lo
	;; [unrolled: 2-line block ×3, first 2 shown]
	flat_store_dwordx2 v[38:39], v[40:41]
	flat_store_dwordx2 v[38:39], v[42:43] offset:128
	flat_store_dwordx2 v[38:39], v[44:45] offset:256
	;; [unrolled: 1-line block ×3, first 2 shown]
	flat_store_dwordx2 v[56:57], v[48:49]
	flat_store_dwordx2 v[56:57], v[50:51] offset:128
	flat_store_dwordx2 v[56:57], v[52:53] offset:256
	;; [unrolled: 1-line block ×3, first 2 shown]
	s_cbranch_execnz .LBB206_7
.LBB206_6:
	v_mul_lo_u32 v39, v37, s40
	v_mul_lo_u32 v40, v34, s41
	v_mad_u64_u32 v[37:38], null, v34, s40, 0
	s_lshl_b64 s[4:5], s[42:43], 3
	v_mad_u64_u32 v[41:42], null, v34, s46, 0
	s_add_u32 s2, s2, s4
	s_addc_u32 s3, s3, s5
	v_add3_u32 v38, v38, v40, v39
	v_add3_u32 v42, v42, v36, v35
	v_lshlrev_b64 v[37:38], 3, v[37:38]
	v_lshlrev_b64 v[34:35], 3, v[41:42]
	v_add_co_u32 v43, vcc_lo, s2, v37
	v_add_co_ci_u32_e64 v44, null, s3, v38, vcc_lo
	s_lshl_b64 s[2:3], s[46:47], 7
	v_add_co_u32 v37, vcc_lo, v43, v0
	v_add_co_ci_u32_e64 v38, null, v44, v1, vcc_lo
	v_add_co_u32 v36, vcc_lo, s0, v34
	flat_load_dwordx2 v[39:40], v[37:38]
	s_waitcnt vmcnt(0) lgkmcnt(0)
	v_mul_f64 v[39:40], s[36:37], v[39:40]
	v_fma_f64 v[30:31], s[14:15], v[30:31], v[39:40]
	v_add_co_ci_u32_e64 v39, null, s1, v35, vcc_lo
	v_add_co_u32 v34, vcc_lo, v36, v0
	s_lshl_b64 s[0:1], s[40:41], 7
	v_add_co_ci_u32_e64 v35, null, v39, v1, vcc_lo
	flat_store_dwordx2 v[34:35], v[30:31]
	flat_load_dwordx2 v[30:31], v[37:38] offset:128
	s_waitcnt vmcnt(0) lgkmcnt(0)
	v_mul_f64 v[30:31], s[36:37], v[30:31]
	v_fma_f64 v[26:27], s[14:15], v[26:27], v[30:31]
	v_add_co_u32 v30, vcc_lo, v43, s0
	v_add_co_ci_u32_e64 v31, null, s1, v44, vcc_lo
	flat_store_dwordx2 v[34:35], v[26:27] offset:128
	flat_load_dwordx2 v[26:27], v[37:38] offset:256
	s_waitcnt vmcnt(0) lgkmcnt(0)
	v_mul_f64 v[26:27], s[36:37], v[26:27]
	v_fma_f64 v[18:19], s[14:15], v[18:19], v[26:27]
	flat_store_dwordx2 v[34:35], v[18:19] offset:256
	flat_load_dwordx2 v[18:19], v[37:38] offset:384
	s_waitcnt vmcnt(0) lgkmcnt(0)
	v_mul_f64 v[18:19], s[36:37], v[18:19]
	v_fma_f64 v[16:17], s[14:15], v[16:17], v[18:19]
	v_add_co_u32 v18, vcc_lo, v30, v0
	v_add_co_ci_u32_e64 v19, null, v31, v1, vcc_lo
	flat_store_dwordx2 v[34:35], v[16:17] offset:384
	flat_load_dwordx2 v[16:17], v[18:19]
	s_waitcnt vmcnt(0) lgkmcnt(0)
	v_mul_f64 v[16:17], s[36:37], v[16:17]
	v_fma_f64 v[16:17], s[14:15], v[32:33], v[16:17]
	v_add_co_u32 v32, vcc_lo, v36, s2
	v_add_co_ci_u32_e64 v33, null, s3, v39, vcc_lo
	v_add_co_u32 v26, vcc_lo, v32, v0
	v_add_co_ci_u32_e64 v27, null, v33, v1, vcc_lo
	flat_store_dwordx2 v[26:27], v[16:17]
	flat_load_dwordx2 v[16:17], v[18:19] offset:128
	s_waitcnt vmcnt(0) lgkmcnt(0)
	v_mul_f64 v[16:17], s[36:37], v[16:17]
	v_fma_f64 v[16:17], s[14:15], v[28:29], v[16:17]
	flat_store_dwordx2 v[26:27], v[16:17] offset:128
	flat_load_dwordx2 v[16:17], v[18:19] offset:256
	s_waitcnt vmcnt(0) lgkmcnt(0)
	v_mul_f64 v[16:17], s[36:37], v[16:17]
	v_fma_f64 v[16:17], s[14:15], v[24:25], v[16:17]
	v_add_co_u32 v24, vcc_lo, v30, s0
	v_add_co_ci_u32_e64 v25, null, s1, v31, vcc_lo
	flat_store_dwordx2 v[26:27], v[16:17] offset:256
	flat_load_dwordx2 v[16:17], v[18:19] offset:384
	v_add_co_u32 v18, vcc_lo, v24, v0
	v_add_co_ci_u32_e64 v19, null, v25, v1, vcc_lo
	s_waitcnt vmcnt(0) lgkmcnt(0)
	v_mul_f64 v[16:17], s[36:37], v[16:17]
	v_fma_f64 v[16:17], s[14:15], v[20:21], v[16:17]
	flat_store_dwordx2 v[26:27], v[16:17] offset:384
	flat_load_dwordx2 v[16:17], v[18:19]
	s_waitcnt vmcnt(0) lgkmcnt(0)
	v_mul_f64 v[16:17], s[36:37], v[16:17]
	v_fma_f64 v[16:17], s[14:15], v[22:23], v[16:17]
	v_add_co_u32 v22, vcc_lo, v32, s2
	v_add_co_ci_u32_e64 v23, null, s3, v33, vcc_lo
	v_add_co_u32 v20, vcc_lo, v22, v0
	v_add_co_ci_u32_e64 v21, null, v23, v1, vcc_lo
	flat_store_dwordx2 v[20:21], v[16:17]
	flat_load_dwordx2 v[16:17], v[18:19] offset:128
	s_waitcnt vmcnt(0) lgkmcnt(0)
	v_mul_f64 v[16:17], s[36:37], v[16:17]
	v_fma_f64 v[14:15], s[14:15], v[14:15], v[16:17]
	flat_store_dwordx2 v[20:21], v[14:15] offset:128
	flat_load_dwordx2 v[14:15], v[18:19] offset:256
	s_waitcnt vmcnt(0) lgkmcnt(0)
	v_mul_f64 v[14:15], s[36:37], v[14:15]
	v_fma_f64 v[12:13], s[14:15], v[12:13], v[14:15]
	flat_store_dwordx2 v[20:21], v[12:13] offset:256
	flat_load_dwordx2 v[12:13], v[18:19] offset:384
	s_waitcnt vmcnt(0) lgkmcnt(0)
	v_mul_f64 v[12:13], s[36:37], v[12:13]
	v_fma_f64 v[10:11], s[14:15], v[10:11], v[12:13]
	v_add_co_u32 v12, vcc_lo, v24, s0
	v_add_co_ci_u32_e64 v13, null, s1, v25, vcc_lo
	v_add_co_u32 v12, vcc_lo, v12, v0
	v_add_co_ci_u32_e64 v13, null, v13, v1, vcc_lo
	flat_store_dwordx2 v[20:21], v[10:11] offset:384
	flat_load_dwordx2 v[10:11], v[12:13]
	s_waitcnt vmcnt(0) lgkmcnt(0)
	v_mul_f64 v[10:11], s[36:37], v[10:11]
	v_fma_f64 v[8:9], s[14:15], v[8:9], v[10:11]
	v_add_co_u32 v10, vcc_lo, v22, s2
	v_add_co_ci_u32_e64 v11, null, s3, v23, vcc_lo
	v_add_co_u32 v0, vcc_lo, v10, v0
	v_add_co_ci_u32_e64 v1, null, v11, v1, vcc_lo
	flat_store_dwordx2 v[0:1], v[8:9]
	flat_load_dwordx2 v[8:9], v[12:13] offset:128
	s_waitcnt vmcnt(0) lgkmcnt(0)
	v_mul_f64 v[8:9], s[36:37], v[8:9]
	v_fma_f64 v[6:7], s[14:15], v[6:7], v[8:9]
	flat_store_dwordx2 v[0:1], v[6:7] offset:128
	flat_load_dwordx2 v[6:7], v[12:13] offset:256
	s_waitcnt vmcnt(0) lgkmcnt(0)
	v_mul_f64 v[6:7], s[36:37], v[6:7]
	v_fma_f64 v[4:5], s[14:15], v[4:5], v[6:7]
	flat_store_dwordx2 v[0:1], v[4:5] offset:256
	;; [unrolled: 5-line block ×3, first 2 shown]
.LBB206_7:
	s_endpgm
.LBB206_8:
	s_branch .LBB206_6
	.section	.rodata,"a",@progbits
	.p2align	6, 0x0
	.amdhsa_kernel _ZN12_GLOBAL__N_127rocblas_gemm_batched_kernelIdLi16ELi16ELi64ELi64ELi4ELi64ELi4ELi4ELi64ELc84ELc78EKPKdS3_KPdEEvlllT_PT11_llS8_llS6_PT12_llPT13_lli
		.amdhsa_group_segment_fixed_size 4096
		.amdhsa_private_segment_fixed_size 0
		.amdhsa_kernarg_size 140
		.amdhsa_user_sgpr_count 6
		.amdhsa_user_sgpr_private_segment_buffer 1
		.amdhsa_user_sgpr_dispatch_ptr 0
		.amdhsa_user_sgpr_queue_ptr 0
		.amdhsa_user_sgpr_kernarg_segment_ptr 1
		.amdhsa_user_sgpr_dispatch_id 0
		.amdhsa_user_sgpr_flat_scratch_init 0
		.amdhsa_user_sgpr_private_segment_size 0
		.amdhsa_wavefront_size32 1
		.amdhsa_uses_dynamic_stack 0
		.amdhsa_system_sgpr_private_segment_wavefront_offset 0
		.amdhsa_system_sgpr_workgroup_id_x 1
		.amdhsa_system_sgpr_workgroup_id_y 1
		.amdhsa_system_sgpr_workgroup_id_z 1
		.amdhsa_system_sgpr_workgroup_info 0
		.amdhsa_system_vgpr_workitem_id 1
		.amdhsa_next_free_vgpr 78
		.amdhsa_next_free_sgpr 52
		.amdhsa_reserve_vcc 1
		.amdhsa_reserve_flat_scratch 0
		.amdhsa_float_round_mode_32 0
		.amdhsa_float_round_mode_16_64 0
		.amdhsa_float_denorm_mode_32 3
		.amdhsa_float_denorm_mode_16_64 3
		.amdhsa_dx10_clamp 1
		.amdhsa_ieee_mode 1
		.amdhsa_fp16_overflow 0
		.amdhsa_workgroup_processor_mode 1
		.amdhsa_memory_ordered 1
		.amdhsa_forward_progress 1
		.amdhsa_shared_vgpr_count 0
		.amdhsa_exception_fp_ieee_invalid_op 0
		.amdhsa_exception_fp_denorm_src 0
		.amdhsa_exception_fp_ieee_div_zero 0
		.amdhsa_exception_fp_ieee_overflow 0
		.amdhsa_exception_fp_ieee_underflow 0
		.amdhsa_exception_fp_ieee_inexact 0
		.amdhsa_exception_int_div_zero 0
	.end_amdhsa_kernel
	.section	.text._ZN12_GLOBAL__N_127rocblas_gemm_batched_kernelIdLi16ELi16ELi64ELi64ELi4ELi64ELi4ELi4ELi64ELc84ELc78EKPKdS3_KPdEEvlllT_PT11_llS8_llS6_PT12_llPT13_lli,"axG",@progbits,_ZN12_GLOBAL__N_127rocblas_gemm_batched_kernelIdLi16ELi16ELi64ELi64ELi4ELi64ELi4ELi4ELi64ELc84ELc78EKPKdS3_KPdEEvlllT_PT11_llS8_llS6_PT12_llPT13_lli,comdat
.Lfunc_end206:
	.size	_ZN12_GLOBAL__N_127rocblas_gemm_batched_kernelIdLi16ELi16ELi64ELi64ELi4ELi64ELi4ELi4ELi64ELc84ELc78EKPKdS3_KPdEEvlllT_PT11_llS8_llS6_PT12_llPT13_lli, .Lfunc_end206-_ZN12_GLOBAL__N_127rocblas_gemm_batched_kernelIdLi16ELi16ELi64ELi64ELi4ELi64ELi4ELi4ELi64ELc84ELc78EKPKdS3_KPdEEvlllT_PT11_llS8_llS6_PT12_llPT13_lli
                                        ; -- End function
	.set _ZN12_GLOBAL__N_127rocblas_gemm_batched_kernelIdLi16ELi16ELi64ELi64ELi4ELi64ELi4ELi4ELi64ELc84ELc78EKPKdS3_KPdEEvlllT_PT11_llS8_llS6_PT12_llPT13_lli.num_vgpr, 78
	.set _ZN12_GLOBAL__N_127rocblas_gemm_batched_kernelIdLi16ELi16ELi64ELi64ELi4ELi64ELi4ELi4ELi64ELc84ELc78EKPKdS3_KPdEEvlllT_PT11_llS8_llS6_PT12_llPT13_lli.num_agpr, 0
	.set _ZN12_GLOBAL__N_127rocblas_gemm_batched_kernelIdLi16ELi16ELi64ELi64ELi4ELi64ELi4ELi4ELi64ELc84ELc78EKPKdS3_KPdEEvlllT_PT11_llS8_llS6_PT12_llPT13_lli.numbered_sgpr, 52
	.set _ZN12_GLOBAL__N_127rocblas_gemm_batched_kernelIdLi16ELi16ELi64ELi64ELi4ELi64ELi4ELi4ELi64ELc84ELc78EKPKdS3_KPdEEvlllT_PT11_llS8_llS6_PT12_llPT13_lli.num_named_barrier, 0
	.set _ZN12_GLOBAL__N_127rocblas_gemm_batched_kernelIdLi16ELi16ELi64ELi64ELi4ELi64ELi4ELi4ELi64ELc84ELc78EKPKdS3_KPdEEvlllT_PT11_llS8_llS6_PT12_llPT13_lli.private_seg_size, 0
	.set _ZN12_GLOBAL__N_127rocblas_gemm_batched_kernelIdLi16ELi16ELi64ELi64ELi4ELi64ELi4ELi4ELi64ELc84ELc78EKPKdS3_KPdEEvlllT_PT11_llS8_llS6_PT12_llPT13_lli.uses_vcc, 1
	.set _ZN12_GLOBAL__N_127rocblas_gemm_batched_kernelIdLi16ELi16ELi64ELi64ELi4ELi64ELi4ELi4ELi64ELc84ELc78EKPKdS3_KPdEEvlllT_PT11_llS8_llS6_PT12_llPT13_lli.uses_flat_scratch, 0
	.set _ZN12_GLOBAL__N_127rocblas_gemm_batched_kernelIdLi16ELi16ELi64ELi64ELi4ELi64ELi4ELi4ELi64ELc84ELc78EKPKdS3_KPdEEvlllT_PT11_llS8_llS6_PT12_llPT13_lli.has_dyn_sized_stack, 0
	.set _ZN12_GLOBAL__N_127rocblas_gemm_batched_kernelIdLi16ELi16ELi64ELi64ELi4ELi64ELi4ELi4ELi64ELc84ELc78EKPKdS3_KPdEEvlllT_PT11_llS8_llS6_PT12_llPT13_lli.has_recursion, 0
	.set _ZN12_GLOBAL__N_127rocblas_gemm_batched_kernelIdLi16ELi16ELi64ELi64ELi4ELi64ELi4ELi4ELi64ELc84ELc78EKPKdS3_KPdEEvlllT_PT11_llS8_llS6_PT12_llPT13_lli.has_indirect_call, 0
	.section	.AMDGPU.csdata,"",@progbits
; Kernel info:
; codeLenInByte = 2932
; TotalNumSgprs: 54
; NumVgprs: 78
; ScratchSize: 0
; MemoryBound: 0
; FloatMode: 240
; IeeeMode: 1
; LDSByteSize: 4096 bytes/workgroup (compile time only)
; SGPRBlocks: 0
; VGPRBlocks: 9
; NumSGPRsForWavesPerEU: 54
; NumVGPRsForWavesPerEU: 78
; Occupancy: 12
; WaveLimiterHint : 1
; COMPUTE_PGM_RSRC2:SCRATCH_EN: 0
; COMPUTE_PGM_RSRC2:USER_SGPR: 6
; COMPUTE_PGM_RSRC2:TRAP_HANDLER: 0
; COMPUTE_PGM_RSRC2:TGID_X_EN: 1
; COMPUTE_PGM_RSRC2:TGID_Y_EN: 1
; COMPUTE_PGM_RSRC2:TGID_Z_EN: 1
; COMPUTE_PGM_RSRC2:TIDIG_COMP_CNT: 1
	.section	.text._ZN12_GLOBAL__N_127rocblas_gemm_batched_kernelIdLi16ELi16ELi64ELi64ELi4ELi64ELi4ELi4ELi64ELc78ELc84EKPKdS3_KPdEEvlllT_PT11_llS8_llS6_PT12_llPT13_lli,"axG",@progbits,_ZN12_GLOBAL__N_127rocblas_gemm_batched_kernelIdLi16ELi16ELi64ELi64ELi4ELi64ELi4ELi4ELi64ELc78ELc84EKPKdS3_KPdEEvlllT_PT11_llS8_llS6_PT12_llPT13_lli,comdat
	.globl	_ZN12_GLOBAL__N_127rocblas_gemm_batched_kernelIdLi16ELi16ELi64ELi64ELi4ELi64ELi4ELi4ELi64ELc78ELc84EKPKdS3_KPdEEvlllT_PT11_llS8_llS6_PT12_llPT13_lli ; -- Begin function _ZN12_GLOBAL__N_127rocblas_gemm_batched_kernelIdLi16ELi16ELi64ELi64ELi4ELi64ELi4ELi4ELi64ELc78ELc84EKPKdS3_KPdEEvlllT_PT11_llS8_llS6_PT12_llPT13_lli
	.p2align	8
	.type	_ZN12_GLOBAL__N_127rocblas_gemm_batched_kernelIdLi16ELi16ELi64ELi64ELi4ELi64ELi4ELi4ELi64ELc78ELc84EKPKdS3_KPdEEvlllT_PT11_llS8_llS6_PT12_llPT13_lli,@function
_ZN12_GLOBAL__N_127rocblas_gemm_batched_kernelIdLi16ELi16ELi64ELi64ELi4ELi64ELi4ELi4ELi64ELc78ELc84EKPKdS3_KPdEEvlllT_PT11_llS8_llS6_PT12_llPT13_lli: ; @_ZN12_GLOBAL__N_127rocblas_gemm_batched_kernelIdLi16ELi16ELi64ELi64ELi4ELi64ELi4ELi4ELi64ELc78ELc84EKPKdS3_KPdEEvlllT_PT11_llS8_llS6_PT12_llPT13_lli
; %bb.0:
	s_clause 0x2
	s_load_dwordx8 s[36:43], s[4:5], 0x50
	s_load_dwordx8 s[44:51], s[4:5], 0x70
	s_load_dwordx16 s[12:27], s[4:5], 0x10
	s_mov_b32 s9, 0
	s_mov_b32 s10, s7
	s_lshl_b64 s[0:1], s[8:9], 3
	v_mov_b32_e32 v3, 0
	s_waitcnt lgkmcnt(0)
	s_add_u32 s2, s38, s0
	s_addc_u32 s3, s39, s1
	s_add_u32 s4, s44, s0
	s_addc_u32 s5, s45, s1
	s_load_dwordx2 s[2:3], s[2:3], 0x0
	s_load_dwordx2 s[4:5], s[4:5], 0x0
	v_cmp_lt_i64_e64 s8, s[12:13], 1
	s_ashr_i32 s7, s6, 31
	s_ashr_i32 s11, s10, 31
	s_lshl_b64 s[6:7], s[6:7], 6
	s_and_b32 vcc_lo, exec_lo, s8
	s_lshl_b64 s[8:9], s[10:11], 6
	s_cbranch_vccnz .LBB207_3
; %bb.1:
	v_lshl_add_u32 v5, v1, 4, v0
	v_and_b32_e32 v7, 3, v0
	s_add_u32 s10, s16, s0
	s_addc_u32 s11, s17, s1
	s_add_u32 s0, s22, s0
	v_lshrrev_b32_e32 v2, 2, v5
	v_lshrrev_b32_e32 v9, 6, v5
	v_and_b32_e32 v10, 63, v5
	s_addc_u32 s1, s23, s1
	v_lshlrev_b32_e32 v11, 3, v7
	v_mad_u64_u32 v[3:4], null, s24, v7, v[2:3]
	v_mad_u64_u32 v[5:6], null, s18, v9, s[6:7]
	s_load_dwordx2 s[0:1], s[0:1], 0x0
	s_load_dwordx2 s[16:17], s[10:11], 0x0
	s_lshl_b64 s[10:11], s[26:27], 3
	v_lshlrev_b32_e32 v12, 3, v10
	v_add_co_u32 v3, vcc_lo, v3, s8
	v_mad_u64_u32 v[7:8], null, s25, v7, v[4:5]
	v_lshl_or_b32 v8, v2, 5, v11
	v_mov_b32_e32 v2, v6
	v_lshl_or_b32 v40, v9, 9, v12
	v_mov_b32_e32 v12, 0
	v_mov_b32_e32 v14, 0
	v_add_nc_u32_e32 v41, 0x800, v8
	v_add_co_ci_u32_e64 v4, null, s9, v7, vcc_lo
	v_mad_u64_u32 v[6:7], null, s19, v9, v[2:3]
	v_mov_b32_e32 v8, 0
	v_lshlrev_b64 v[2:3], 3, v[3:4]
	v_add_co_u32 v4, vcc_lo, v5, v10
	s_waitcnt lgkmcnt(0)
	s_add_u32 s0, s0, s10
	s_addc_u32 s1, s1, s11
	v_add_co_ci_u32_e64 v5, null, 0, v6, vcc_lo
	v_add_co_u32 v34, vcc_lo, s0, v2
	v_add_co_ci_u32_e64 v35, null, s1, v3, vcc_lo
	v_lshlrev_b64 v[36:37], 3, v[4:5]
	s_lshl_b64 s[0:1], s[20:21], 3
	s_lshl_b64 s[10:11], s[24:25], 5
	s_add_u32 s0, s16, s0
	s_addc_u32 s1, s17, s1
	v_mov_b32_e32 v2, 0
	v_add_co_u32 v36, vcc_lo, s0, v36
	v_mov_b32_e32 v4, 0
	v_mov_b32_e32 v6, 0
	;; [unrolled: 1-line block ×12, first 2 shown]
	v_lshlrev_b32_e32 v38, 3, v0
	v_lshl_add_u32 v39, v1, 5, 0x800
	v_mov_b32_e32 v3, 0
	v_mov_b32_e32 v5, 0
	;; [unrolled: 1-line block ×16, first 2 shown]
	v_add_co_ci_u32_e64 v37, null, s1, v37, vcc_lo
	s_lshl_b64 s[16:17], s[18:19], 5
	s_mov_b64 s[18:19], 0
.LBB207_2:                              ; =>This Inner Loop Header: Depth=1
	flat_load_dwordx2 v[42:43], v[36:37]
	s_add_u32 s18, s18, 4
	s_addc_u32 s19, s19, 0
	v_add_co_u32 v36, vcc_lo, v36, s16
	v_cmp_lt_i64_e64 s0, s[18:19], s[12:13]
	v_add_co_ci_u32_e64 v37, null, s17, v37, vcc_lo
	s_and_b32 vcc_lo, exec_lo, s0
	s_waitcnt vmcnt(0) lgkmcnt(0)
	ds_write_b64 v40, v[42:43]
	flat_load_dwordx2 v[42:43], v[34:35]
	v_add_co_u32 v34, s0, v34, s10
	v_add_co_ci_u32_e64 v35, null, s11, v35, s0
	s_waitcnt vmcnt(0) lgkmcnt(0)
	ds_write_b64 v41, v[42:43]
	s_waitcnt lgkmcnt(0)
	s_barrier
	buffer_gl0_inv
	ds_read_b128 v[42:45], v39
	ds_read2_b64 v[46:49], v38 offset1:16
	ds_read_b128 v[50:53], v39 offset:512
	ds_read_b128 v[54:57], v39 offset:16
	;; [unrolled: 1-line block ×3, first 2 shown]
	s_waitcnt lgkmcnt(3)
	v_fma_f64 v[70:71], v[46:47], v[42:43], v[30:31]
	v_fma_f64 v[72:73], v[48:49], v[42:43], v[26:27]
	s_waitcnt lgkmcnt(2)
	v_fma_f64 v[74:75], v[46:47], v[50:51], v[32:33]
	v_fma_f64 v[76:77], v[48:49], v[50:51], v[28:29]
	ds_read_b128 v[26:29], v39 offset:1024
	ds_read_b128 v[62:65], v39 offset:1040
	ds_read_b128 v[30:33], v39 offset:1536
	ds_read_b128 v[66:69], v39 offset:1552
	s_waitcnt lgkmcnt(3)
	v_fma_f64 v[22:23], v[46:47], v[26:27], v[22:23]
	v_fma_f64 v[14:15], v[48:49], v[26:27], v[14:15]
	s_waitcnt lgkmcnt(1)
	v_fma_f64 v[46:47], v[46:47], v[30:31], v[8:9]
	v_fma_f64 v[48:49], v[48:49], v[30:31], v[6:7]
	ds_read2_b64 v[6:9], v38 offset0:32 offset1:48
	s_waitcnt lgkmcnt(0)
	v_fma_f64 v[18:19], v[6:7], v[42:43], v[18:19]
	v_fma_f64 v[16:17], v[8:9], v[42:43], v[16:17]
	;; [unrolled: 1-line block ×8, first 2 shown]
	ds_read2_b64 v[2:5], v38 offset0:64 offset1:80
	ds_read2_b64 v[6:9], v38 offset0:96 offset1:112
	s_waitcnt lgkmcnt(1)
	v_fma_f64 v[42:43], v[2:3], v[44:45], v[70:71]
	v_fma_f64 v[50:51], v[4:5], v[44:45], v[72:73]
	s_waitcnt lgkmcnt(0)
	v_fma_f64 v[18:19], v[6:7], v[44:45], v[18:19]
	v_fma_f64 v[16:17], v[8:9], v[44:45], v[16:17]
	;; [unrolled: 1-line block ×10, first 2 shown]
	ds_read2_b64 v[2:5], v38 offset0:128 offset1:144
	v_fma_f64 v[24:25], v[6:7], v[52:53], v[24:25]
	v_fma_f64 v[20:21], v[8:9], v[52:53], v[20:21]
	;; [unrolled: 1-line block ×4, first 2 shown]
	s_waitcnt lgkmcnt(0)
	v_fma_f64 v[26:27], v[2:3], v[54:55], v[42:43]
	v_fma_f64 v[32:33], v[4:5], v[54:55], v[50:51]
	;; [unrolled: 1-line block ×8, first 2 shown]
	ds_read2_b64 v[2:5], v38 offset0:160 offset1:176
	ds_read2_b64 v[42:45], v38 offset0:224 offset1:240
	s_waitcnt lgkmcnt(1)
	v_fma_f64 v[18:19], v[2:3], v[54:55], v[18:19]
	v_fma_f64 v[16:17], v[4:5], v[54:55], v[16:17]
	;; [unrolled: 1-line block ×8, first 2 shown]
	ds_read2_b64 v[2:5], v38 offset0:192 offset1:208
	s_waitcnt lgkmcnt(0)
	s_barrier
	buffer_gl0_inv
	v_fma_f64 v[18:19], v[42:43], v[56:57], v[18:19]
	v_fma_f64 v[16:17], v[44:45], v[56:57], v[16:17]
	;; [unrolled: 1-line block ×16, first 2 shown]
	s_cbranch_vccnz .LBB207_2
	s_branch .LBB207_4
.LBB207_3:
	v_mov_b32_e32 v30, 0
	v_mov_b32_e32 v26, 0
	;; [unrolled: 1-line block ×32, first 2 shown]
.LBB207_4:
	v_cmp_neq_f64_e64 s10, s[36:37], 0
	v_add_co_u32 v34, s8, s8, v1
	v_add_co_ci_u32_e64 v37, null, s9, 0, s8
	v_add_co_u32 v0, s6, s6, v0
	v_add_co_ci_u32_e64 v1, null, s7, 0, s6
	v_mul_lo_u32 v35, v37, s46
	v_mul_lo_u32 v36, v34, s47
	s_lshl_b64 s[0:1], s[48:49], 3
	v_lshlrev_b64 v[0:1], 3, v[0:1]
	s_waitcnt lgkmcnt(0)
	s_add_u32 s0, s4, s0
	s_addc_u32 s1, s5, s1
	s_and_b32 vcc_lo, exec_lo, s10
	s_cbranch_vccnz .LBB207_8
; %bb.5:
	v_mad_u64_u32 v[38:39], null, v34, s46, 0
	v_mul_f64 v[40:41], s[14:15], v[30:31]
	v_mul_f64 v[42:43], s[14:15], v[26:27]
	;; [unrolled: 1-line block ×6, first 2 shown]
	v_add3_u32 v39, v39, v36, v35
	v_mul_f64 v[52:53], s[14:15], v[24:25]
	s_lshl_b64 s[4:5], s[46:47], 7
	v_lshlrev_b64 v[38:39], 3, v[38:39]
	v_add_co_u32 v54, vcc_lo, s0, v38
	v_add_co_ci_u32_e64 v55, null, s1, v39, vcc_lo
	v_mul_f64 v[38:39], s[14:15], v[20:21]
	v_add_co_u32 v58, vcc_lo, v54, s4
	v_add_co_ci_u32_e64 v59, null, s5, v55, vcc_lo
	v_add_co_u32 v54, vcc_lo, v54, v0
	v_add_co_ci_u32_e64 v55, null, v55, v1, vcc_lo
	;; [unrolled: 2-line block ×3, first 2 shown]
	flat_store_dwordx2 v[54:55], v[40:41]
	flat_store_dwordx2 v[54:55], v[42:43] offset:128
	flat_store_dwordx2 v[54:55], v[44:45] offset:256
	;; [unrolled: 1-line block ×3, first 2 shown]
	flat_store_dwordx2 v[56:57], v[48:49]
	flat_store_dwordx2 v[56:57], v[50:51] offset:128
	flat_store_dwordx2 v[56:57], v[52:53] offset:256
	v_mul_f64 v[40:41], s[14:15], v[22:23]
	v_mul_f64 v[54:55], s[14:15], v[2:3]
	;; [unrolled: 1-line block ×7, first 2 shown]
	v_add_co_u32 v58, vcc_lo, v58, s4
	v_mul_f64 v[52:53], s[14:15], v[4:5]
	v_add_co_ci_u32_e64 v59, null, s5, v59, vcc_lo
	flat_store_dwordx2 v[56:57], v[38:39] offset:384
	v_add_co_u32 v56, vcc_lo, v58, s4
	v_add_co_ci_u32_e64 v57, null, s5, v59, vcc_lo
	v_add_co_u32 v38, vcc_lo, v58, v0
	v_add_co_ci_u32_e64 v39, null, v59, v1, vcc_lo
	;; [unrolled: 2-line block ×3, first 2 shown]
	flat_store_dwordx2 v[38:39], v[40:41]
	flat_store_dwordx2 v[38:39], v[42:43] offset:128
	flat_store_dwordx2 v[38:39], v[44:45] offset:256
	;; [unrolled: 1-line block ×3, first 2 shown]
	flat_store_dwordx2 v[56:57], v[48:49]
	flat_store_dwordx2 v[56:57], v[50:51] offset:128
	flat_store_dwordx2 v[56:57], v[52:53] offset:256
	;; [unrolled: 1-line block ×3, first 2 shown]
	s_cbranch_execnz .LBB207_7
.LBB207_6:
	v_mul_lo_u32 v39, v37, s40
	v_mul_lo_u32 v40, v34, s41
	v_mad_u64_u32 v[37:38], null, v34, s40, 0
	s_lshl_b64 s[4:5], s[42:43], 3
	v_mad_u64_u32 v[41:42], null, v34, s46, 0
	s_add_u32 s2, s2, s4
	s_addc_u32 s3, s3, s5
	v_add3_u32 v38, v38, v40, v39
	v_add3_u32 v42, v42, v36, v35
	v_lshlrev_b64 v[37:38], 3, v[37:38]
	v_lshlrev_b64 v[34:35], 3, v[41:42]
	v_add_co_u32 v43, vcc_lo, s2, v37
	v_add_co_ci_u32_e64 v44, null, s3, v38, vcc_lo
	s_lshl_b64 s[2:3], s[46:47], 7
	v_add_co_u32 v37, vcc_lo, v43, v0
	v_add_co_ci_u32_e64 v38, null, v44, v1, vcc_lo
	v_add_co_u32 v36, vcc_lo, s0, v34
	flat_load_dwordx2 v[39:40], v[37:38]
	s_waitcnt vmcnt(0) lgkmcnt(0)
	v_mul_f64 v[39:40], s[36:37], v[39:40]
	v_fma_f64 v[30:31], s[14:15], v[30:31], v[39:40]
	v_add_co_ci_u32_e64 v39, null, s1, v35, vcc_lo
	v_add_co_u32 v34, vcc_lo, v36, v0
	s_lshl_b64 s[0:1], s[40:41], 7
	v_add_co_ci_u32_e64 v35, null, v39, v1, vcc_lo
	flat_store_dwordx2 v[34:35], v[30:31]
	flat_load_dwordx2 v[30:31], v[37:38] offset:128
	s_waitcnt vmcnt(0) lgkmcnt(0)
	v_mul_f64 v[30:31], s[36:37], v[30:31]
	v_fma_f64 v[26:27], s[14:15], v[26:27], v[30:31]
	v_add_co_u32 v30, vcc_lo, v43, s0
	v_add_co_ci_u32_e64 v31, null, s1, v44, vcc_lo
	flat_store_dwordx2 v[34:35], v[26:27] offset:128
	flat_load_dwordx2 v[26:27], v[37:38] offset:256
	s_waitcnt vmcnt(0) lgkmcnt(0)
	v_mul_f64 v[26:27], s[36:37], v[26:27]
	v_fma_f64 v[18:19], s[14:15], v[18:19], v[26:27]
	flat_store_dwordx2 v[34:35], v[18:19] offset:256
	flat_load_dwordx2 v[18:19], v[37:38] offset:384
	s_waitcnt vmcnt(0) lgkmcnt(0)
	v_mul_f64 v[18:19], s[36:37], v[18:19]
	v_fma_f64 v[16:17], s[14:15], v[16:17], v[18:19]
	v_add_co_u32 v18, vcc_lo, v30, v0
	v_add_co_ci_u32_e64 v19, null, v31, v1, vcc_lo
	flat_store_dwordx2 v[34:35], v[16:17] offset:384
	flat_load_dwordx2 v[16:17], v[18:19]
	s_waitcnt vmcnt(0) lgkmcnt(0)
	v_mul_f64 v[16:17], s[36:37], v[16:17]
	v_fma_f64 v[16:17], s[14:15], v[32:33], v[16:17]
	v_add_co_u32 v32, vcc_lo, v36, s2
	v_add_co_ci_u32_e64 v33, null, s3, v39, vcc_lo
	v_add_co_u32 v26, vcc_lo, v32, v0
	v_add_co_ci_u32_e64 v27, null, v33, v1, vcc_lo
	flat_store_dwordx2 v[26:27], v[16:17]
	flat_load_dwordx2 v[16:17], v[18:19] offset:128
	s_waitcnt vmcnt(0) lgkmcnt(0)
	v_mul_f64 v[16:17], s[36:37], v[16:17]
	v_fma_f64 v[16:17], s[14:15], v[28:29], v[16:17]
	flat_store_dwordx2 v[26:27], v[16:17] offset:128
	flat_load_dwordx2 v[16:17], v[18:19] offset:256
	s_waitcnt vmcnt(0) lgkmcnt(0)
	v_mul_f64 v[16:17], s[36:37], v[16:17]
	v_fma_f64 v[16:17], s[14:15], v[24:25], v[16:17]
	v_add_co_u32 v24, vcc_lo, v30, s0
	v_add_co_ci_u32_e64 v25, null, s1, v31, vcc_lo
	flat_store_dwordx2 v[26:27], v[16:17] offset:256
	flat_load_dwordx2 v[16:17], v[18:19] offset:384
	v_add_co_u32 v18, vcc_lo, v24, v0
	v_add_co_ci_u32_e64 v19, null, v25, v1, vcc_lo
	s_waitcnt vmcnt(0) lgkmcnt(0)
	v_mul_f64 v[16:17], s[36:37], v[16:17]
	v_fma_f64 v[16:17], s[14:15], v[20:21], v[16:17]
	flat_store_dwordx2 v[26:27], v[16:17] offset:384
	flat_load_dwordx2 v[16:17], v[18:19]
	s_waitcnt vmcnt(0) lgkmcnt(0)
	v_mul_f64 v[16:17], s[36:37], v[16:17]
	v_fma_f64 v[16:17], s[14:15], v[22:23], v[16:17]
	v_add_co_u32 v22, vcc_lo, v32, s2
	v_add_co_ci_u32_e64 v23, null, s3, v33, vcc_lo
	v_add_co_u32 v20, vcc_lo, v22, v0
	v_add_co_ci_u32_e64 v21, null, v23, v1, vcc_lo
	flat_store_dwordx2 v[20:21], v[16:17]
	flat_load_dwordx2 v[16:17], v[18:19] offset:128
	s_waitcnt vmcnt(0) lgkmcnt(0)
	v_mul_f64 v[16:17], s[36:37], v[16:17]
	v_fma_f64 v[14:15], s[14:15], v[14:15], v[16:17]
	flat_store_dwordx2 v[20:21], v[14:15] offset:128
	flat_load_dwordx2 v[14:15], v[18:19] offset:256
	s_waitcnt vmcnt(0) lgkmcnt(0)
	v_mul_f64 v[14:15], s[36:37], v[14:15]
	v_fma_f64 v[12:13], s[14:15], v[12:13], v[14:15]
	flat_store_dwordx2 v[20:21], v[12:13] offset:256
	flat_load_dwordx2 v[12:13], v[18:19] offset:384
	s_waitcnt vmcnt(0) lgkmcnt(0)
	v_mul_f64 v[12:13], s[36:37], v[12:13]
	v_fma_f64 v[10:11], s[14:15], v[10:11], v[12:13]
	v_add_co_u32 v12, vcc_lo, v24, s0
	v_add_co_ci_u32_e64 v13, null, s1, v25, vcc_lo
	v_add_co_u32 v12, vcc_lo, v12, v0
	v_add_co_ci_u32_e64 v13, null, v13, v1, vcc_lo
	flat_store_dwordx2 v[20:21], v[10:11] offset:384
	flat_load_dwordx2 v[10:11], v[12:13]
	s_waitcnt vmcnt(0) lgkmcnt(0)
	v_mul_f64 v[10:11], s[36:37], v[10:11]
	v_fma_f64 v[8:9], s[14:15], v[8:9], v[10:11]
	v_add_co_u32 v10, vcc_lo, v22, s2
	v_add_co_ci_u32_e64 v11, null, s3, v23, vcc_lo
	v_add_co_u32 v0, vcc_lo, v10, v0
	v_add_co_ci_u32_e64 v1, null, v11, v1, vcc_lo
	flat_store_dwordx2 v[0:1], v[8:9]
	flat_load_dwordx2 v[8:9], v[12:13] offset:128
	s_waitcnt vmcnt(0) lgkmcnt(0)
	v_mul_f64 v[8:9], s[36:37], v[8:9]
	v_fma_f64 v[6:7], s[14:15], v[6:7], v[8:9]
	flat_store_dwordx2 v[0:1], v[6:7] offset:128
	flat_load_dwordx2 v[6:7], v[12:13] offset:256
	s_waitcnt vmcnt(0) lgkmcnt(0)
	v_mul_f64 v[6:7], s[36:37], v[6:7]
	v_fma_f64 v[4:5], s[14:15], v[4:5], v[6:7]
	flat_store_dwordx2 v[0:1], v[4:5] offset:256
	;; [unrolled: 5-line block ×3, first 2 shown]
.LBB207_7:
	s_endpgm
.LBB207_8:
	s_branch .LBB207_6
	.section	.rodata,"a",@progbits
	.p2align	6, 0x0
	.amdhsa_kernel _ZN12_GLOBAL__N_127rocblas_gemm_batched_kernelIdLi16ELi16ELi64ELi64ELi4ELi64ELi4ELi4ELi64ELc78ELc84EKPKdS3_KPdEEvlllT_PT11_llS8_llS6_PT12_llPT13_lli
		.amdhsa_group_segment_fixed_size 4096
		.amdhsa_private_segment_fixed_size 0
		.amdhsa_kernarg_size 140
		.amdhsa_user_sgpr_count 6
		.amdhsa_user_sgpr_private_segment_buffer 1
		.amdhsa_user_sgpr_dispatch_ptr 0
		.amdhsa_user_sgpr_queue_ptr 0
		.amdhsa_user_sgpr_kernarg_segment_ptr 1
		.amdhsa_user_sgpr_dispatch_id 0
		.amdhsa_user_sgpr_flat_scratch_init 0
		.amdhsa_user_sgpr_private_segment_size 0
		.amdhsa_wavefront_size32 1
		.amdhsa_uses_dynamic_stack 0
		.amdhsa_system_sgpr_private_segment_wavefront_offset 0
		.amdhsa_system_sgpr_workgroup_id_x 1
		.amdhsa_system_sgpr_workgroup_id_y 1
		.amdhsa_system_sgpr_workgroup_id_z 1
		.amdhsa_system_sgpr_workgroup_info 0
		.amdhsa_system_vgpr_workitem_id 1
		.amdhsa_next_free_vgpr 78
		.amdhsa_next_free_sgpr 52
		.amdhsa_reserve_vcc 1
		.amdhsa_reserve_flat_scratch 0
		.amdhsa_float_round_mode_32 0
		.amdhsa_float_round_mode_16_64 0
		.amdhsa_float_denorm_mode_32 3
		.amdhsa_float_denorm_mode_16_64 3
		.amdhsa_dx10_clamp 1
		.amdhsa_ieee_mode 1
		.amdhsa_fp16_overflow 0
		.amdhsa_workgroup_processor_mode 1
		.amdhsa_memory_ordered 1
		.amdhsa_forward_progress 1
		.amdhsa_shared_vgpr_count 0
		.amdhsa_exception_fp_ieee_invalid_op 0
		.amdhsa_exception_fp_denorm_src 0
		.amdhsa_exception_fp_ieee_div_zero 0
		.amdhsa_exception_fp_ieee_overflow 0
		.amdhsa_exception_fp_ieee_underflow 0
		.amdhsa_exception_fp_ieee_inexact 0
		.amdhsa_exception_int_div_zero 0
	.end_amdhsa_kernel
	.section	.text._ZN12_GLOBAL__N_127rocblas_gemm_batched_kernelIdLi16ELi16ELi64ELi64ELi4ELi64ELi4ELi4ELi64ELc78ELc84EKPKdS3_KPdEEvlllT_PT11_llS8_llS6_PT12_llPT13_lli,"axG",@progbits,_ZN12_GLOBAL__N_127rocblas_gemm_batched_kernelIdLi16ELi16ELi64ELi64ELi4ELi64ELi4ELi4ELi64ELc78ELc84EKPKdS3_KPdEEvlllT_PT11_llS8_llS6_PT12_llPT13_lli,comdat
.Lfunc_end207:
	.size	_ZN12_GLOBAL__N_127rocblas_gemm_batched_kernelIdLi16ELi16ELi64ELi64ELi4ELi64ELi4ELi4ELi64ELc78ELc84EKPKdS3_KPdEEvlllT_PT11_llS8_llS6_PT12_llPT13_lli, .Lfunc_end207-_ZN12_GLOBAL__N_127rocblas_gemm_batched_kernelIdLi16ELi16ELi64ELi64ELi4ELi64ELi4ELi4ELi64ELc78ELc84EKPKdS3_KPdEEvlllT_PT11_llS8_llS6_PT12_llPT13_lli
                                        ; -- End function
	.set _ZN12_GLOBAL__N_127rocblas_gemm_batched_kernelIdLi16ELi16ELi64ELi64ELi4ELi64ELi4ELi4ELi64ELc78ELc84EKPKdS3_KPdEEvlllT_PT11_llS8_llS6_PT12_llPT13_lli.num_vgpr, 78
	.set _ZN12_GLOBAL__N_127rocblas_gemm_batched_kernelIdLi16ELi16ELi64ELi64ELi4ELi64ELi4ELi4ELi64ELc78ELc84EKPKdS3_KPdEEvlllT_PT11_llS8_llS6_PT12_llPT13_lli.num_agpr, 0
	.set _ZN12_GLOBAL__N_127rocblas_gemm_batched_kernelIdLi16ELi16ELi64ELi64ELi4ELi64ELi4ELi4ELi64ELc78ELc84EKPKdS3_KPdEEvlllT_PT11_llS8_llS6_PT12_llPT13_lli.numbered_sgpr, 52
	.set _ZN12_GLOBAL__N_127rocblas_gemm_batched_kernelIdLi16ELi16ELi64ELi64ELi4ELi64ELi4ELi4ELi64ELc78ELc84EKPKdS3_KPdEEvlllT_PT11_llS8_llS6_PT12_llPT13_lli.num_named_barrier, 0
	.set _ZN12_GLOBAL__N_127rocblas_gemm_batched_kernelIdLi16ELi16ELi64ELi64ELi4ELi64ELi4ELi4ELi64ELc78ELc84EKPKdS3_KPdEEvlllT_PT11_llS8_llS6_PT12_llPT13_lli.private_seg_size, 0
	.set _ZN12_GLOBAL__N_127rocblas_gemm_batched_kernelIdLi16ELi16ELi64ELi64ELi4ELi64ELi4ELi4ELi64ELc78ELc84EKPKdS3_KPdEEvlllT_PT11_llS8_llS6_PT12_llPT13_lli.uses_vcc, 1
	.set _ZN12_GLOBAL__N_127rocblas_gemm_batched_kernelIdLi16ELi16ELi64ELi64ELi4ELi64ELi4ELi4ELi64ELc78ELc84EKPKdS3_KPdEEvlllT_PT11_llS8_llS6_PT12_llPT13_lli.uses_flat_scratch, 0
	.set _ZN12_GLOBAL__N_127rocblas_gemm_batched_kernelIdLi16ELi16ELi64ELi64ELi4ELi64ELi4ELi4ELi64ELc78ELc84EKPKdS3_KPdEEvlllT_PT11_llS8_llS6_PT12_llPT13_lli.has_dyn_sized_stack, 0
	.set _ZN12_GLOBAL__N_127rocblas_gemm_batched_kernelIdLi16ELi16ELi64ELi64ELi4ELi64ELi4ELi4ELi64ELc78ELc84EKPKdS3_KPdEEvlllT_PT11_llS8_llS6_PT12_llPT13_lli.has_recursion, 0
	.set _ZN12_GLOBAL__N_127rocblas_gemm_batched_kernelIdLi16ELi16ELi64ELi64ELi4ELi64ELi4ELi4ELi64ELc78ELc84EKPKdS3_KPdEEvlllT_PT11_llS8_llS6_PT12_llPT13_lli.has_indirect_call, 0
	.section	.AMDGPU.csdata,"",@progbits
; Kernel info:
; codeLenInByte = 2864
; TotalNumSgprs: 54
; NumVgprs: 78
; ScratchSize: 0
; MemoryBound: 0
; FloatMode: 240
; IeeeMode: 1
; LDSByteSize: 4096 bytes/workgroup (compile time only)
; SGPRBlocks: 0
; VGPRBlocks: 9
; NumSGPRsForWavesPerEU: 54
; NumVGPRsForWavesPerEU: 78
; Occupancy: 12
; WaveLimiterHint : 1
; COMPUTE_PGM_RSRC2:SCRATCH_EN: 0
; COMPUTE_PGM_RSRC2:USER_SGPR: 6
; COMPUTE_PGM_RSRC2:TRAP_HANDLER: 0
; COMPUTE_PGM_RSRC2:TGID_X_EN: 1
; COMPUTE_PGM_RSRC2:TGID_Y_EN: 1
; COMPUTE_PGM_RSRC2:TGID_Z_EN: 1
; COMPUTE_PGM_RSRC2:TIDIG_COMP_CNT: 1
	.section	.text._ZN12_GLOBAL__N_127rocblas_gemm_batched_kernelIdLi16ELi16ELi64ELi64ELi4ELi64ELi4ELi4ELi64ELc84ELc84EKPKdS3_KPdEEvlllT_PT11_llS8_llS6_PT12_llPT13_lli,"axG",@progbits,_ZN12_GLOBAL__N_127rocblas_gemm_batched_kernelIdLi16ELi16ELi64ELi64ELi4ELi64ELi4ELi4ELi64ELc84ELc84EKPKdS3_KPdEEvlllT_PT11_llS8_llS6_PT12_llPT13_lli,comdat
	.globl	_ZN12_GLOBAL__N_127rocblas_gemm_batched_kernelIdLi16ELi16ELi64ELi64ELi4ELi64ELi4ELi4ELi64ELc84ELc84EKPKdS3_KPdEEvlllT_PT11_llS8_llS6_PT12_llPT13_lli ; -- Begin function _ZN12_GLOBAL__N_127rocblas_gemm_batched_kernelIdLi16ELi16ELi64ELi64ELi4ELi64ELi4ELi4ELi64ELc84ELc84EKPKdS3_KPdEEvlllT_PT11_llS8_llS6_PT12_llPT13_lli
	.p2align	8
	.type	_ZN12_GLOBAL__N_127rocblas_gemm_batched_kernelIdLi16ELi16ELi64ELi64ELi4ELi64ELi4ELi4ELi64ELc84ELc84EKPKdS3_KPdEEvlllT_PT11_llS8_llS6_PT12_llPT13_lli,@function
_ZN12_GLOBAL__N_127rocblas_gemm_batched_kernelIdLi16ELi16ELi64ELi64ELi4ELi64ELi4ELi4ELi64ELc84ELc84EKPKdS3_KPdEEvlllT_PT11_llS8_llS6_PT12_llPT13_lli: ; @_ZN12_GLOBAL__N_127rocblas_gemm_batched_kernelIdLi16ELi16ELi64ELi64ELi4ELi64ELi4ELi4ELi64ELc84ELc84EKPKdS3_KPdEEvlllT_PT11_llS8_llS6_PT12_llPT13_lli
; %bb.0:
	s_clause 0x2
	s_load_dwordx8 s[36:43], s[4:5], 0x50
	s_load_dwordx8 s[44:51], s[4:5], 0x70
	s_load_dwordx16 s[12:27], s[4:5], 0x10
	s_mov_b32 s9, 0
	s_mov_b32 s10, s7
	s_lshl_b64 s[0:1], s[8:9], 3
	v_mov_b32_e32 v3, 0
	s_waitcnt lgkmcnt(0)
	s_add_u32 s2, s38, s0
	s_addc_u32 s3, s39, s1
	s_add_u32 s4, s44, s0
	s_addc_u32 s5, s45, s1
	s_load_dwordx2 s[2:3], s[2:3], 0x0
	s_load_dwordx2 s[4:5], s[4:5], 0x0
	v_cmp_lt_i64_e64 s8, s[12:13], 1
	s_ashr_i32 s7, s6, 31
	s_ashr_i32 s11, s10, 31
	s_lshl_b64 s[6:7], s[6:7], 6
	s_and_b32 vcc_lo, exec_lo, s8
	s_lshl_b64 s[8:9], s[10:11], 6
	s_cbranch_vccnz .LBB208_3
; %bb.1:
	v_lshl_add_u32 v5, v1, 4, v0
	s_add_u32 s10, s16, s0
	v_and_b32_e32 v7, 3, v0
	s_addc_u32 s11, s17, s1
	s_add_u32 s0, s22, s0
	v_and_b32_e32 v8, 63, v5
	v_lshrrev_b32_e32 v2, 2, v5
	s_addc_u32 s1, s23, s1
	v_lshrrev_b32_e32 v10, 6, v5
	s_load_dwordx2 s[0:1], s[0:1], 0x0
	v_add_co_u32 v6, s16, s6, v8
	v_mad_u64_u32 v[3:4], null, s24, v7, v[2:3]
	v_add_co_ci_u32_e64 v9, null, s7, 0, s16
	v_mul_lo_u32 v12, s19, v6
	v_mad_u64_u32 v[5:6], null, s18, v6, 0
	v_lshlrev_b32_e32 v11, 3, v7
	v_mul_lo_u32 v9, s18, v9
	v_lshlrev_b32_e32 v13, 3, v8
	s_load_dwordx2 s[10:11], s[10:11], 0x0
	s_lshl_b64 s[16:17], s[26:27], 3
	v_lshl_or_b32 v2, v2, 5, v11
	v_mad_u64_u32 v[7:8], null, s25, v7, v[4:5]
	v_lshl_or_b32 v38, v10, 9, v13
	v_add3_u32 v6, v6, v9, v12
	v_add_nc_u32_e32 v39, 0x800, v2
	v_add_co_u32 v2, vcc_lo, v3, s8
	s_waitcnt lgkmcnt(0)
	s_add_u32 s16, s0, s16
	v_add_co_ci_u32_e64 v3, null, s9, v7, vcc_lo
	v_lshlrev_b64 v[4:5], 3, v[5:6]
	s_addc_u32 s17, s1, s17
	s_lshl_b64 s[0:1], s[20:21], 3
	v_lshlrev_b64 v[2:3], 3, v[2:3]
	v_lshlrev_b32_e32 v6, 3, v10
	v_mov_b32_e32 v8, 0
	v_add_co_u32 v4, vcc_lo, v4, s0
	v_add_co_ci_u32_e64 v5, null, s1, v5, vcc_lo
	v_add_co_u32 v34, vcc_lo, s16, v2
	v_add_co_ci_u32_e64 v35, null, s17, v3, vcc_lo
	;; [unrolled: 2-line block ×3, first 2 shown]
	v_mov_b32_e32 v2, 0
	v_add_co_u32 v36, vcc_lo, s10, v36
	v_mov_b32_e32 v4, 0
	v_mov_b32_e32 v6, 0
	;; [unrolled: 1-line block ×14, first 2 shown]
	v_lshlrev_b32_e32 v40, 3, v0
	v_lshl_add_u32 v41, v1, 5, 0x800
	v_mov_b32_e32 v3, 0
	v_mov_b32_e32 v5, 0
	;; [unrolled: 1-line block ×16, first 2 shown]
	v_add_co_ci_u32_e64 v37, null, s11, v37, vcc_lo
	s_lshl_b64 s[10:11], s[24:25], 5
	s_mov_b64 s[16:17], 0
.LBB208_2:                              ; =>This Inner Loop Header: Depth=1
	flat_load_dwordx2 v[42:43], v[36:37]
	s_add_u32 s16, s16, 4
	s_addc_u32 s17, s17, 0
	v_add_co_u32 v36, vcc_lo, v36, 32
	v_cmp_lt_i64_e64 s0, s[16:17], s[12:13]
	v_add_co_ci_u32_e64 v37, null, 0, v37, vcc_lo
	s_and_b32 vcc_lo, exec_lo, s0
	s_waitcnt vmcnt(0) lgkmcnt(0)
	ds_write_b64 v38, v[42:43]
	flat_load_dwordx2 v[42:43], v[34:35]
	v_add_co_u32 v34, s0, v34, s10
	v_add_co_ci_u32_e64 v35, null, s11, v35, s0
	s_waitcnt vmcnt(0) lgkmcnt(0)
	ds_write_b64 v39, v[42:43]
	s_waitcnt lgkmcnt(0)
	s_barrier
	buffer_gl0_inv
	ds_read_b128 v[42:45], v41
	ds_read2_b64 v[46:49], v40 offset1:16
	ds_read_b128 v[50:53], v41 offset:512
	ds_read_b128 v[54:57], v41 offset:16
	;; [unrolled: 1-line block ×3, first 2 shown]
	s_waitcnt lgkmcnt(3)
	v_fma_f64 v[70:71], v[46:47], v[42:43], v[30:31]
	v_fma_f64 v[72:73], v[48:49], v[42:43], v[26:27]
	s_waitcnt lgkmcnt(2)
	v_fma_f64 v[74:75], v[46:47], v[50:51], v[32:33]
	v_fma_f64 v[76:77], v[48:49], v[50:51], v[28:29]
	ds_read_b128 v[26:29], v41 offset:1024
	ds_read_b128 v[62:65], v41 offset:1040
	;; [unrolled: 1-line block ×4, first 2 shown]
	s_waitcnt lgkmcnt(3)
	v_fma_f64 v[22:23], v[46:47], v[26:27], v[22:23]
	v_fma_f64 v[14:15], v[48:49], v[26:27], v[14:15]
	s_waitcnt lgkmcnt(1)
	v_fma_f64 v[46:47], v[46:47], v[30:31], v[8:9]
	v_fma_f64 v[48:49], v[48:49], v[30:31], v[6:7]
	ds_read2_b64 v[6:9], v40 offset0:32 offset1:48
	s_waitcnt lgkmcnt(0)
	v_fma_f64 v[18:19], v[6:7], v[42:43], v[18:19]
	v_fma_f64 v[16:17], v[8:9], v[42:43], v[16:17]
	v_fma_f64 v[12:13], v[6:7], v[26:27], v[12:13]
	v_fma_f64 v[10:11], v[8:9], v[26:27], v[10:11]
	v_fma_f64 v[24:25], v[6:7], v[50:51], v[24:25]
	v_fma_f64 v[20:21], v[8:9], v[50:51], v[20:21]
	v_fma_f64 v[26:27], v[6:7], v[30:31], v[4:5]
	v_fma_f64 v[30:31], v[8:9], v[30:31], v[2:3]
	ds_read2_b64 v[2:5], v40 offset0:64 offset1:80
	ds_read2_b64 v[6:9], v40 offset0:96 offset1:112
	s_waitcnt lgkmcnt(1)
	v_fma_f64 v[42:43], v[2:3], v[44:45], v[70:71]
	v_fma_f64 v[50:51], v[4:5], v[44:45], v[72:73]
	s_waitcnt lgkmcnt(0)
	v_fma_f64 v[18:19], v[6:7], v[44:45], v[18:19]
	v_fma_f64 v[16:17], v[8:9], v[44:45], v[16:17]
	;; [unrolled: 1-line block ×10, first 2 shown]
	ds_read2_b64 v[2:5], v40 offset0:128 offset1:144
	v_fma_f64 v[24:25], v[6:7], v[52:53], v[24:25]
	v_fma_f64 v[20:21], v[8:9], v[52:53], v[20:21]
	;; [unrolled: 1-line block ×4, first 2 shown]
	s_waitcnt lgkmcnt(0)
	v_fma_f64 v[26:27], v[2:3], v[54:55], v[42:43]
	v_fma_f64 v[32:33], v[4:5], v[54:55], v[50:51]
	;; [unrolled: 1-line block ×8, first 2 shown]
	ds_read2_b64 v[2:5], v40 offset0:160 offset1:176
	ds_read2_b64 v[42:45], v40 offset0:224 offset1:240
	s_waitcnt lgkmcnt(1)
	v_fma_f64 v[18:19], v[2:3], v[54:55], v[18:19]
	v_fma_f64 v[16:17], v[4:5], v[54:55], v[16:17]
	;; [unrolled: 1-line block ×8, first 2 shown]
	ds_read2_b64 v[2:5], v40 offset0:192 offset1:208
	s_waitcnt lgkmcnt(0)
	s_barrier
	buffer_gl0_inv
	v_fma_f64 v[18:19], v[42:43], v[56:57], v[18:19]
	v_fma_f64 v[16:17], v[44:45], v[56:57], v[16:17]
	v_fma_f64 v[24:25], v[42:43], v[60:61], v[24:25]
	v_fma_f64 v[20:21], v[44:45], v[60:61], v[20:21]
	v_fma_f64 v[12:13], v[42:43], v[64:65], v[12:13]
	v_fma_f64 v[10:11], v[44:45], v[64:65], v[10:11]
	v_fma_f64 v[30:31], v[2:3], v[56:57], v[26:27]
	v_fma_f64 v[26:27], v[4:5], v[56:57], v[32:33]
	v_fma_f64 v[32:33], v[2:3], v[60:61], v[48:49]
	v_fma_f64 v[28:29], v[4:5], v[60:61], v[50:51]
	v_fma_f64 v[22:23], v[2:3], v[64:65], v[22:23]
	v_fma_f64 v[14:15], v[4:5], v[64:65], v[14:15]
	v_fma_f64 v[8:9], v[2:3], v[68:69], v[52:53]
	v_fma_f64 v[6:7], v[4:5], v[68:69], v[46:47]
	v_fma_f64 v[4:5], v[42:43], v[68:69], v[54:55]
	v_fma_f64 v[2:3], v[44:45], v[68:69], v[58:59]
	s_cbranch_vccnz .LBB208_2
	s_branch .LBB208_4
.LBB208_3:
	v_mov_b32_e32 v30, 0
	v_mov_b32_e32 v26, 0
	;; [unrolled: 1-line block ×32, first 2 shown]
.LBB208_4:
	v_cmp_neq_f64_e64 s10, s[36:37], 0
	v_add_co_u32 v34, s8, s8, v1
	v_add_co_ci_u32_e64 v37, null, s9, 0, s8
	v_add_co_u32 v0, s6, s6, v0
	v_add_co_ci_u32_e64 v1, null, s7, 0, s6
	v_mul_lo_u32 v35, v37, s46
	v_mul_lo_u32 v36, v34, s47
	s_lshl_b64 s[0:1], s[48:49], 3
	v_lshlrev_b64 v[0:1], 3, v[0:1]
	s_waitcnt lgkmcnt(0)
	s_add_u32 s0, s4, s0
	s_addc_u32 s1, s5, s1
	s_and_b32 vcc_lo, exec_lo, s10
	s_cbranch_vccnz .LBB208_8
; %bb.5:
	v_mad_u64_u32 v[38:39], null, v34, s46, 0
	v_mul_f64 v[40:41], s[14:15], v[30:31]
	v_mul_f64 v[42:43], s[14:15], v[26:27]
	;; [unrolled: 1-line block ×6, first 2 shown]
	v_add3_u32 v39, v39, v36, v35
	v_mul_f64 v[52:53], s[14:15], v[24:25]
	s_lshl_b64 s[4:5], s[46:47], 7
	v_lshlrev_b64 v[38:39], 3, v[38:39]
	v_add_co_u32 v54, vcc_lo, s0, v38
	v_add_co_ci_u32_e64 v55, null, s1, v39, vcc_lo
	v_mul_f64 v[38:39], s[14:15], v[20:21]
	v_add_co_u32 v58, vcc_lo, v54, s4
	v_add_co_ci_u32_e64 v59, null, s5, v55, vcc_lo
	v_add_co_u32 v54, vcc_lo, v54, v0
	v_add_co_ci_u32_e64 v55, null, v55, v1, vcc_lo
	;; [unrolled: 2-line block ×3, first 2 shown]
	flat_store_dwordx2 v[54:55], v[40:41]
	flat_store_dwordx2 v[54:55], v[42:43] offset:128
	flat_store_dwordx2 v[54:55], v[44:45] offset:256
	;; [unrolled: 1-line block ×3, first 2 shown]
	flat_store_dwordx2 v[56:57], v[48:49]
	flat_store_dwordx2 v[56:57], v[50:51] offset:128
	flat_store_dwordx2 v[56:57], v[52:53] offset:256
	v_mul_f64 v[40:41], s[14:15], v[22:23]
	v_mul_f64 v[54:55], s[14:15], v[2:3]
	;; [unrolled: 1-line block ×7, first 2 shown]
	v_add_co_u32 v58, vcc_lo, v58, s4
	v_mul_f64 v[52:53], s[14:15], v[4:5]
	v_add_co_ci_u32_e64 v59, null, s5, v59, vcc_lo
	flat_store_dwordx2 v[56:57], v[38:39] offset:384
	v_add_co_u32 v56, vcc_lo, v58, s4
	v_add_co_ci_u32_e64 v57, null, s5, v59, vcc_lo
	v_add_co_u32 v38, vcc_lo, v58, v0
	v_add_co_ci_u32_e64 v39, null, v59, v1, vcc_lo
	;; [unrolled: 2-line block ×3, first 2 shown]
	flat_store_dwordx2 v[38:39], v[40:41]
	flat_store_dwordx2 v[38:39], v[42:43] offset:128
	flat_store_dwordx2 v[38:39], v[44:45] offset:256
	;; [unrolled: 1-line block ×3, first 2 shown]
	flat_store_dwordx2 v[56:57], v[48:49]
	flat_store_dwordx2 v[56:57], v[50:51] offset:128
	flat_store_dwordx2 v[56:57], v[52:53] offset:256
	;; [unrolled: 1-line block ×3, first 2 shown]
	s_cbranch_execnz .LBB208_7
.LBB208_6:
	v_mul_lo_u32 v39, v37, s40
	v_mul_lo_u32 v40, v34, s41
	v_mad_u64_u32 v[37:38], null, v34, s40, 0
	s_lshl_b64 s[4:5], s[42:43], 3
	v_mad_u64_u32 v[41:42], null, v34, s46, 0
	s_add_u32 s2, s2, s4
	s_addc_u32 s3, s3, s5
	v_add3_u32 v38, v38, v40, v39
	v_add3_u32 v42, v42, v36, v35
	v_lshlrev_b64 v[37:38], 3, v[37:38]
	v_lshlrev_b64 v[34:35], 3, v[41:42]
	v_add_co_u32 v43, vcc_lo, s2, v37
	v_add_co_ci_u32_e64 v44, null, s3, v38, vcc_lo
	s_lshl_b64 s[2:3], s[46:47], 7
	v_add_co_u32 v37, vcc_lo, v43, v0
	v_add_co_ci_u32_e64 v38, null, v44, v1, vcc_lo
	v_add_co_u32 v36, vcc_lo, s0, v34
	flat_load_dwordx2 v[39:40], v[37:38]
	s_waitcnt vmcnt(0) lgkmcnt(0)
	v_mul_f64 v[39:40], s[36:37], v[39:40]
	v_fma_f64 v[30:31], s[14:15], v[30:31], v[39:40]
	v_add_co_ci_u32_e64 v39, null, s1, v35, vcc_lo
	v_add_co_u32 v34, vcc_lo, v36, v0
	s_lshl_b64 s[0:1], s[40:41], 7
	v_add_co_ci_u32_e64 v35, null, v39, v1, vcc_lo
	flat_store_dwordx2 v[34:35], v[30:31]
	flat_load_dwordx2 v[30:31], v[37:38] offset:128
	s_waitcnt vmcnt(0) lgkmcnt(0)
	v_mul_f64 v[30:31], s[36:37], v[30:31]
	v_fma_f64 v[26:27], s[14:15], v[26:27], v[30:31]
	v_add_co_u32 v30, vcc_lo, v43, s0
	v_add_co_ci_u32_e64 v31, null, s1, v44, vcc_lo
	flat_store_dwordx2 v[34:35], v[26:27] offset:128
	flat_load_dwordx2 v[26:27], v[37:38] offset:256
	s_waitcnt vmcnt(0) lgkmcnt(0)
	v_mul_f64 v[26:27], s[36:37], v[26:27]
	v_fma_f64 v[18:19], s[14:15], v[18:19], v[26:27]
	flat_store_dwordx2 v[34:35], v[18:19] offset:256
	flat_load_dwordx2 v[18:19], v[37:38] offset:384
	s_waitcnt vmcnt(0) lgkmcnt(0)
	v_mul_f64 v[18:19], s[36:37], v[18:19]
	v_fma_f64 v[16:17], s[14:15], v[16:17], v[18:19]
	v_add_co_u32 v18, vcc_lo, v30, v0
	v_add_co_ci_u32_e64 v19, null, v31, v1, vcc_lo
	flat_store_dwordx2 v[34:35], v[16:17] offset:384
	flat_load_dwordx2 v[16:17], v[18:19]
	s_waitcnt vmcnt(0) lgkmcnt(0)
	v_mul_f64 v[16:17], s[36:37], v[16:17]
	v_fma_f64 v[16:17], s[14:15], v[32:33], v[16:17]
	v_add_co_u32 v32, vcc_lo, v36, s2
	v_add_co_ci_u32_e64 v33, null, s3, v39, vcc_lo
	v_add_co_u32 v26, vcc_lo, v32, v0
	v_add_co_ci_u32_e64 v27, null, v33, v1, vcc_lo
	flat_store_dwordx2 v[26:27], v[16:17]
	flat_load_dwordx2 v[16:17], v[18:19] offset:128
	s_waitcnt vmcnt(0) lgkmcnt(0)
	v_mul_f64 v[16:17], s[36:37], v[16:17]
	v_fma_f64 v[16:17], s[14:15], v[28:29], v[16:17]
	flat_store_dwordx2 v[26:27], v[16:17] offset:128
	flat_load_dwordx2 v[16:17], v[18:19] offset:256
	s_waitcnt vmcnt(0) lgkmcnt(0)
	v_mul_f64 v[16:17], s[36:37], v[16:17]
	v_fma_f64 v[16:17], s[14:15], v[24:25], v[16:17]
	v_add_co_u32 v24, vcc_lo, v30, s0
	v_add_co_ci_u32_e64 v25, null, s1, v31, vcc_lo
	flat_store_dwordx2 v[26:27], v[16:17] offset:256
	flat_load_dwordx2 v[16:17], v[18:19] offset:384
	v_add_co_u32 v18, vcc_lo, v24, v0
	v_add_co_ci_u32_e64 v19, null, v25, v1, vcc_lo
	s_waitcnt vmcnt(0) lgkmcnt(0)
	v_mul_f64 v[16:17], s[36:37], v[16:17]
	v_fma_f64 v[16:17], s[14:15], v[20:21], v[16:17]
	flat_store_dwordx2 v[26:27], v[16:17] offset:384
	flat_load_dwordx2 v[16:17], v[18:19]
	s_waitcnt vmcnt(0) lgkmcnt(0)
	v_mul_f64 v[16:17], s[36:37], v[16:17]
	v_fma_f64 v[16:17], s[14:15], v[22:23], v[16:17]
	v_add_co_u32 v22, vcc_lo, v32, s2
	v_add_co_ci_u32_e64 v23, null, s3, v33, vcc_lo
	v_add_co_u32 v20, vcc_lo, v22, v0
	v_add_co_ci_u32_e64 v21, null, v23, v1, vcc_lo
	flat_store_dwordx2 v[20:21], v[16:17]
	flat_load_dwordx2 v[16:17], v[18:19] offset:128
	s_waitcnt vmcnt(0) lgkmcnt(0)
	v_mul_f64 v[16:17], s[36:37], v[16:17]
	v_fma_f64 v[14:15], s[14:15], v[14:15], v[16:17]
	flat_store_dwordx2 v[20:21], v[14:15] offset:128
	flat_load_dwordx2 v[14:15], v[18:19] offset:256
	s_waitcnt vmcnt(0) lgkmcnt(0)
	v_mul_f64 v[14:15], s[36:37], v[14:15]
	v_fma_f64 v[12:13], s[14:15], v[12:13], v[14:15]
	flat_store_dwordx2 v[20:21], v[12:13] offset:256
	flat_load_dwordx2 v[12:13], v[18:19] offset:384
	s_waitcnt vmcnt(0) lgkmcnt(0)
	v_mul_f64 v[12:13], s[36:37], v[12:13]
	v_fma_f64 v[10:11], s[14:15], v[10:11], v[12:13]
	v_add_co_u32 v12, vcc_lo, v24, s0
	v_add_co_ci_u32_e64 v13, null, s1, v25, vcc_lo
	v_add_co_u32 v12, vcc_lo, v12, v0
	v_add_co_ci_u32_e64 v13, null, v13, v1, vcc_lo
	flat_store_dwordx2 v[20:21], v[10:11] offset:384
	flat_load_dwordx2 v[10:11], v[12:13]
	s_waitcnt vmcnt(0) lgkmcnt(0)
	v_mul_f64 v[10:11], s[36:37], v[10:11]
	v_fma_f64 v[8:9], s[14:15], v[8:9], v[10:11]
	v_add_co_u32 v10, vcc_lo, v22, s2
	v_add_co_ci_u32_e64 v11, null, s3, v23, vcc_lo
	v_add_co_u32 v0, vcc_lo, v10, v0
	v_add_co_ci_u32_e64 v1, null, v11, v1, vcc_lo
	flat_store_dwordx2 v[0:1], v[8:9]
	flat_load_dwordx2 v[8:9], v[12:13] offset:128
	s_waitcnt vmcnt(0) lgkmcnt(0)
	v_mul_f64 v[8:9], s[36:37], v[8:9]
	v_fma_f64 v[6:7], s[14:15], v[6:7], v[8:9]
	flat_store_dwordx2 v[0:1], v[6:7] offset:128
	flat_load_dwordx2 v[6:7], v[12:13] offset:256
	s_waitcnt vmcnt(0) lgkmcnt(0)
	v_mul_f64 v[6:7], s[36:37], v[6:7]
	v_fma_f64 v[4:5], s[14:15], v[4:5], v[6:7]
	flat_store_dwordx2 v[0:1], v[4:5] offset:256
	;; [unrolled: 5-line block ×3, first 2 shown]
.LBB208_7:
	s_endpgm
.LBB208_8:
	s_branch .LBB208_6
	.section	.rodata,"a",@progbits
	.p2align	6, 0x0
	.amdhsa_kernel _ZN12_GLOBAL__N_127rocblas_gemm_batched_kernelIdLi16ELi16ELi64ELi64ELi4ELi64ELi4ELi4ELi64ELc84ELc84EKPKdS3_KPdEEvlllT_PT11_llS8_llS6_PT12_llPT13_lli
		.amdhsa_group_segment_fixed_size 4096
		.amdhsa_private_segment_fixed_size 0
		.amdhsa_kernarg_size 140
		.amdhsa_user_sgpr_count 6
		.amdhsa_user_sgpr_private_segment_buffer 1
		.amdhsa_user_sgpr_dispatch_ptr 0
		.amdhsa_user_sgpr_queue_ptr 0
		.amdhsa_user_sgpr_kernarg_segment_ptr 1
		.amdhsa_user_sgpr_dispatch_id 0
		.amdhsa_user_sgpr_flat_scratch_init 0
		.amdhsa_user_sgpr_private_segment_size 0
		.amdhsa_wavefront_size32 1
		.amdhsa_uses_dynamic_stack 0
		.amdhsa_system_sgpr_private_segment_wavefront_offset 0
		.amdhsa_system_sgpr_workgroup_id_x 1
		.amdhsa_system_sgpr_workgroup_id_y 1
		.amdhsa_system_sgpr_workgroup_id_z 1
		.amdhsa_system_sgpr_workgroup_info 0
		.amdhsa_system_vgpr_workitem_id 1
		.amdhsa_next_free_vgpr 78
		.amdhsa_next_free_sgpr 52
		.amdhsa_reserve_vcc 1
		.amdhsa_reserve_flat_scratch 0
		.amdhsa_float_round_mode_32 0
		.amdhsa_float_round_mode_16_64 0
		.amdhsa_float_denorm_mode_32 3
		.amdhsa_float_denorm_mode_16_64 3
		.amdhsa_dx10_clamp 1
		.amdhsa_ieee_mode 1
		.amdhsa_fp16_overflow 0
		.amdhsa_workgroup_processor_mode 1
		.amdhsa_memory_ordered 1
		.amdhsa_forward_progress 1
		.amdhsa_shared_vgpr_count 0
		.amdhsa_exception_fp_ieee_invalid_op 0
		.amdhsa_exception_fp_denorm_src 0
		.amdhsa_exception_fp_ieee_div_zero 0
		.amdhsa_exception_fp_ieee_overflow 0
		.amdhsa_exception_fp_ieee_underflow 0
		.amdhsa_exception_fp_ieee_inexact 0
		.amdhsa_exception_int_div_zero 0
	.end_amdhsa_kernel
	.section	.text._ZN12_GLOBAL__N_127rocblas_gemm_batched_kernelIdLi16ELi16ELi64ELi64ELi4ELi64ELi4ELi4ELi64ELc84ELc84EKPKdS3_KPdEEvlllT_PT11_llS8_llS6_PT12_llPT13_lli,"axG",@progbits,_ZN12_GLOBAL__N_127rocblas_gemm_batched_kernelIdLi16ELi16ELi64ELi64ELi4ELi64ELi4ELi4ELi64ELc84ELc84EKPKdS3_KPdEEvlllT_PT11_llS8_llS6_PT12_llPT13_lli,comdat
.Lfunc_end208:
	.size	_ZN12_GLOBAL__N_127rocblas_gemm_batched_kernelIdLi16ELi16ELi64ELi64ELi4ELi64ELi4ELi4ELi64ELc84ELc84EKPKdS3_KPdEEvlllT_PT11_llS8_llS6_PT12_llPT13_lli, .Lfunc_end208-_ZN12_GLOBAL__N_127rocblas_gemm_batched_kernelIdLi16ELi16ELi64ELi64ELi4ELi64ELi4ELi4ELi64ELc84ELc84EKPKdS3_KPdEEvlllT_PT11_llS8_llS6_PT12_llPT13_lli
                                        ; -- End function
	.set _ZN12_GLOBAL__N_127rocblas_gemm_batched_kernelIdLi16ELi16ELi64ELi64ELi4ELi64ELi4ELi4ELi64ELc84ELc84EKPKdS3_KPdEEvlllT_PT11_llS8_llS6_PT12_llPT13_lli.num_vgpr, 78
	.set _ZN12_GLOBAL__N_127rocblas_gemm_batched_kernelIdLi16ELi16ELi64ELi64ELi4ELi64ELi4ELi4ELi64ELc84ELc84EKPKdS3_KPdEEvlllT_PT11_llS8_llS6_PT12_llPT13_lli.num_agpr, 0
	.set _ZN12_GLOBAL__N_127rocblas_gemm_batched_kernelIdLi16ELi16ELi64ELi64ELi4ELi64ELi4ELi4ELi64ELc84ELc84EKPKdS3_KPdEEvlllT_PT11_llS8_llS6_PT12_llPT13_lli.numbered_sgpr, 52
	.set _ZN12_GLOBAL__N_127rocblas_gemm_batched_kernelIdLi16ELi16ELi64ELi64ELi4ELi64ELi4ELi4ELi64ELc84ELc84EKPKdS3_KPdEEvlllT_PT11_llS8_llS6_PT12_llPT13_lli.num_named_barrier, 0
	.set _ZN12_GLOBAL__N_127rocblas_gemm_batched_kernelIdLi16ELi16ELi64ELi64ELi4ELi64ELi4ELi4ELi64ELc84ELc84EKPKdS3_KPdEEvlllT_PT11_llS8_llS6_PT12_llPT13_lli.private_seg_size, 0
	.set _ZN12_GLOBAL__N_127rocblas_gemm_batched_kernelIdLi16ELi16ELi64ELi64ELi4ELi64ELi4ELi4ELi64ELc84ELc84EKPKdS3_KPdEEvlllT_PT11_llS8_llS6_PT12_llPT13_lli.uses_vcc, 1
	.set _ZN12_GLOBAL__N_127rocblas_gemm_batched_kernelIdLi16ELi16ELi64ELi64ELi4ELi64ELi4ELi4ELi64ELc84ELc84EKPKdS3_KPdEEvlllT_PT11_llS8_llS6_PT12_llPT13_lli.uses_flat_scratch, 0
	.set _ZN12_GLOBAL__N_127rocblas_gemm_batched_kernelIdLi16ELi16ELi64ELi64ELi4ELi64ELi4ELi4ELi64ELc84ELc84EKPKdS3_KPdEEvlllT_PT11_llS8_llS6_PT12_llPT13_lli.has_dyn_sized_stack, 0
	.set _ZN12_GLOBAL__N_127rocblas_gemm_batched_kernelIdLi16ELi16ELi64ELi64ELi4ELi64ELi4ELi4ELi64ELc84ELc84EKPKdS3_KPdEEvlllT_PT11_llS8_llS6_PT12_llPT13_lli.has_recursion, 0
	.set _ZN12_GLOBAL__N_127rocblas_gemm_batched_kernelIdLi16ELi16ELi64ELi64ELi4ELi64ELi4ELi4ELi64ELc84ELc84EKPKdS3_KPdEEvlllT_PT11_llS8_llS6_PT12_llPT13_lli.has_indirect_call, 0
	.section	.AMDGPU.csdata,"",@progbits
; Kernel info:
; codeLenInByte = 2900
; TotalNumSgprs: 54
; NumVgprs: 78
; ScratchSize: 0
; MemoryBound: 0
; FloatMode: 240
; IeeeMode: 1
; LDSByteSize: 4096 bytes/workgroup (compile time only)
; SGPRBlocks: 0
; VGPRBlocks: 9
; NumSGPRsForWavesPerEU: 54
; NumVGPRsForWavesPerEU: 78
; Occupancy: 12
; WaveLimiterHint : 1
; COMPUTE_PGM_RSRC2:SCRATCH_EN: 0
; COMPUTE_PGM_RSRC2:USER_SGPR: 6
; COMPUTE_PGM_RSRC2:TRAP_HANDLER: 0
; COMPUTE_PGM_RSRC2:TGID_X_EN: 1
; COMPUTE_PGM_RSRC2:TGID_Y_EN: 1
; COMPUTE_PGM_RSRC2:TGID_Z_EN: 1
; COMPUTE_PGM_RSRC2:TIDIG_COMP_CNT: 1
	.section	.text._ZN12_GLOBAL__N_127rocblas_gemm_batched_kernelIdLi16ELi16ELi64ELi64ELi4ELi64ELi4ELi4ELi64ELc67ELc67EKPKdS3_KPdEEvlllT_PT11_llS8_llS6_PT12_llPT13_lli,"axG",@progbits,_ZN12_GLOBAL__N_127rocblas_gemm_batched_kernelIdLi16ELi16ELi64ELi64ELi4ELi64ELi4ELi4ELi64ELc67ELc67EKPKdS3_KPdEEvlllT_PT11_llS8_llS6_PT12_llPT13_lli,comdat
	.globl	_ZN12_GLOBAL__N_127rocblas_gemm_batched_kernelIdLi16ELi16ELi64ELi64ELi4ELi64ELi4ELi4ELi64ELc67ELc67EKPKdS3_KPdEEvlllT_PT11_llS8_llS6_PT12_llPT13_lli ; -- Begin function _ZN12_GLOBAL__N_127rocblas_gemm_batched_kernelIdLi16ELi16ELi64ELi64ELi4ELi64ELi4ELi4ELi64ELc67ELc67EKPKdS3_KPdEEvlllT_PT11_llS8_llS6_PT12_llPT13_lli
	.p2align	8
	.type	_ZN12_GLOBAL__N_127rocblas_gemm_batched_kernelIdLi16ELi16ELi64ELi64ELi4ELi64ELi4ELi4ELi64ELc67ELc67EKPKdS3_KPdEEvlllT_PT11_llS8_llS6_PT12_llPT13_lli,@function
_ZN12_GLOBAL__N_127rocblas_gemm_batched_kernelIdLi16ELi16ELi64ELi64ELi4ELi64ELi4ELi4ELi64ELc67ELc67EKPKdS3_KPdEEvlllT_PT11_llS8_llS6_PT12_llPT13_lli: ; @_ZN12_GLOBAL__N_127rocblas_gemm_batched_kernelIdLi16ELi16ELi64ELi64ELi4ELi64ELi4ELi4ELi64ELc67ELc67EKPKdS3_KPdEEvlllT_PT11_llS8_llS6_PT12_llPT13_lli
; %bb.0:
	s_clause 0x2
	s_load_dwordx8 s[36:43], s[4:5], 0x50
	s_load_dwordx8 s[44:51], s[4:5], 0x70
	s_load_dwordx16 s[12:27], s[4:5], 0x10
	s_mov_b32 s9, 0
	s_mov_b32 s10, s7
	s_lshl_b64 s[0:1], s[8:9], 3
	v_mov_b32_e32 v3, 0
	s_waitcnt lgkmcnt(0)
	s_add_u32 s2, s38, s0
	s_addc_u32 s3, s39, s1
	s_add_u32 s4, s44, s0
	s_addc_u32 s5, s45, s1
	s_load_dwordx2 s[2:3], s[2:3], 0x0
	s_load_dwordx2 s[4:5], s[4:5], 0x0
	v_cmp_lt_i64_e64 s8, s[12:13], 1
	s_ashr_i32 s7, s6, 31
	s_ashr_i32 s11, s10, 31
	s_lshl_b64 s[6:7], s[6:7], 6
	s_and_b32 vcc_lo, exec_lo, s8
	s_lshl_b64 s[8:9], s[10:11], 6
	s_cbranch_vccnz .LBB209_3
; %bb.1:
	v_lshl_add_u32 v5, v1, 4, v0
	s_add_u32 s10, s16, s0
	v_and_b32_e32 v7, 3, v0
	s_addc_u32 s11, s17, s1
	s_add_u32 s0, s22, s0
	v_and_b32_e32 v8, 63, v5
	v_lshrrev_b32_e32 v2, 2, v5
	s_addc_u32 s1, s23, s1
	v_lshrrev_b32_e32 v10, 6, v5
	s_load_dwordx2 s[0:1], s[0:1], 0x0
	v_add_co_u32 v6, s16, s6, v8
	v_mad_u64_u32 v[3:4], null, s24, v7, v[2:3]
	v_add_co_ci_u32_e64 v9, null, s7, 0, s16
	v_mul_lo_u32 v12, s19, v6
	v_mad_u64_u32 v[5:6], null, s18, v6, 0
	v_lshlrev_b32_e32 v11, 3, v7
	v_mul_lo_u32 v9, s18, v9
	v_lshlrev_b32_e32 v13, 3, v8
	s_load_dwordx2 s[10:11], s[10:11], 0x0
	s_lshl_b64 s[16:17], s[26:27], 3
	v_lshl_or_b32 v2, v2, 5, v11
	v_mad_u64_u32 v[7:8], null, s25, v7, v[4:5]
	v_lshl_or_b32 v38, v10, 9, v13
	v_add3_u32 v6, v6, v9, v12
	v_add_nc_u32_e32 v39, 0x800, v2
	v_add_co_u32 v2, vcc_lo, v3, s8
	s_waitcnt lgkmcnt(0)
	s_add_u32 s16, s0, s16
	v_add_co_ci_u32_e64 v3, null, s9, v7, vcc_lo
	v_lshlrev_b64 v[4:5], 3, v[5:6]
	s_addc_u32 s17, s1, s17
	s_lshl_b64 s[0:1], s[20:21], 3
	v_lshlrev_b64 v[2:3], 3, v[2:3]
	v_lshlrev_b32_e32 v6, 3, v10
	v_mov_b32_e32 v8, 0
	v_add_co_u32 v4, vcc_lo, v4, s0
	v_add_co_ci_u32_e64 v5, null, s1, v5, vcc_lo
	v_add_co_u32 v34, vcc_lo, s16, v2
	v_add_co_ci_u32_e64 v35, null, s17, v3, vcc_lo
	v_add_co_u32 v36, vcc_lo, v4, v6
	v_add_co_ci_u32_e64 v37, null, 0, v5, vcc_lo
	v_mov_b32_e32 v2, 0
	v_add_co_u32 v36, vcc_lo, s10, v36
	v_mov_b32_e32 v4, 0
	v_mov_b32_e32 v6, 0
	;; [unrolled: 1-line block ×14, first 2 shown]
	v_lshlrev_b32_e32 v40, 3, v0
	v_lshl_add_u32 v41, v1, 5, 0x800
	v_mov_b32_e32 v3, 0
	v_mov_b32_e32 v5, 0
	;; [unrolled: 1-line block ×16, first 2 shown]
	v_add_co_ci_u32_e64 v37, null, s11, v37, vcc_lo
	s_lshl_b64 s[10:11], s[24:25], 5
	s_mov_b64 s[16:17], 0
.LBB209_2:                              ; =>This Inner Loop Header: Depth=1
	flat_load_dwordx2 v[42:43], v[36:37]
	s_add_u32 s16, s16, 4
	s_addc_u32 s17, s17, 0
	v_add_co_u32 v36, vcc_lo, v36, 32
	v_cmp_lt_i64_e64 s0, s[16:17], s[12:13]
	v_add_co_ci_u32_e64 v37, null, 0, v37, vcc_lo
	s_and_b32 vcc_lo, exec_lo, s0
	s_waitcnt vmcnt(0) lgkmcnt(0)
	ds_write_b64 v38, v[42:43]
	flat_load_dwordx2 v[42:43], v[34:35]
	v_add_co_u32 v34, s0, v34, s10
	v_add_co_ci_u32_e64 v35, null, s11, v35, s0
	s_waitcnt vmcnt(0) lgkmcnt(0)
	ds_write_b64 v39, v[42:43]
	s_waitcnt lgkmcnt(0)
	s_barrier
	buffer_gl0_inv
	ds_read_b128 v[42:45], v41
	ds_read2_b64 v[46:49], v40 offset1:16
	ds_read_b128 v[50:53], v41 offset:512
	ds_read_b128 v[54:57], v41 offset:16
	;; [unrolled: 1-line block ×3, first 2 shown]
	s_waitcnt lgkmcnt(3)
	v_fma_f64 v[70:71], v[46:47], v[42:43], v[30:31]
	v_fma_f64 v[72:73], v[48:49], v[42:43], v[26:27]
	s_waitcnt lgkmcnt(2)
	v_fma_f64 v[74:75], v[46:47], v[50:51], v[32:33]
	v_fma_f64 v[76:77], v[48:49], v[50:51], v[28:29]
	ds_read_b128 v[26:29], v41 offset:1024
	ds_read_b128 v[62:65], v41 offset:1040
	;; [unrolled: 1-line block ×4, first 2 shown]
	s_waitcnt lgkmcnt(3)
	v_fma_f64 v[22:23], v[46:47], v[26:27], v[22:23]
	v_fma_f64 v[14:15], v[48:49], v[26:27], v[14:15]
	s_waitcnt lgkmcnt(1)
	v_fma_f64 v[46:47], v[46:47], v[30:31], v[8:9]
	v_fma_f64 v[48:49], v[48:49], v[30:31], v[6:7]
	ds_read2_b64 v[6:9], v40 offset0:32 offset1:48
	s_waitcnt lgkmcnt(0)
	v_fma_f64 v[18:19], v[6:7], v[42:43], v[18:19]
	v_fma_f64 v[16:17], v[8:9], v[42:43], v[16:17]
	;; [unrolled: 1-line block ×8, first 2 shown]
	ds_read2_b64 v[2:5], v40 offset0:64 offset1:80
	ds_read2_b64 v[6:9], v40 offset0:96 offset1:112
	s_waitcnt lgkmcnt(1)
	v_fma_f64 v[42:43], v[2:3], v[44:45], v[70:71]
	v_fma_f64 v[50:51], v[4:5], v[44:45], v[72:73]
	s_waitcnt lgkmcnt(0)
	v_fma_f64 v[18:19], v[6:7], v[44:45], v[18:19]
	v_fma_f64 v[16:17], v[8:9], v[44:45], v[16:17]
	v_fma_f64 v[44:45], v[2:3], v[52:53], v[74:75]
	v_fma_f64 v[70:71], v[4:5], v[52:53], v[76:77]
	v_fma_f64 v[22:23], v[2:3], v[28:29], v[22:23]
	v_fma_f64 v[14:15], v[4:5], v[28:29], v[14:15]
	v_fma_f64 v[12:13], v[6:7], v[28:29], v[12:13]
	v_fma_f64 v[10:11], v[8:9], v[28:29], v[10:11]
	v_fma_f64 v[28:29], v[2:3], v[32:33], v[46:47]
	v_fma_f64 v[46:47], v[4:5], v[32:33], v[48:49]
	ds_read2_b64 v[2:5], v40 offset0:128 offset1:144
	v_fma_f64 v[24:25], v[6:7], v[52:53], v[24:25]
	v_fma_f64 v[20:21], v[8:9], v[52:53], v[20:21]
	;; [unrolled: 1-line block ×4, first 2 shown]
	s_waitcnt lgkmcnt(0)
	v_fma_f64 v[26:27], v[2:3], v[54:55], v[42:43]
	v_fma_f64 v[32:33], v[4:5], v[54:55], v[50:51]
	;; [unrolled: 1-line block ×8, first 2 shown]
	ds_read2_b64 v[2:5], v40 offset0:160 offset1:176
	ds_read2_b64 v[42:45], v40 offset0:224 offset1:240
	s_waitcnt lgkmcnt(1)
	v_fma_f64 v[18:19], v[2:3], v[54:55], v[18:19]
	v_fma_f64 v[16:17], v[4:5], v[54:55], v[16:17]
	;; [unrolled: 1-line block ×8, first 2 shown]
	ds_read2_b64 v[2:5], v40 offset0:192 offset1:208
	s_waitcnt lgkmcnt(0)
	s_barrier
	buffer_gl0_inv
	v_fma_f64 v[18:19], v[42:43], v[56:57], v[18:19]
	v_fma_f64 v[16:17], v[44:45], v[56:57], v[16:17]
	;; [unrolled: 1-line block ×16, first 2 shown]
	s_cbranch_vccnz .LBB209_2
	s_branch .LBB209_4
.LBB209_3:
	v_mov_b32_e32 v30, 0
	v_mov_b32_e32 v26, 0
	;; [unrolled: 1-line block ×32, first 2 shown]
.LBB209_4:
	v_cmp_neq_f64_e64 s10, s[36:37], 0
	v_add_co_u32 v34, s8, s8, v1
	v_add_co_ci_u32_e64 v37, null, s9, 0, s8
	v_add_co_u32 v0, s6, s6, v0
	v_add_co_ci_u32_e64 v1, null, s7, 0, s6
	v_mul_lo_u32 v35, v37, s46
	v_mul_lo_u32 v36, v34, s47
	s_lshl_b64 s[0:1], s[48:49], 3
	v_lshlrev_b64 v[0:1], 3, v[0:1]
	s_waitcnt lgkmcnt(0)
	s_add_u32 s0, s4, s0
	s_addc_u32 s1, s5, s1
	s_and_b32 vcc_lo, exec_lo, s10
	s_cbranch_vccnz .LBB209_8
; %bb.5:
	v_mad_u64_u32 v[38:39], null, v34, s46, 0
	v_mul_f64 v[40:41], s[14:15], v[30:31]
	v_mul_f64 v[42:43], s[14:15], v[26:27]
	;; [unrolled: 1-line block ×6, first 2 shown]
	v_add3_u32 v39, v39, v36, v35
	v_mul_f64 v[52:53], s[14:15], v[24:25]
	s_lshl_b64 s[4:5], s[46:47], 7
	v_lshlrev_b64 v[38:39], 3, v[38:39]
	v_add_co_u32 v54, vcc_lo, s0, v38
	v_add_co_ci_u32_e64 v55, null, s1, v39, vcc_lo
	v_mul_f64 v[38:39], s[14:15], v[20:21]
	v_add_co_u32 v58, vcc_lo, v54, s4
	v_add_co_ci_u32_e64 v59, null, s5, v55, vcc_lo
	v_add_co_u32 v54, vcc_lo, v54, v0
	v_add_co_ci_u32_e64 v55, null, v55, v1, vcc_lo
	;; [unrolled: 2-line block ×3, first 2 shown]
	flat_store_dwordx2 v[54:55], v[40:41]
	flat_store_dwordx2 v[54:55], v[42:43] offset:128
	flat_store_dwordx2 v[54:55], v[44:45] offset:256
	;; [unrolled: 1-line block ×3, first 2 shown]
	flat_store_dwordx2 v[56:57], v[48:49]
	flat_store_dwordx2 v[56:57], v[50:51] offset:128
	flat_store_dwordx2 v[56:57], v[52:53] offset:256
	v_mul_f64 v[40:41], s[14:15], v[22:23]
	v_mul_f64 v[54:55], s[14:15], v[2:3]
	;; [unrolled: 1-line block ×7, first 2 shown]
	v_add_co_u32 v58, vcc_lo, v58, s4
	v_mul_f64 v[52:53], s[14:15], v[4:5]
	v_add_co_ci_u32_e64 v59, null, s5, v59, vcc_lo
	flat_store_dwordx2 v[56:57], v[38:39] offset:384
	v_add_co_u32 v56, vcc_lo, v58, s4
	v_add_co_ci_u32_e64 v57, null, s5, v59, vcc_lo
	v_add_co_u32 v38, vcc_lo, v58, v0
	v_add_co_ci_u32_e64 v39, null, v59, v1, vcc_lo
	v_add_co_u32 v56, vcc_lo, v56, v0
	v_add_co_ci_u32_e64 v57, null, v57, v1, vcc_lo
	flat_store_dwordx2 v[38:39], v[40:41]
	flat_store_dwordx2 v[38:39], v[42:43] offset:128
	flat_store_dwordx2 v[38:39], v[44:45] offset:256
	;; [unrolled: 1-line block ×3, first 2 shown]
	flat_store_dwordx2 v[56:57], v[48:49]
	flat_store_dwordx2 v[56:57], v[50:51] offset:128
	flat_store_dwordx2 v[56:57], v[52:53] offset:256
	;; [unrolled: 1-line block ×3, first 2 shown]
	s_cbranch_execnz .LBB209_7
.LBB209_6:
	v_mul_lo_u32 v39, v37, s40
	v_mul_lo_u32 v40, v34, s41
	v_mad_u64_u32 v[37:38], null, v34, s40, 0
	s_lshl_b64 s[4:5], s[42:43], 3
	v_mad_u64_u32 v[41:42], null, v34, s46, 0
	s_add_u32 s2, s2, s4
	s_addc_u32 s3, s3, s5
	v_add3_u32 v38, v38, v40, v39
	v_add3_u32 v42, v42, v36, v35
	v_lshlrev_b64 v[37:38], 3, v[37:38]
	v_lshlrev_b64 v[34:35], 3, v[41:42]
	v_add_co_u32 v43, vcc_lo, s2, v37
	v_add_co_ci_u32_e64 v44, null, s3, v38, vcc_lo
	s_lshl_b64 s[2:3], s[46:47], 7
	v_add_co_u32 v37, vcc_lo, v43, v0
	v_add_co_ci_u32_e64 v38, null, v44, v1, vcc_lo
	v_add_co_u32 v36, vcc_lo, s0, v34
	flat_load_dwordx2 v[39:40], v[37:38]
	s_waitcnt vmcnt(0) lgkmcnt(0)
	v_mul_f64 v[39:40], s[36:37], v[39:40]
	v_fma_f64 v[30:31], s[14:15], v[30:31], v[39:40]
	v_add_co_ci_u32_e64 v39, null, s1, v35, vcc_lo
	v_add_co_u32 v34, vcc_lo, v36, v0
	s_lshl_b64 s[0:1], s[40:41], 7
	v_add_co_ci_u32_e64 v35, null, v39, v1, vcc_lo
	flat_store_dwordx2 v[34:35], v[30:31]
	flat_load_dwordx2 v[30:31], v[37:38] offset:128
	s_waitcnt vmcnt(0) lgkmcnt(0)
	v_mul_f64 v[30:31], s[36:37], v[30:31]
	v_fma_f64 v[26:27], s[14:15], v[26:27], v[30:31]
	v_add_co_u32 v30, vcc_lo, v43, s0
	v_add_co_ci_u32_e64 v31, null, s1, v44, vcc_lo
	flat_store_dwordx2 v[34:35], v[26:27] offset:128
	flat_load_dwordx2 v[26:27], v[37:38] offset:256
	s_waitcnt vmcnt(0) lgkmcnt(0)
	v_mul_f64 v[26:27], s[36:37], v[26:27]
	v_fma_f64 v[18:19], s[14:15], v[18:19], v[26:27]
	flat_store_dwordx2 v[34:35], v[18:19] offset:256
	flat_load_dwordx2 v[18:19], v[37:38] offset:384
	s_waitcnt vmcnt(0) lgkmcnt(0)
	v_mul_f64 v[18:19], s[36:37], v[18:19]
	v_fma_f64 v[16:17], s[14:15], v[16:17], v[18:19]
	v_add_co_u32 v18, vcc_lo, v30, v0
	v_add_co_ci_u32_e64 v19, null, v31, v1, vcc_lo
	flat_store_dwordx2 v[34:35], v[16:17] offset:384
	flat_load_dwordx2 v[16:17], v[18:19]
	s_waitcnt vmcnt(0) lgkmcnt(0)
	v_mul_f64 v[16:17], s[36:37], v[16:17]
	v_fma_f64 v[16:17], s[14:15], v[32:33], v[16:17]
	v_add_co_u32 v32, vcc_lo, v36, s2
	v_add_co_ci_u32_e64 v33, null, s3, v39, vcc_lo
	v_add_co_u32 v26, vcc_lo, v32, v0
	v_add_co_ci_u32_e64 v27, null, v33, v1, vcc_lo
	flat_store_dwordx2 v[26:27], v[16:17]
	flat_load_dwordx2 v[16:17], v[18:19] offset:128
	s_waitcnt vmcnt(0) lgkmcnt(0)
	v_mul_f64 v[16:17], s[36:37], v[16:17]
	v_fma_f64 v[16:17], s[14:15], v[28:29], v[16:17]
	flat_store_dwordx2 v[26:27], v[16:17] offset:128
	flat_load_dwordx2 v[16:17], v[18:19] offset:256
	s_waitcnt vmcnt(0) lgkmcnt(0)
	v_mul_f64 v[16:17], s[36:37], v[16:17]
	v_fma_f64 v[16:17], s[14:15], v[24:25], v[16:17]
	v_add_co_u32 v24, vcc_lo, v30, s0
	v_add_co_ci_u32_e64 v25, null, s1, v31, vcc_lo
	flat_store_dwordx2 v[26:27], v[16:17] offset:256
	flat_load_dwordx2 v[16:17], v[18:19] offset:384
	v_add_co_u32 v18, vcc_lo, v24, v0
	v_add_co_ci_u32_e64 v19, null, v25, v1, vcc_lo
	s_waitcnt vmcnt(0) lgkmcnt(0)
	v_mul_f64 v[16:17], s[36:37], v[16:17]
	v_fma_f64 v[16:17], s[14:15], v[20:21], v[16:17]
	flat_store_dwordx2 v[26:27], v[16:17] offset:384
	flat_load_dwordx2 v[16:17], v[18:19]
	s_waitcnt vmcnt(0) lgkmcnt(0)
	v_mul_f64 v[16:17], s[36:37], v[16:17]
	v_fma_f64 v[16:17], s[14:15], v[22:23], v[16:17]
	v_add_co_u32 v22, vcc_lo, v32, s2
	v_add_co_ci_u32_e64 v23, null, s3, v33, vcc_lo
	v_add_co_u32 v20, vcc_lo, v22, v0
	v_add_co_ci_u32_e64 v21, null, v23, v1, vcc_lo
	flat_store_dwordx2 v[20:21], v[16:17]
	flat_load_dwordx2 v[16:17], v[18:19] offset:128
	s_waitcnt vmcnt(0) lgkmcnt(0)
	v_mul_f64 v[16:17], s[36:37], v[16:17]
	v_fma_f64 v[14:15], s[14:15], v[14:15], v[16:17]
	flat_store_dwordx2 v[20:21], v[14:15] offset:128
	flat_load_dwordx2 v[14:15], v[18:19] offset:256
	s_waitcnt vmcnt(0) lgkmcnt(0)
	v_mul_f64 v[14:15], s[36:37], v[14:15]
	v_fma_f64 v[12:13], s[14:15], v[12:13], v[14:15]
	flat_store_dwordx2 v[20:21], v[12:13] offset:256
	flat_load_dwordx2 v[12:13], v[18:19] offset:384
	s_waitcnt vmcnt(0) lgkmcnt(0)
	v_mul_f64 v[12:13], s[36:37], v[12:13]
	v_fma_f64 v[10:11], s[14:15], v[10:11], v[12:13]
	v_add_co_u32 v12, vcc_lo, v24, s0
	v_add_co_ci_u32_e64 v13, null, s1, v25, vcc_lo
	v_add_co_u32 v12, vcc_lo, v12, v0
	v_add_co_ci_u32_e64 v13, null, v13, v1, vcc_lo
	flat_store_dwordx2 v[20:21], v[10:11] offset:384
	flat_load_dwordx2 v[10:11], v[12:13]
	s_waitcnt vmcnt(0) lgkmcnt(0)
	v_mul_f64 v[10:11], s[36:37], v[10:11]
	v_fma_f64 v[8:9], s[14:15], v[8:9], v[10:11]
	v_add_co_u32 v10, vcc_lo, v22, s2
	v_add_co_ci_u32_e64 v11, null, s3, v23, vcc_lo
	v_add_co_u32 v0, vcc_lo, v10, v0
	v_add_co_ci_u32_e64 v1, null, v11, v1, vcc_lo
	flat_store_dwordx2 v[0:1], v[8:9]
	flat_load_dwordx2 v[8:9], v[12:13] offset:128
	s_waitcnt vmcnt(0) lgkmcnt(0)
	v_mul_f64 v[8:9], s[36:37], v[8:9]
	v_fma_f64 v[6:7], s[14:15], v[6:7], v[8:9]
	flat_store_dwordx2 v[0:1], v[6:7] offset:128
	flat_load_dwordx2 v[6:7], v[12:13] offset:256
	s_waitcnt vmcnt(0) lgkmcnt(0)
	v_mul_f64 v[6:7], s[36:37], v[6:7]
	v_fma_f64 v[4:5], s[14:15], v[4:5], v[6:7]
	flat_store_dwordx2 v[0:1], v[4:5] offset:256
	;; [unrolled: 5-line block ×3, first 2 shown]
.LBB209_7:
	s_endpgm
.LBB209_8:
	s_branch .LBB209_6
	.section	.rodata,"a",@progbits
	.p2align	6, 0x0
	.amdhsa_kernel _ZN12_GLOBAL__N_127rocblas_gemm_batched_kernelIdLi16ELi16ELi64ELi64ELi4ELi64ELi4ELi4ELi64ELc67ELc67EKPKdS3_KPdEEvlllT_PT11_llS8_llS6_PT12_llPT13_lli
		.amdhsa_group_segment_fixed_size 4096
		.amdhsa_private_segment_fixed_size 0
		.amdhsa_kernarg_size 140
		.amdhsa_user_sgpr_count 6
		.amdhsa_user_sgpr_private_segment_buffer 1
		.amdhsa_user_sgpr_dispatch_ptr 0
		.amdhsa_user_sgpr_queue_ptr 0
		.amdhsa_user_sgpr_kernarg_segment_ptr 1
		.amdhsa_user_sgpr_dispatch_id 0
		.amdhsa_user_sgpr_flat_scratch_init 0
		.amdhsa_user_sgpr_private_segment_size 0
		.amdhsa_wavefront_size32 1
		.amdhsa_uses_dynamic_stack 0
		.amdhsa_system_sgpr_private_segment_wavefront_offset 0
		.amdhsa_system_sgpr_workgroup_id_x 1
		.amdhsa_system_sgpr_workgroup_id_y 1
		.amdhsa_system_sgpr_workgroup_id_z 1
		.amdhsa_system_sgpr_workgroup_info 0
		.amdhsa_system_vgpr_workitem_id 1
		.amdhsa_next_free_vgpr 78
		.amdhsa_next_free_sgpr 52
		.amdhsa_reserve_vcc 1
		.amdhsa_reserve_flat_scratch 0
		.amdhsa_float_round_mode_32 0
		.amdhsa_float_round_mode_16_64 0
		.amdhsa_float_denorm_mode_32 3
		.amdhsa_float_denorm_mode_16_64 3
		.amdhsa_dx10_clamp 1
		.amdhsa_ieee_mode 1
		.amdhsa_fp16_overflow 0
		.amdhsa_workgroup_processor_mode 1
		.amdhsa_memory_ordered 1
		.amdhsa_forward_progress 1
		.amdhsa_shared_vgpr_count 0
		.amdhsa_exception_fp_ieee_invalid_op 0
		.amdhsa_exception_fp_denorm_src 0
		.amdhsa_exception_fp_ieee_div_zero 0
		.amdhsa_exception_fp_ieee_overflow 0
		.amdhsa_exception_fp_ieee_underflow 0
		.amdhsa_exception_fp_ieee_inexact 0
		.amdhsa_exception_int_div_zero 0
	.end_amdhsa_kernel
	.section	.text._ZN12_GLOBAL__N_127rocblas_gemm_batched_kernelIdLi16ELi16ELi64ELi64ELi4ELi64ELi4ELi4ELi64ELc67ELc67EKPKdS3_KPdEEvlllT_PT11_llS8_llS6_PT12_llPT13_lli,"axG",@progbits,_ZN12_GLOBAL__N_127rocblas_gemm_batched_kernelIdLi16ELi16ELi64ELi64ELi4ELi64ELi4ELi4ELi64ELc67ELc67EKPKdS3_KPdEEvlllT_PT11_llS8_llS6_PT12_llPT13_lli,comdat
.Lfunc_end209:
	.size	_ZN12_GLOBAL__N_127rocblas_gemm_batched_kernelIdLi16ELi16ELi64ELi64ELi4ELi64ELi4ELi4ELi64ELc67ELc67EKPKdS3_KPdEEvlllT_PT11_llS8_llS6_PT12_llPT13_lli, .Lfunc_end209-_ZN12_GLOBAL__N_127rocblas_gemm_batched_kernelIdLi16ELi16ELi64ELi64ELi4ELi64ELi4ELi4ELi64ELc67ELc67EKPKdS3_KPdEEvlllT_PT11_llS8_llS6_PT12_llPT13_lli
                                        ; -- End function
	.set _ZN12_GLOBAL__N_127rocblas_gemm_batched_kernelIdLi16ELi16ELi64ELi64ELi4ELi64ELi4ELi4ELi64ELc67ELc67EKPKdS3_KPdEEvlllT_PT11_llS8_llS6_PT12_llPT13_lli.num_vgpr, 78
	.set _ZN12_GLOBAL__N_127rocblas_gemm_batched_kernelIdLi16ELi16ELi64ELi64ELi4ELi64ELi4ELi4ELi64ELc67ELc67EKPKdS3_KPdEEvlllT_PT11_llS8_llS6_PT12_llPT13_lli.num_agpr, 0
	.set _ZN12_GLOBAL__N_127rocblas_gemm_batched_kernelIdLi16ELi16ELi64ELi64ELi4ELi64ELi4ELi4ELi64ELc67ELc67EKPKdS3_KPdEEvlllT_PT11_llS8_llS6_PT12_llPT13_lli.numbered_sgpr, 52
	.set _ZN12_GLOBAL__N_127rocblas_gemm_batched_kernelIdLi16ELi16ELi64ELi64ELi4ELi64ELi4ELi4ELi64ELc67ELc67EKPKdS3_KPdEEvlllT_PT11_llS8_llS6_PT12_llPT13_lli.num_named_barrier, 0
	.set _ZN12_GLOBAL__N_127rocblas_gemm_batched_kernelIdLi16ELi16ELi64ELi64ELi4ELi64ELi4ELi4ELi64ELc67ELc67EKPKdS3_KPdEEvlllT_PT11_llS8_llS6_PT12_llPT13_lli.private_seg_size, 0
	.set _ZN12_GLOBAL__N_127rocblas_gemm_batched_kernelIdLi16ELi16ELi64ELi64ELi4ELi64ELi4ELi4ELi64ELc67ELc67EKPKdS3_KPdEEvlllT_PT11_llS8_llS6_PT12_llPT13_lli.uses_vcc, 1
	.set _ZN12_GLOBAL__N_127rocblas_gemm_batched_kernelIdLi16ELi16ELi64ELi64ELi4ELi64ELi4ELi4ELi64ELc67ELc67EKPKdS3_KPdEEvlllT_PT11_llS8_llS6_PT12_llPT13_lli.uses_flat_scratch, 0
	.set _ZN12_GLOBAL__N_127rocblas_gemm_batched_kernelIdLi16ELi16ELi64ELi64ELi4ELi64ELi4ELi4ELi64ELc67ELc67EKPKdS3_KPdEEvlllT_PT11_llS8_llS6_PT12_llPT13_lli.has_dyn_sized_stack, 0
	.set _ZN12_GLOBAL__N_127rocblas_gemm_batched_kernelIdLi16ELi16ELi64ELi64ELi4ELi64ELi4ELi4ELi64ELc67ELc67EKPKdS3_KPdEEvlllT_PT11_llS8_llS6_PT12_llPT13_lli.has_recursion, 0
	.set _ZN12_GLOBAL__N_127rocblas_gemm_batched_kernelIdLi16ELi16ELi64ELi64ELi4ELi64ELi4ELi4ELi64ELc67ELc67EKPKdS3_KPdEEvlllT_PT11_llS8_llS6_PT12_llPT13_lli.has_indirect_call, 0
	.section	.AMDGPU.csdata,"",@progbits
; Kernel info:
; codeLenInByte = 2900
; TotalNumSgprs: 54
; NumVgprs: 78
; ScratchSize: 0
; MemoryBound: 0
; FloatMode: 240
; IeeeMode: 1
; LDSByteSize: 4096 bytes/workgroup (compile time only)
; SGPRBlocks: 0
; VGPRBlocks: 9
; NumSGPRsForWavesPerEU: 54
; NumVGPRsForWavesPerEU: 78
; Occupancy: 12
; WaveLimiterHint : 1
; COMPUTE_PGM_RSRC2:SCRATCH_EN: 0
; COMPUTE_PGM_RSRC2:USER_SGPR: 6
; COMPUTE_PGM_RSRC2:TRAP_HANDLER: 0
; COMPUTE_PGM_RSRC2:TGID_X_EN: 1
; COMPUTE_PGM_RSRC2:TGID_Y_EN: 1
; COMPUTE_PGM_RSRC2:TGID_Z_EN: 1
; COMPUTE_PGM_RSRC2:TIDIG_COMP_CNT: 1
	.section	.text._ZN12_GLOBAL__N_127rocblas_gemm_batched_kernelIdLi16ELi16ELi64ELi64ELi4ELi64ELi4ELi4ELi64ELc67ELc78EKPKdS3_KPdEEvlllT_PT11_llS8_llS6_PT12_llPT13_lli,"axG",@progbits,_ZN12_GLOBAL__N_127rocblas_gemm_batched_kernelIdLi16ELi16ELi64ELi64ELi4ELi64ELi4ELi4ELi64ELc67ELc78EKPKdS3_KPdEEvlllT_PT11_llS8_llS6_PT12_llPT13_lli,comdat
	.globl	_ZN12_GLOBAL__N_127rocblas_gemm_batched_kernelIdLi16ELi16ELi64ELi64ELi4ELi64ELi4ELi4ELi64ELc67ELc78EKPKdS3_KPdEEvlllT_PT11_llS8_llS6_PT12_llPT13_lli ; -- Begin function _ZN12_GLOBAL__N_127rocblas_gemm_batched_kernelIdLi16ELi16ELi64ELi64ELi4ELi64ELi4ELi4ELi64ELc67ELc78EKPKdS3_KPdEEvlllT_PT11_llS8_llS6_PT12_llPT13_lli
	.p2align	8
	.type	_ZN12_GLOBAL__N_127rocblas_gemm_batched_kernelIdLi16ELi16ELi64ELi64ELi4ELi64ELi4ELi4ELi64ELc67ELc78EKPKdS3_KPdEEvlllT_PT11_llS8_llS6_PT12_llPT13_lli,@function
_ZN12_GLOBAL__N_127rocblas_gemm_batched_kernelIdLi16ELi16ELi64ELi64ELi4ELi64ELi4ELi4ELi64ELc67ELc78EKPKdS3_KPdEEvlllT_PT11_llS8_llS6_PT12_llPT13_lli: ; @_ZN12_GLOBAL__N_127rocblas_gemm_batched_kernelIdLi16ELi16ELi64ELi64ELi4ELi64ELi4ELi4ELi64ELc67ELc78EKPKdS3_KPdEEvlllT_PT11_llS8_llS6_PT12_llPT13_lli
; %bb.0:
	s_clause 0x2
	s_load_dwordx8 s[36:43], s[4:5], 0x50
	s_load_dwordx8 s[44:51], s[4:5], 0x70
	s_load_dwordx16 s[12:27], s[4:5], 0x10
	s_mov_b32 s9, 0
	s_mov_b32 s10, s7
	s_lshl_b64 s[0:1], s[8:9], 3
	s_waitcnt lgkmcnt(0)
	s_add_u32 s2, s38, s0
	s_addc_u32 s3, s39, s1
	s_add_u32 s4, s44, s0
	s_addc_u32 s5, s45, s1
	s_load_dwordx2 s[2:3], s[2:3], 0x0
	s_load_dwordx2 s[4:5], s[4:5], 0x0
	v_cmp_lt_i64_e64 s8, s[12:13], 1
	s_ashr_i32 s7, s6, 31
	s_ashr_i32 s11, s10, 31
	s_lshl_b64 s[6:7], s[6:7], 6
	s_and_b32 vcc_lo, exec_lo, s8
	s_lshl_b64 s[8:9], s[10:11], 6
	s_cbranch_vccnz .LBB210_3
; %bb.1:
	v_lshl_add_u32 v2, v1, 4, v0
	s_add_u32 s10, s16, s0
	v_and_b32_e32 v4, 3, v0
	s_addc_u32 s11, s17, s1
	s_add_u32 s0, s22, s0
	v_lshrrev_b32_e32 v5, 2, v2
	v_and_b32_e32 v7, 63, v2
	v_lshrrev_b32_e32 v8, 6, v2
	v_lshlrev_b32_e32 v10, 3, v4
	s_addc_u32 s1, s23, s1
	v_add_co_u32 v3, s16, v5, s8
	v_add_co_ci_u32_e64 v6, null, 0, s9, s16
	v_add_co_u32 v4, s16, s6, v7
	v_mul_lo_u32 v9, s25, v3
	v_mul_lo_u32 v6, s24, v6
	v_mad_u64_u32 v[2:3], null, s24, v3, 0
	v_add_co_ci_u32_e64 v11, null, s7, 0, s16
	v_lshl_or_b32 v12, v5, 5, v10
	s_load_dwordx2 s[0:1], s[0:1], 0x0
	v_lshlrev_b32_e32 v7, 3, v7
	s_load_dwordx2 s[10:11], s[10:11], 0x0
	v_add3_u32 v3, v3, v6, v9
	v_mul_lo_u32 v6, s19, v4
	v_mul_lo_u32 v9, s18, v11
	v_mad_u64_u32 v[4:5], null, s18, v4, 0
	v_lshlrev_b64 v[2:3], 3, v[2:3]
	s_lshl_b64 s[16:17], s[26:27], 3
	v_lshl_or_b32 v38, v8, 9, v7
	v_add_nc_u32_e32 v39, 0x800, v12
	v_mov_b32_e32 v12, 0
	v_mov_b32_e32 v14, 0
	v_add3_u32 v5, v5, v9, v6
	v_add_co_u32 v6, vcc_lo, v2, s16
	v_add_co_ci_u32_e64 v7, null, s17, v3, vcc_lo
	v_lshlrev_b64 v[2:3], 3, v[4:5]
	v_add_co_u32 v4, vcc_lo, v6, v10
	s_lshl_b64 s[16:17], s[20:21], 3
	v_add_co_ci_u32_e64 v5, null, 0, v7, vcc_lo
	v_add_co_u32 v2, vcc_lo, v2, s16
	v_lshlrev_b32_e32 v6, 3, v8
	v_add_co_ci_u32_e64 v3, null, s17, v3, vcc_lo
	s_waitcnt lgkmcnt(0)
	v_add_co_u32 v34, vcc_lo, s0, v4
	v_add_co_ci_u32_e64 v35, null, s1, v5, vcc_lo
	v_add_co_u32 v36, vcc_lo, v2, v6
	v_add_co_ci_u32_e64 v37, null, 0, v3, vcc_lo
	v_mov_b32_e32 v2, 0
	v_add_co_u32 v36, vcc_lo, s10, v36
	v_mov_b32_e32 v4, 0
	v_mov_b32_e32 v6, 0
	;; [unrolled: 1-line block ×13, first 2 shown]
	v_lshlrev_b32_e32 v40, 3, v0
	v_lshl_add_u32 v41, v1, 5, 0x800
	v_mov_b32_e32 v3, 0
	v_mov_b32_e32 v5, 0
	;; [unrolled: 1-line block ×16, first 2 shown]
	v_add_co_ci_u32_e64 v37, null, s11, v37, vcc_lo
	s_mov_b64 s[10:11], 0
.LBB210_2:                              ; =>This Inner Loop Header: Depth=1
	flat_load_dwordx2 v[42:43], v[36:37]
	s_add_u32 s10, s10, 4
	s_addc_u32 s11, s11, 0
	v_add_co_u32 v36, vcc_lo, v36, 32
	v_cmp_lt_i64_e64 s0, s[10:11], s[12:13]
	v_add_co_ci_u32_e64 v37, null, 0, v37, vcc_lo
	s_and_b32 vcc_lo, exec_lo, s0
	s_waitcnt vmcnt(0) lgkmcnt(0)
	ds_write_b64 v38, v[42:43]
	flat_load_dwordx2 v[42:43], v[34:35]
	v_add_co_u32 v34, s0, v34, 32
	v_add_co_ci_u32_e64 v35, null, 0, v35, s0
	s_waitcnt vmcnt(0) lgkmcnt(0)
	ds_write_b64 v39, v[42:43]
	s_waitcnt lgkmcnt(0)
	s_barrier
	buffer_gl0_inv
	ds_read_b128 v[42:45], v41
	ds_read2_b64 v[46:49], v40 offset1:16
	ds_read_b128 v[50:53], v41 offset:512
	ds_read_b128 v[54:57], v41 offset:16
	;; [unrolled: 1-line block ×3, first 2 shown]
	s_waitcnt lgkmcnt(3)
	v_fma_f64 v[70:71], v[46:47], v[42:43], v[30:31]
	v_fma_f64 v[72:73], v[48:49], v[42:43], v[26:27]
	s_waitcnt lgkmcnt(2)
	v_fma_f64 v[74:75], v[46:47], v[50:51], v[32:33]
	v_fma_f64 v[76:77], v[48:49], v[50:51], v[28:29]
	ds_read_b128 v[26:29], v41 offset:1024
	ds_read_b128 v[62:65], v41 offset:1040
	;; [unrolled: 1-line block ×4, first 2 shown]
	s_waitcnt lgkmcnt(3)
	v_fma_f64 v[22:23], v[46:47], v[26:27], v[22:23]
	v_fma_f64 v[14:15], v[48:49], v[26:27], v[14:15]
	s_waitcnt lgkmcnt(1)
	v_fma_f64 v[46:47], v[46:47], v[30:31], v[8:9]
	v_fma_f64 v[48:49], v[48:49], v[30:31], v[6:7]
	ds_read2_b64 v[6:9], v40 offset0:32 offset1:48
	s_waitcnt lgkmcnt(0)
	v_fma_f64 v[18:19], v[6:7], v[42:43], v[18:19]
	v_fma_f64 v[16:17], v[8:9], v[42:43], v[16:17]
	;; [unrolled: 1-line block ×8, first 2 shown]
	ds_read2_b64 v[2:5], v40 offset0:64 offset1:80
	ds_read2_b64 v[6:9], v40 offset0:96 offset1:112
	s_waitcnt lgkmcnt(1)
	v_fma_f64 v[42:43], v[2:3], v[44:45], v[70:71]
	v_fma_f64 v[50:51], v[4:5], v[44:45], v[72:73]
	s_waitcnt lgkmcnt(0)
	v_fma_f64 v[18:19], v[6:7], v[44:45], v[18:19]
	v_fma_f64 v[16:17], v[8:9], v[44:45], v[16:17]
	;; [unrolled: 1-line block ×10, first 2 shown]
	ds_read2_b64 v[2:5], v40 offset0:128 offset1:144
	v_fma_f64 v[24:25], v[6:7], v[52:53], v[24:25]
	v_fma_f64 v[20:21], v[8:9], v[52:53], v[20:21]
	;; [unrolled: 1-line block ×4, first 2 shown]
	s_waitcnt lgkmcnt(0)
	v_fma_f64 v[26:27], v[2:3], v[54:55], v[42:43]
	v_fma_f64 v[32:33], v[4:5], v[54:55], v[50:51]
	;; [unrolled: 1-line block ×8, first 2 shown]
	ds_read2_b64 v[2:5], v40 offset0:160 offset1:176
	ds_read2_b64 v[42:45], v40 offset0:224 offset1:240
	s_waitcnt lgkmcnt(1)
	v_fma_f64 v[18:19], v[2:3], v[54:55], v[18:19]
	v_fma_f64 v[16:17], v[4:5], v[54:55], v[16:17]
	;; [unrolled: 1-line block ×8, first 2 shown]
	ds_read2_b64 v[2:5], v40 offset0:192 offset1:208
	s_waitcnt lgkmcnt(0)
	s_barrier
	buffer_gl0_inv
	v_fma_f64 v[18:19], v[42:43], v[56:57], v[18:19]
	v_fma_f64 v[16:17], v[44:45], v[56:57], v[16:17]
	;; [unrolled: 1-line block ×16, first 2 shown]
	s_cbranch_vccnz .LBB210_2
	s_branch .LBB210_4
.LBB210_3:
	v_mov_b32_e32 v30, 0
	v_mov_b32_e32 v26, 0
	;; [unrolled: 1-line block ×32, first 2 shown]
.LBB210_4:
	v_cmp_neq_f64_e64 s10, s[36:37], 0
	v_add_co_u32 v34, s8, s8, v1
	v_add_co_ci_u32_e64 v37, null, s9, 0, s8
	v_add_co_u32 v0, s6, s6, v0
	v_add_co_ci_u32_e64 v1, null, s7, 0, s6
	v_mul_lo_u32 v35, v37, s46
	v_mul_lo_u32 v36, v34, s47
	s_lshl_b64 s[0:1], s[48:49], 3
	v_lshlrev_b64 v[0:1], 3, v[0:1]
	s_waitcnt lgkmcnt(0)
	s_add_u32 s0, s4, s0
	s_addc_u32 s1, s5, s1
	s_and_b32 vcc_lo, exec_lo, s10
	s_cbranch_vccnz .LBB210_8
; %bb.5:
	v_mad_u64_u32 v[38:39], null, v34, s46, 0
	v_mul_f64 v[40:41], s[14:15], v[30:31]
	v_mul_f64 v[42:43], s[14:15], v[26:27]
	;; [unrolled: 1-line block ×6, first 2 shown]
	v_add3_u32 v39, v39, v36, v35
	v_mul_f64 v[52:53], s[14:15], v[24:25]
	s_lshl_b64 s[4:5], s[46:47], 7
	v_lshlrev_b64 v[38:39], 3, v[38:39]
	v_add_co_u32 v54, vcc_lo, s0, v38
	v_add_co_ci_u32_e64 v55, null, s1, v39, vcc_lo
	v_mul_f64 v[38:39], s[14:15], v[20:21]
	v_add_co_u32 v58, vcc_lo, v54, s4
	v_add_co_ci_u32_e64 v59, null, s5, v55, vcc_lo
	v_add_co_u32 v54, vcc_lo, v54, v0
	v_add_co_ci_u32_e64 v55, null, v55, v1, vcc_lo
	;; [unrolled: 2-line block ×3, first 2 shown]
	flat_store_dwordx2 v[54:55], v[40:41]
	flat_store_dwordx2 v[54:55], v[42:43] offset:128
	flat_store_dwordx2 v[54:55], v[44:45] offset:256
	;; [unrolled: 1-line block ×3, first 2 shown]
	flat_store_dwordx2 v[56:57], v[48:49]
	flat_store_dwordx2 v[56:57], v[50:51] offset:128
	flat_store_dwordx2 v[56:57], v[52:53] offset:256
	v_mul_f64 v[40:41], s[14:15], v[22:23]
	v_mul_f64 v[54:55], s[14:15], v[2:3]
	;; [unrolled: 1-line block ×7, first 2 shown]
	v_add_co_u32 v58, vcc_lo, v58, s4
	v_mul_f64 v[52:53], s[14:15], v[4:5]
	v_add_co_ci_u32_e64 v59, null, s5, v59, vcc_lo
	flat_store_dwordx2 v[56:57], v[38:39] offset:384
	v_add_co_u32 v56, vcc_lo, v58, s4
	v_add_co_ci_u32_e64 v57, null, s5, v59, vcc_lo
	v_add_co_u32 v38, vcc_lo, v58, v0
	v_add_co_ci_u32_e64 v39, null, v59, v1, vcc_lo
	;; [unrolled: 2-line block ×3, first 2 shown]
	flat_store_dwordx2 v[38:39], v[40:41]
	flat_store_dwordx2 v[38:39], v[42:43] offset:128
	flat_store_dwordx2 v[38:39], v[44:45] offset:256
	flat_store_dwordx2 v[38:39], v[46:47] offset:384
	flat_store_dwordx2 v[56:57], v[48:49]
	flat_store_dwordx2 v[56:57], v[50:51] offset:128
	flat_store_dwordx2 v[56:57], v[52:53] offset:256
	;; [unrolled: 1-line block ×3, first 2 shown]
	s_cbranch_execnz .LBB210_7
.LBB210_6:
	v_mul_lo_u32 v39, v37, s40
	v_mul_lo_u32 v40, v34, s41
	v_mad_u64_u32 v[37:38], null, v34, s40, 0
	s_lshl_b64 s[4:5], s[42:43], 3
	v_mad_u64_u32 v[41:42], null, v34, s46, 0
	s_add_u32 s2, s2, s4
	s_addc_u32 s3, s3, s5
	v_add3_u32 v38, v38, v40, v39
	v_add3_u32 v42, v42, v36, v35
	v_lshlrev_b64 v[37:38], 3, v[37:38]
	v_lshlrev_b64 v[34:35], 3, v[41:42]
	v_add_co_u32 v43, vcc_lo, s2, v37
	v_add_co_ci_u32_e64 v44, null, s3, v38, vcc_lo
	s_lshl_b64 s[2:3], s[46:47], 7
	v_add_co_u32 v37, vcc_lo, v43, v0
	v_add_co_ci_u32_e64 v38, null, v44, v1, vcc_lo
	v_add_co_u32 v36, vcc_lo, s0, v34
	flat_load_dwordx2 v[39:40], v[37:38]
	s_waitcnt vmcnt(0) lgkmcnt(0)
	v_mul_f64 v[39:40], s[36:37], v[39:40]
	v_fma_f64 v[30:31], s[14:15], v[30:31], v[39:40]
	v_add_co_ci_u32_e64 v39, null, s1, v35, vcc_lo
	v_add_co_u32 v34, vcc_lo, v36, v0
	s_lshl_b64 s[0:1], s[40:41], 7
	v_add_co_ci_u32_e64 v35, null, v39, v1, vcc_lo
	flat_store_dwordx2 v[34:35], v[30:31]
	flat_load_dwordx2 v[30:31], v[37:38] offset:128
	s_waitcnt vmcnt(0) lgkmcnt(0)
	v_mul_f64 v[30:31], s[36:37], v[30:31]
	v_fma_f64 v[26:27], s[14:15], v[26:27], v[30:31]
	v_add_co_u32 v30, vcc_lo, v43, s0
	v_add_co_ci_u32_e64 v31, null, s1, v44, vcc_lo
	flat_store_dwordx2 v[34:35], v[26:27] offset:128
	flat_load_dwordx2 v[26:27], v[37:38] offset:256
	s_waitcnt vmcnt(0) lgkmcnt(0)
	v_mul_f64 v[26:27], s[36:37], v[26:27]
	v_fma_f64 v[18:19], s[14:15], v[18:19], v[26:27]
	flat_store_dwordx2 v[34:35], v[18:19] offset:256
	flat_load_dwordx2 v[18:19], v[37:38] offset:384
	s_waitcnt vmcnt(0) lgkmcnt(0)
	v_mul_f64 v[18:19], s[36:37], v[18:19]
	v_fma_f64 v[16:17], s[14:15], v[16:17], v[18:19]
	v_add_co_u32 v18, vcc_lo, v30, v0
	v_add_co_ci_u32_e64 v19, null, v31, v1, vcc_lo
	flat_store_dwordx2 v[34:35], v[16:17] offset:384
	flat_load_dwordx2 v[16:17], v[18:19]
	s_waitcnt vmcnt(0) lgkmcnt(0)
	v_mul_f64 v[16:17], s[36:37], v[16:17]
	v_fma_f64 v[16:17], s[14:15], v[32:33], v[16:17]
	v_add_co_u32 v32, vcc_lo, v36, s2
	v_add_co_ci_u32_e64 v33, null, s3, v39, vcc_lo
	v_add_co_u32 v26, vcc_lo, v32, v0
	v_add_co_ci_u32_e64 v27, null, v33, v1, vcc_lo
	flat_store_dwordx2 v[26:27], v[16:17]
	flat_load_dwordx2 v[16:17], v[18:19] offset:128
	s_waitcnt vmcnt(0) lgkmcnt(0)
	v_mul_f64 v[16:17], s[36:37], v[16:17]
	v_fma_f64 v[16:17], s[14:15], v[28:29], v[16:17]
	flat_store_dwordx2 v[26:27], v[16:17] offset:128
	flat_load_dwordx2 v[16:17], v[18:19] offset:256
	s_waitcnt vmcnt(0) lgkmcnt(0)
	v_mul_f64 v[16:17], s[36:37], v[16:17]
	v_fma_f64 v[16:17], s[14:15], v[24:25], v[16:17]
	v_add_co_u32 v24, vcc_lo, v30, s0
	v_add_co_ci_u32_e64 v25, null, s1, v31, vcc_lo
	flat_store_dwordx2 v[26:27], v[16:17] offset:256
	flat_load_dwordx2 v[16:17], v[18:19] offset:384
	v_add_co_u32 v18, vcc_lo, v24, v0
	v_add_co_ci_u32_e64 v19, null, v25, v1, vcc_lo
	s_waitcnt vmcnt(0) lgkmcnt(0)
	v_mul_f64 v[16:17], s[36:37], v[16:17]
	v_fma_f64 v[16:17], s[14:15], v[20:21], v[16:17]
	flat_store_dwordx2 v[26:27], v[16:17] offset:384
	flat_load_dwordx2 v[16:17], v[18:19]
	s_waitcnt vmcnt(0) lgkmcnt(0)
	v_mul_f64 v[16:17], s[36:37], v[16:17]
	v_fma_f64 v[16:17], s[14:15], v[22:23], v[16:17]
	v_add_co_u32 v22, vcc_lo, v32, s2
	v_add_co_ci_u32_e64 v23, null, s3, v33, vcc_lo
	v_add_co_u32 v20, vcc_lo, v22, v0
	v_add_co_ci_u32_e64 v21, null, v23, v1, vcc_lo
	flat_store_dwordx2 v[20:21], v[16:17]
	flat_load_dwordx2 v[16:17], v[18:19] offset:128
	s_waitcnt vmcnt(0) lgkmcnt(0)
	v_mul_f64 v[16:17], s[36:37], v[16:17]
	v_fma_f64 v[14:15], s[14:15], v[14:15], v[16:17]
	flat_store_dwordx2 v[20:21], v[14:15] offset:128
	flat_load_dwordx2 v[14:15], v[18:19] offset:256
	s_waitcnt vmcnt(0) lgkmcnt(0)
	v_mul_f64 v[14:15], s[36:37], v[14:15]
	v_fma_f64 v[12:13], s[14:15], v[12:13], v[14:15]
	flat_store_dwordx2 v[20:21], v[12:13] offset:256
	flat_load_dwordx2 v[12:13], v[18:19] offset:384
	s_waitcnt vmcnt(0) lgkmcnt(0)
	v_mul_f64 v[12:13], s[36:37], v[12:13]
	v_fma_f64 v[10:11], s[14:15], v[10:11], v[12:13]
	v_add_co_u32 v12, vcc_lo, v24, s0
	v_add_co_ci_u32_e64 v13, null, s1, v25, vcc_lo
	v_add_co_u32 v12, vcc_lo, v12, v0
	v_add_co_ci_u32_e64 v13, null, v13, v1, vcc_lo
	flat_store_dwordx2 v[20:21], v[10:11] offset:384
	flat_load_dwordx2 v[10:11], v[12:13]
	s_waitcnt vmcnt(0) lgkmcnt(0)
	v_mul_f64 v[10:11], s[36:37], v[10:11]
	v_fma_f64 v[8:9], s[14:15], v[8:9], v[10:11]
	v_add_co_u32 v10, vcc_lo, v22, s2
	v_add_co_ci_u32_e64 v11, null, s3, v23, vcc_lo
	v_add_co_u32 v0, vcc_lo, v10, v0
	v_add_co_ci_u32_e64 v1, null, v11, v1, vcc_lo
	flat_store_dwordx2 v[0:1], v[8:9]
	flat_load_dwordx2 v[8:9], v[12:13] offset:128
	s_waitcnt vmcnt(0) lgkmcnt(0)
	v_mul_f64 v[8:9], s[36:37], v[8:9]
	v_fma_f64 v[6:7], s[14:15], v[6:7], v[8:9]
	flat_store_dwordx2 v[0:1], v[6:7] offset:128
	flat_load_dwordx2 v[6:7], v[12:13] offset:256
	s_waitcnt vmcnt(0) lgkmcnt(0)
	v_mul_f64 v[6:7], s[36:37], v[6:7]
	v_fma_f64 v[4:5], s[14:15], v[4:5], v[6:7]
	flat_store_dwordx2 v[0:1], v[4:5] offset:256
	;; [unrolled: 5-line block ×3, first 2 shown]
.LBB210_7:
	s_endpgm
.LBB210_8:
	s_branch .LBB210_6
	.section	.rodata,"a",@progbits
	.p2align	6, 0x0
	.amdhsa_kernel _ZN12_GLOBAL__N_127rocblas_gemm_batched_kernelIdLi16ELi16ELi64ELi64ELi4ELi64ELi4ELi4ELi64ELc67ELc78EKPKdS3_KPdEEvlllT_PT11_llS8_llS6_PT12_llPT13_lli
		.amdhsa_group_segment_fixed_size 4096
		.amdhsa_private_segment_fixed_size 0
		.amdhsa_kernarg_size 140
		.amdhsa_user_sgpr_count 6
		.amdhsa_user_sgpr_private_segment_buffer 1
		.amdhsa_user_sgpr_dispatch_ptr 0
		.amdhsa_user_sgpr_queue_ptr 0
		.amdhsa_user_sgpr_kernarg_segment_ptr 1
		.amdhsa_user_sgpr_dispatch_id 0
		.amdhsa_user_sgpr_flat_scratch_init 0
		.amdhsa_user_sgpr_private_segment_size 0
		.amdhsa_wavefront_size32 1
		.amdhsa_uses_dynamic_stack 0
		.amdhsa_system_sgpr_private_segment_wavefront_offset 0
		.amdhsa_system_sgpr_workgroup_id_x 1
		.amdhsa_system_sgpr_workgroup_id_y 1
		.amdhsa_system_sgpr_workgroup_id_z 1
		.amdhsa_system_sgpr_workgroup_info 0
		.amdhsa_system_vgpr_workitem_id 1
		.amdhsa_next_free_vgpr 78
		.amdhsa_next_free_sgpr 52
		.amdhsa_reserve_vcc 1
		.amdhsa_reserve_flat_scratch 0
		.amdhsa_float_round_mode_32 0
		.amdhsa_float_round_mode_16_64 0
		.amdhsa_float_denorm_mode_32 3
		.amdhsa_float_denorm_mode_16_64 3
		.amdhsa_dx10_clamp 1
		.amdhsa_ieee_mode 1
		.amdhsa_fp16_overflow 0
		.amdhsa_workgroup_processor_mode 1
		.amdhsa_memory_ordered 1
		.amdhsa_forward_progress 1
		.amdhsa_shared_vgpr_count 0
		.amdhsa_exception_fp_ieee_invalid_op 0
		.amdhsa_exception_fp_denorm_src 0
		.amdhsa_exception_fp_ieee_div_zero 0
		.amdhsa_exception_fp_ieee_overflow 0
		.amdhsa_exception_fp_ieee_underflow 0
		.amdhsa_exception_fp_ieee_inexact 0
		.amdhsa_exception_int_div_zero 0
	.end_amdhsa_kernel
	.section	.text._ZN12_GLOBAL__N_127rocblas_gemm_batched_kernelIdLi16ELi16ELi64ELi64ELi4ELi64ELi4ELi4ELi64ELc67ELc78EKPKdS3_KPdEEvlllT_PT11_llS8_llS6_PT12_llPT13_lli,"axG",@progbits,_ZN12_GLOBAL__N_127rocblas_gemm_batched_kernelIdLi16ELi16ELi64ELi64ELi4ELi64ELi4ELi4ELi64ELc67ELc78EKPKdS3_KPdEEvlllT_PT11_llS8_llS6_PT12_llPT13_lli,comdat
.Lfunc_end210:
	.size	_ZN12_GLOBAL__N_127rocblas_gemm_batched_kernelIdLi16ELi16ELi64ELi64ELi4ELi64ELi4ELi4ELi64ELc67ELc78EKPKdS3_KPdEEvlllT_PT11_llS8_llS6_PT12_llPT13_lli, .Lfunc_end210-_ZN12_GLOBAL__N_127rocblas_gemm_batched_kernelIdLi16ELi16ELi64ELi64ELi4ELi64ELi4ELi4ELi64ELc67ELc78EKPKdS3_KPdEEvlllT_PT11_llS8_llS6_PT12_llPT13_lli
                                        ; -- End function
	.set _ZN12_GLOBAL__N_127rocblas_gemm_batched_kernelIdLi16ELi16ELi64ELi64ELi4ELi64ELi4ELi4ELi64ELc67ELc78EKPKdS3_KPdEEvlllT_PT11_llS8_llS6_PT12_llPT13_lli.num_vgpr, 78
	.set _ZN12_GLOBAL__N_127rocblas_gemm_batched_kernelIdLi16ELi16ELi64ELi64ELi4ELi64ELi4ELi4ELi64ELc67ELc78EKPKdS3_KPdEEvlllT_PT11_llS8_llS6_PT12_llPT13_lli.num_agpr, 0
	.set _ZN12_GLOBAL__N_127rocblas_gemm_batched_kernelIdLi16ELi16ELi64ELi64ELi4ELi64ELi4ELi4ELi64ELc67ELc78EKPKdS3_KPdEEvlllT_PT11_llS8_llS6_PT12_llPT13_lli.numbered_sgpr, 52
	.set _ZN12_GLOBAL__N_127rocblas_gemm_batched_kernelIdLi16ELi16ELi64ELi64ELi4ELi64ELi4ELi4ELi64ELc67ELc78EKPKdS3_KPdEEvlllT_PT11_llS8_llS6_PT12_llPT13_lli.num_named_barrier, 0
	.set _ZN12_GLOBAL__N_127rocblas_gemm_batched_kernelIdLi16ELi16ELi64ELi64ELi4ELi64ELi4ELi4ELi64ELc67ELc78EKPKdS3_KPdEEvlllT_PT11_llS8_llS6_PT12_llPT13_lli.private_seg_size, 0
	.set _ZN12_GLOBAL__N_127rocblas_gemm_batched_kernelIdLi16ELi16ELi64ELi64ELi4ELi64ELi4ELi4ELi64ELc67ELc78EKPKdS3_KPdEEvlllT_PT11_llS8_llS6_PT12_llPT13_lli.uses_vcc, 1
	.set _ZN12_GLOBAL__N_127rocblas_gemm_batched_kernelIdLi16ELi16ELi64ELi64ELi4ELi64ELi4ELi4ELi64ELc67ELc78EKPKdS3_KPdEEvlllT_PT11_llS8_llS6_PT12_llPT13_lli.uses_flat_scratch, 0
	.set _ZN12_GLOBAL__N_127rocblas_gemm_batched_kernelIdLi16ELi16ELi64ELi64ELi4ELi64ELi4ELi4ELi64ELc67ELc78EKPKdS3_KPdEEvlllT_PT11_llS8_llS6_PT12_llPT13_lli.has_dyn_sized_stack, 0
	.set _ZN12_GLOBAL__N_127rocblas_gemm_batched_kernelIdLi16ELi16ELi64ELi64ELi4ELi64ELi4ELi4ELi64ELc67ELc78EKPKdS3_KPdEEvlllT_PT11_llS8_llS6_PT12_llPT13_lli.has_recursion, 0
	.set _ZN12_GLOBAL__N_127rocblas_gemm_batched_kernelIdLi16ELi16ELi64ELi64ELi4ELi64ELi4ELi4ELi64ELc67ELc78EKPKdS3_KPdEEvlllT_PT11_llS8_llS6_PT12_llPT13_lli.has_indirect_call, 0
	.section	.AMDGPU.csdata,"",@progbits
; Kernel info:
; codeLenInByte = 2932
; TotalNumSgprs: 54
; NumVgprs: 78
; ScratchSize: 0
; MemoryBound: 0
; FloatMode: 240
; IeeeMode: 1
; LDSByteSize: 4096 bytes/workgroup (compile time only)
; SGPRBlocks: 0
; VGPRBlocks: 9
; NumSGPRsForWavesPerEU: 54
; NumVGPRsForWavesPerEU: 78
; Occupancy: 12
; WaveLimiterHint : 1
; COMPUTE_PGM_RSRC2:SCRATCH_EN: 0
; COMPUTE_PGM_RSRC2:USER_SGPR: 6
; COMPUTE_PGM_RSRC2:TRAP_HANDLER: 0
; COMPUTE_PGM_RSRC2:TGID_X_EN: 1
; COMPUTE_PGM_RSRC2:TGID_Y_EN: 1
; COMPUTE_PGM_RSRC2:TGID_Z_EN: 1
; COMPUTE_PGM_RSRC2:TIDIG_COMP_CNT: 1
	.section	.text._ZN12_GLOBAL__N_127rocblas_gemm_batched_kernelIdLi16ELi16ELi64ELi64ELi4ELi64ELi4ELi4ELi64ELc67ELc84EKPKdS3_KPdEEvlllT_PT11_llS8_llS6_PT12_llPT13_lli,"axG",@progbits,_ZN12_GLOBAL__N_127rocblas_gemm_batched_kernelIdLi16ELi16ELi64ELi64ELi4ELi64ELi4ELi4ELi64ELc67ELc84EKPKdS3_KPdEEvlllT_PT11_llS8_llS6_PT12_llPT13_lli,comdat
	.globl	_ZN12_GLOBAL__N_127rocblas_gemm_batched_kernelIdLi16ELi16ELi64ELi64ELi4ELi64ELi4ELi4ELi64ELc67ELc84EKPKdS3_KPdEEvlllT_PT11_llS8_llS6_PT12_llPT13_lli ; -- Begin function _ZN12_GLOBAL__N_127rocblas_gemm_batched_kernelIdLi16ELi16ELi64ELi64ELi4ELi64ELi4ELi4ELi64ELc67ELc84EKPKdS3_KPdEEvlllT_PT11_llS8_llS6_PT12_llPT13_lli
	.p2align	8
	.type	_ZN12_GLOBAL__N_127rocblas_gemm_batched_kernelIdLi16ELi16ELi64ELi64ELi4ELi64ELi4ELi4ELi64ELc67ELc84EKPKdS3_KPdEEvlllT_PT11_llS8_llS6_PT12_llPT13_lli,@function
_ZN12_GLOBAL__N_127rocblas_gemm_batched_kernelIdLi16ELi16ELi64ELi64ELi4ELi64ELi4ELi4ELi64ELc67ELc84EKPKdS3_KPdEEvlllT_PT11_llS8_llS6_PT12_llPT13_lli: ; @_ZN12_GLOBAL__N_127rocblas_gemm_batched_kernelIdLi16ELi16ELi64ELi64ELi4ELi64ELi4ELi4ELi64ELc67ELc84EKPKdS3_KPdEEvlllT_PT11_llS8_llS6_PT12_llPT13_lli
; %bb.0:
	s_clause 0x2
	s_load_dwordx8 s[36:43], s[4:5], 0x50
	s_load_dwordx8 s[44:51], s[4:5], 0x70
	s_load_dwordx16 s[12:27], s[4:5], 0x10
	s_mov_b32 s9, 0
	s_mov_b32 s10, s7
	s_lshl_b64 s[0:1], s[8:9], 3
	v_mov_b32_e32 v3, 0
	s_waitcnt lgkmcnt(0)
	s_add_u32 s2, s38, s0
	s_addc_u32 s3, s39, s1
	s_add_u32 s4, s44, s0
	s_addc_u32 s5, s45, s1
	s_load_dwordx2 s[2:3], s[2:3], 0x0
	s_load_dwordx2 s[4:5], s[4:5], 0x0
	v_cmp_lt_i64_e64 s8, s[12:13], 1
	s_ashr_i32 s7, s6, 31
	s_ashr_i32 s11, s10, 31
	s_lshl_b64 s[6:7], s[6:7], 6
	s_and_b32 vcc_lo, exec_lo, s8
	s_lshl_b64 s[8:9], s[10:11], 6
	s_cbranch_vccnz .LBB211_3
; %bb.1:
	v_lshl_add_u32 v5, v1, 4, v0
	s_add_u32 s10, s16, s0
	v_and_b32_e32 v7, 3, v0
	s_addc_u32 s11, s17, s1
	s_add_u32 s0, s22, s0
	v_and_b32_e32 v8, 63, v5
	v_lshrrev_b32_e32 v2, 2, v5
	s_addc_u32 s1, s23, s1
	v_lshrrev_b32_e32 v10, 6, v5
	s_load_dwordx2 s[0:1], s[0:1], 0x0
	v_add_co_u32 v6, s16, s6, v8
	v_mad_u64_u32 v[3:4], null, s24, v7, v[2:3]
	v_add_co_ci_u32_e64 v9, null, s7, 0, s16
	v_mul_lo_u32 v12, s19, v6
	v_mad_u64_u32 v[5:6], null, s18, v6, 0
	v_lshlrev_b32_e32 v11, 3, v7
	v_mul_lo_u32 v9, s18, v9
	v_lshlrev_b32_e32 v13, 3, v8
	s_load_dwordx2 s[10:11], s[10:11], 0x0
	s_lshl_b64 s[16:17], s[26:27], 3
	v_lshl_or_b32 v2, v2, 5, v11
	v_mad_u64_u32 v[7:8], null, s25, v7, v[4:5]
	v_lshl_or_b32 v38, v10, 9, v13
	v_add3_u32 v6, v6, v9, v12
	v_add_nc_u32_e32 v39, 0x800, v2
	v_add_co_u32 v2, vcc_lo, v3, s8
	s_waitcnt lgkmcnt(0)
	s_add_u32 s16, s0, s16
	v_add_co_ci_u32_e64 v3, null, s9, v7, vcc_lo
	v_lshlrev_b64 v[4:5], 3, v[5:6]
	s_addc_u32 s17, s1, s17
	s_lshl_b64 s[0:1], s[20:21], 3
	v_lshlrev_b64 v[2:3], 3, v[2:3]
	v_lshlrev_b32_e32 v6, 3, v10
	v_mov_b32_e32 v8, 0
	v_add_co_u32 v4, vcc_lo, v4, s0
	v_add_co_ci_u32_e64 v5, null, s1, v5, vcc_lo
	v_add_co_u32 v34, vcc_lo, s16, v2
	v_add_co_ci_u32_e64 v35, null, s17, v3, vcc_lo
	;; [unrolled: 2-line block ×3, first 2 shown]
	v_mov_b32_e32 v2, 0
	v_add_co_u32 v36, vcc_lo, s10, v36
	v_mov_b32_e32 v4, 0
	v_mov_b32_e32 v6, 0
	;; [unrolled: 1-line block ×14, first 2 shown]
	v_lshlrev_b32_e32 v40, 3, v0
	v_lshl_add_u32 v41, v1, 5, 0x800
	v_mov_b32_e32 v3, 0
	v_mov_b32_e32 v5, 0
	;; [unrolled: 1-line block ×16, first 2 shown]
	v_add_co_ci_u32_e64 v37, null, s11, v37, vcc_lo
	s_lshl_b64 s[10:11], s[24:25], 5
	s_mov_b64 s[16:17], 0
.LBB211_2:                              ; =>This Inner Loop Header: Depth=1
	flat_load_dwordx2 v[42:43], v[36:37]
	s_add_u32 s16, s16, 4
	s_addc_u32 s17, s17, 0
	v_add_co_u32 v36, vcc_lo, v36, 32
	v_cmp_lt_i64_e64 s0, s[16:17], s[12:13]
	v_add_co_ci_u32_e64 v37, null, 0, v37, vcc_lo
	s_and_b32 vcc_lo, exec_lo, s0
	s_waitcnt vmcnt(0) lgkmcnt(0)
	ds_write_b64 v38, v[42:43]
	flat_load_dwordx2 v[42:43], v[34:35]
	v_add_co_u32 v34, s0, v34, s10
	v_add_co_ci_u32_e64 v35, null, s11, v35, s0
	s_waitcnt vmcnt(0) lgkmcnt(0)
	ds_write_b64 v39, v[42:43]
	s_waitcnt lgkmcnt(0)
	s_barrier
	buffer_gl0_inv
	ds_read_b128 v[42:45], v41
	ds_read2_b64 v[46:49], v40 offset1:16
	ds_read_b128 v[50:53], v41 offset:512
	ds_read_b128 v[54:57], v41 offset:16
	;; [unrolled: 1-line block ×3, first 2 shown]
	s_waitcnt lgkmcnt(3)
	v_fma_f64 v[70:71], v[46:47], v[42:43], v[30:31]
	v_fma_f64 v[72:73], v[48:49], v[42:43], v[26:27]
	s_waitcnt lgkmcnt(2)
	v_fma_f64 v[74:75], v[46:47], v[50:51], v[32:33]
	v_fma_f64 v[76:77], v[48:49], v[50:51], v[28:29]
	ds_read_b128 v[26:29], v41 offset:1024
	ds_read_b128 v[62:65], v41 offset:1040
	;; [unrolled: 1-line block ×4, first 2 shown]
	s_waitcnt lgkmcnt(3)
	v_fma_f64 v[22:23], v[46:47], v[26:27], v[22:23]
	v_fma_f64 v[14:15], v[48:49], v[26:27], v[14:15]
	s_waitcnt lgkmcnt(1)
	v_fma_f64 v[46:47], v[46:47], v[30:31], v[8:9]
	v_fma_f64 v[48:49], v[48:49], v[30:31], v[6:7]
	ds_read2_b64 v[6:9], v40 offset0:32 offset1:48
	s_waitcnt lgkmcnt(0)
	v_fma_f64 v[18:19], v[6:7], v[42:43], v[18:19]
	v_fma_f64 v[16:17], v[8:9], v[42:43], v[16:17]
	;; [unrolled: 1-line block ×8, first 2 shown]
	ds_read2_b64 v[2:5], v40 offset0:64 offset1:80
	ds_read2_b64 v[6:9], v40 offset0:96 offset1:112
	s_waitcnt lgkmcnt(1)
	v_fma_f64 v[42:43], v[2:3], v[44:45], v[70:71]
	v_fma_f64 v[50:51], v[4:5], v[44:45], v[72:73]
	s_waitcnt lgkmcnt(0)
	v_fma_f64 v[18:19], v[6:7], v[44:45], v[18:19]
	v_fma_f64 v[16:17], v[8:9], v[44:45], v[16:17]
	;; [unrolled: 1-line block ×10, first 2 shown]
	ds_read2_b64 v[2:5], v40 offset0:128 offset1:144
	v_fma_f64 v[24:25], v[6:7], v[52:53], v[24:25]
	v_fma_f64 v[20:21], v[8:9], v[52:53], v[20:21]
	;; [unrolled: 1-line block ×4, first 2 shown]
	s_waitcnt lgkmcnt(0)
	v_fma_f64 v[26:27], v[2:3], v[54:55], v[42:43]
	v_fma_f64 v[32:33], v[4:5], v[54:55], v[50:51]
	;; [unrolled: 1-line block ×8, first 2 shown]
	ds_read2_b64 v[2:5], v40 offset0:160 offset1:176
	ds_read2_b64 v[42:45], v40 offset0:224 offset1:240
	s_waitcnt lgkmcnt(1)
	v_fma_f64 v[18:19], v[2:3], v[54:55], v[18:19]
	v_fma_f64 v[16:17], v[4:5], v[54:55], v[16:17]
	;; [unrolled: 1-line block ×8, first 2 shown]
	ds_read2_b64 v[2:5], v40 offset0:192 offset1:208
	s_waitcnt lgkmcnt(0)
	s_barrier
	buffer_gl0_inv
	v_fma_f64 v[18:19], v[42:43], v[56:57], v[18:19]
	v_fma_f64 v[16:17], v[44:45], v[56:57], v[16:17]
	;; [unrolled: 1-line block ×16, first 2 shown]
	s_cbranch_vccnz .LBB211_2
	s_branch .LBB211_4
.LBB211_3:
	v_mov_b32_e32 v30, 0
	v_mov_b32_e32 v26, 0
	;; [unrolled: 1-line block ×32, first 2 shown]
.LBB211_4:
	v_cmp_neq_f64_e64 s10, s[36:37], 0
	v_add_co_u32 v34, s8, s8, v1
	v_add_co_ci_u32_e64 v37, null, s9, 0, s8
	v_add_co_u32 v0, s6, s6, v0
	v_add_co_ci_u32_e64 v1, null, s7, 0, s6
	v_mul_lo_u32 v35, v37, s46
	v_mul_lo_u32 v36, v34, s47
	s_lshl_b64 s[0:1], s[48:49], 3
	v_lshlrev_b64 v[0:1], 3, v[0:1]
	s_waitcnt lgkmcnt(0)
	s_add_u32 s0, s4, s0
	s_addc_u32 s1, s5, s1
	s_and_b32 vcc_lo, exec_lo, s10
	s_cbranch_vccnz .LBB211_8
; %bb.5:
	v_mad_u64_u32 v[38:39], null, v34, s46, 0
	v_mul_f64 v[40:41], s[14:15], v[30:31]
	v_mul_f64 v[42:43], s[14:15], v[26:27]
	;; [unrolled: 1-line block ×6, first 2 shown]
	v_add3_u32 v39, v39, v36, v35
	v_mul_f64 v[52:53], s[14:15], v[24:25]
	s_lshl_b64 s[4:5], s[46:47], 7
	v_lshlrev_b64 v[38:39], 3, v[38:39]
	v_add_co_u32 v54, vcc_lo, s0, v38
	v_add_co_ci_u32_e64 v55, null, s1, v39, vcc_lo
	v_mul_f64 v[38:39], s[14:15], v[20:21]
	v_add_co_u32 v58, vcc_lo, v54, s4
	v_add_co_ci_u32_e64 v59, null, s5, v55, vcc_lo
	v_add_co_u32 v54, vcc_lo, v54, v0
	v_add_co_ci_u32_e64 v55, null, v55, v1, vcc_lo
	;; [unrolled: 2-line block ×3, first 2 shown]
	flat_store_dwordx2 v[54:55], v[40:41]
	flat_store_dwordx2 v[54:55], v[42:43] offset:128
	flat_store_dwordx2 v[54:55], v[44:45] offset:256
	;; [unrolled: 1-line block ×3, first 2 shown]
	flat_store_dwordx2 v[56:57], v[48:49]
	flat_store_dwordx2 v[56:57], v[50:51] offset:128
	flat_store_dwordx2 v[56:57], v[52:53] offset:256
	v_mul_f64 v[40:41], s[14:15], v[22:23]
	v_mul_f64 v[54:55], s[14:15], v[2:3]
	;; [unrolled: 1-line block ×7, first 2 shown]
	v_add_co_u32 v58, vcc_lo, v58, s4
	v_mul_f64 v[52:53], s[14:15], v[4:5]
	v_add_co_ci_u32_e64 v59, null, s5, v59, vcc_lo
	flat_store_dwordx2 v[56:57], v[38:39] offset:384
	v_add_co_u32 v56, vcc_lo, v58, s4
	v_add_co_ci_u32_e64 v57, null, s5, v59, vcc_lo
	v_add_co_u32 v38, vcc_lo, v58, v0
	v_add_co_ci_u32_e64 v39, null, v59, v1, vcc_lo
	;; [unrolled: 2-line block ×3, first 2 shown]
	flat_store_dwordx2 v[38:39], v[40:41]
	flat_store_dwordx2 v[38:39], v[42:43] offset:128
	flat_store_dwordx2 v[38:39], v[44:45] offset:256
	;; [unrolled: 1-line block ×3, first 2 shown]
	flat_store_dwordx2 v[56:57], v[48:49]
	flat_store_dwordx2 v[56:57], v[50:51] offset:128
	flat_store_dwordx2 v[56:57], v[52:53] offset:256
	;; [unrolled: 1-line block ×3, first 2 shown]
	s_cbranch_execnz .LBB211_7
.LBB211_6:
	v_mul_lo_u32 v39, v37, s40
	v_mul_lo_u32 v40, v34, s41
	v_mad_u64_u32 v[37:38], null, v34, s40, 0
	s_lshl_b64 s[4:5], s[42:43], 3
	v_mad_u64_u32 v[41:42], null, v34, s46, 0
	s_add_u32 s2, s2, s4
	s_addc_u32 s3, s3, s5
	v_add3_u32 v38, v38, v40, v39
	v_add3_u32 v42, v42, v36, v35
	v_lshlrev_b64 v[37:38], 3, v[37:38]
	v_lshlrev_b64 v[34:35], 3, v[41:42]
	v_add_co_u32 v43, vcc_lo, s2, v37
	v_add_co_ci_u32_e64 v44, null, s3, v38, vcc_lo
	s_lshl_b64 s[2:3], s[46:47], 7
	v_add_co_u32 v37, vcc_lo, v43, v0
	v_add_co_ci_u32_e64 v38, null, v44, v1, vcc_lo
	v_add_co_u32 v36, vcc_lo, s0, v34
	flat_load_dwordx2 v[39:40], v[37:38]
	s_waitcnt vmcnt(0) lgkmcnt(0)
	v_mul_f64 v[39:40], s[36:37], v[39:40]
	v_fma_f64 v[30:31], s[14:15], v[30:31], v[39:40]
	v_add_co_ci_u32_e64 v39, null, s1, v35, vcc_lo
	v_add_co_u32 v34, vcc_lo, v36, v0
	s_lshl_b64 s[0:1], s[40:41], 7
	v_add_co_ci_u32_e64 v35, null, v39, v1, vcc_lo
	flat_store_dwordx2 v[34:35], v[30:31]
	flat_load_dwordx2 v[30:31], v[37:38] offset:128
	s_waitcnt vmcnt(0) lgkmcnt(0)
	v_mul_f64 v[30:31], s[36:37], v[30:31]
	v_fma_f64 v[26:27], s[14:15], v[26:27], v[30:31]
	v_add_co_u32 v30, vcc_lo, v43, s0
	v_add_co_ci_u32_e64 v31, null, s1, v44, vcc_lo
	flat_store_dwordx2 v[34:35], v[26:27] offset:128
	flat_load_dwordx2 v[26:27], v[37:38] offset:256
	s_waitcnt vmcnt(0) lgkmcnt(0)
	v_mul_f64 v[26:27], s[36:37], v[26:27]
	v_fma_f64 v[18:19], s[14:15], v[18:19], v[26:27]
	flat_store_dwordx2 v[34:35], v[18:19] offset:256
	flat_load_dwordx2 v[18:19], v[37:38] offset:384
	s_waitcnt vmcnt(0) lgkmcnt(0)
	v_mul_f64 v[18:19], s[36:37], v[18:19]
	v_fma_f64 v[16:17], s[14:15], v[16:17], v[18:19]
	v_add_co_u32 v18, vcc_lo, v30, v0
	v_add_co_ci_u32_e64 v19, null, v31, v1, vcc_lo
	flat_store_dwordx2 v[34:35], v[16:17] offset:384
	flat_load_dwordx2 v[16:17], v[18:19]
	s_waitcnt vmcnt(0) lgkmcnt(0)
	v_mul_f64 v[16:17], s[36:37], v[16:17]
	v_fma_f64 v[16:17], s[14:15], v[32:33], v[16:17]
	v_add_co_u32 v32, vcc_lo, v36, s2
	v_add_co_ci_u32_e64 v33, null, s3, v39, vcc_lo
	v_add_co_u32 v26, vcc_lo, v32, v0
	v_add_co_ci_u32_e64 v27, null, v33, v1, vcc_lo
	flat_store_dwordx2 v[26:27], v[16:17]
	flat_load_dwordx2 v[16:17], v[18:19] offset:128
	s_waitcnt vmcnt(0) lgkmcnt(0)
	v_mul_f64 v[16:17], s[36:37], v[16:17]
	v_fma_f64 v[16:17], s[14:15], v[28:29], v[16:17]
	flat_store_dwordx2 v[26:27], v[16:17] offset:128
	flat_load_dwordx2 v[16:17], v[18:19] offset:256
	s_waitcnt vmcnt(0) lgkmcnt(0)
	v_mul_f64 v[16:17], s[36:37], v[16:17]
	v_fma_f64 v[16:17], s[14:15], v[24:25], v[16:17]
	v_add_co_u32 v24, vcc_lo, v30, s0
	v_add_co_ci_u32_e64 v25, null, s1, v31, vcc_lo
	flat_store_dwordx2 v[26:27], v[16:17] offset:256
	flat_load_dwordx2 v[16:17], v[18:19] offset:384
	v_add_co_u32 v18, vcc_lo, v24, v0
	v_add_co_ci_u32_e64 v19, null, v25, v1, vcc_lo
	s_waitcnt vmcnt(0) lgkmcnt(0)
	v_mul_f64 v[16:17], s[36:37], v[16:17]
	v_fma_f64 v[16:17], s[14:15], v[20:21], v[16:17]
	flat_store_dwordx2 v[26:27], v[16:17] offset:384
	flat_load_dwordx2 v[16:17], v[18:19]
	s_waitcnt vmcnt(0) lgkmcnt(0)
	v_mul_f64 v[16:17], s[36:37], v[16:17]
	v_fma_f64 v[16:17], s[14:15], v[22:23], v[16:17]
	v_add_co_u32 v22, vcc_lo, v32, s2
	v_add_co_ci_u32_e64 v23, null, s3, v33, vcc_lo
	v_add_co_u32 v20, vcc_lo, v22, v0
	v_add_co_ci_u32_e64 v21, null, v23, v1, vcc_lo
	flat_store_dwordx2 v[20:21], v[16:17]
	flat_load_dwordx2 v[16:17], v[18:19] offset:128
	s_waitcnt vmcnt(0) lgkmcnt(0)
	v_mul_f64 v[16:17], s[36:37], v[16:17]
	v_fma_f64 v[14:15], s[14:15], v[14:15], v[16:17]
	flat_store_dwordx2 v[20:21], v[14:15] offset:128
	flat_load_dwordx2 v[14:15], v[18:19] offset:256
	s_waitcnt vmcnt(0) lgkmcnt(0)
	v_mul_f64 v[14:15], s[36:37], v[14:15]
	v_fma_f64 v[12:13], s[14:15], v[12:13], v[14:15]
	flat_store_dwordx2 v[20:21], v[12:13] offset:256
	flat_load_dwordx2 v[12:13], v[18:19] offset:384
	s_waitcnt vmcnt(0) lgkmcnt(0)
	v_mul_f64 v[12:13], s[36:37], v[12:13]
	v_fma_f64 v[10:11], s[14:15], v[10:11], v[12:13]
	v_add_co_u32 v12, vcc_lo, v24, s0
	v_add_co_ci_u32_e64 v13, null, s1, v25, vcc_lo
	v_add_co_u32 v12, vcc_lo, v12, v0
	v_add_co_ci_u32_e64 v13, null, v13, v1, vcc_lo
	flat_store_dwordx2 v[20:21], v[10:11] offset:384
	flat_load_dwordx2 v[10:11], v[12:13]
	s_waitcnt vmcnt(0) lgkmcnt(0)
	v_mul_f64 v[10:11], s[36:37], v[10:11]
	v_fma_f64 v[8:9], s[14:15], v[8:9], v[10:11]
	v_add_co_u32 v10, vcc_lo, v22, s2
	v_add_co_ci_u32_e64 v11, null, s3, v23, vcc_lo
	v_add_co_u32 v0, vcc_lo, v10, v0
	v_add_co_ci_u32_e64 v1, null, v11, v1, vcc_lo
	flat_store_dwordx2 v[0:1], v[8:9]
	flat_load_dwordx2 v[8:9], v[12:13] offset:128
	s_waitcnt vmcnt(0) lgkmcnt(0)
	v_mul_f64 v[8:9], s[36:37], v[8:9]
	v_fma_f64 v[6:7], s[14:15], v[6:7], v[8:9]
	flat_store_dwordx2 v[0:1], v[6:7] offset:128
	flat_load_dwordx2 v[6:7], v[12:13] offset:256
	s_waitcnt vmcnt(0) lgkmcnt(0)
	v_mul_f64 v[6:7], s[36:37], v[6:7]
	v_fma_f64 v[4:5], s[14:15], v[4:5], v[6:7]
	flat_store_dwordx2 v[0:1], v[4:5] offset:256
	;; [unrolled: 5-line block ×3, first 2 shown]
.LBB211_7:
	s_endpgm
.LBB211_8:
	s_branch .LBB211_6
	.section	.rodata,"a",@progbits
	.p2align	6, 0x0
	.amdhsa_kernel _ZN12_GLOBAL__N_127rocblas_gemm_batched_kernelIdLi16ELi16ELi64ELi64ELi4ELi64ELi4ELi4ELi64ELc67ELc84EKPKdS3_KPdEEvlllT_PT11_llS8_llS6_PT12_llPT13_lli
		.amdhsa_group_segment_fixed_size 4096
		.amdhsa_private_segment_fixed_size 0
		.amdhsa_kernarg_size 140
		.amdhsa_user_sgpr_count 6
		.amdhsa_user_sgpr_private_segment_buffer 1
		.amdhsa_user_sgpr_dispatch_ptr 0
		.amdhsa_user_sgpr_queue_ptr 0
		.amdhsa_user_sgpr_kernarg_segment_ptr 1
		.amdhsa_user_sgpr_dispatch_id 0
		.amdhsa_user_sgpr_flat_scratch_init 0
		.amdhsa_user_sgpr_private_segment_size 0
		.amdhsa_wavefront_size32 1
		.amdhsa_uses_dynamic_stack 0
		.amdhsa_system_sgpr_private_segment_wavefront_offset 0
		.amdhsa_system_sgpr_workgroup_id_x 1
		.amdhsa_system_sgpr_workgroup_id_y 1
		.amdhsa_system_sgpr_workgroup_id_z 1
		.amdhsa_system_sgpr_workgroup_info 0
		.amdhsa_system_vgpr_workitem_id 1
		.amdhsa_next_free_vgpr 78
		.amdhsa_next_free_sgpr 52
		.amdhsa_reserve_vcc 1
		.amdhsa_reserve_flat_scratch 0
		.amdhsa_float_round_mode_32 0
		.amdhsa_float_round_mode_16_64 0
		.amdhsa_float_denorm_mode_32 3
		.amdhsa_float_denorm_mode_16_64 3
		.amdhsa_dx10_clamp 1
		.amdhsa_ieee_mode 1
		.amdhsa_fp16_overflow 0
		.amdhsa_workgroup_processor_mode 1
		.amdhsa_memory_ordered 1
		.amdhsa_forward_progress 1
		.amdhsa_shared_vgpr_count 0
		.amdhsa_exception_fp_ieee_invalid_op 0
		.amdhsa_exception_fp_denorm_src 0
		.amdhsa_exception_fp_ieee_div_zero 0
		.amdhsa_exception_fp_ieee_overflow 0
		.amdhsa_exception_fp_ieee_underflow 0
		.amdhsa_exception_fp_ieee_inexact 0
		.amdhsa_exception_int_div_zero 0
	.end_amdhsa_kernel
	.section	.text._ZN12_GLOBAL__N_127rocblas_gemm_batched_kernelIdLi16ELi16ELi64ELi64ELi4ELi64ELi4ELi4ELi64ELc67ELc84EKPKdS3_KPdEEvlllT_PT11_llS8_llS6_PT12_llPT13_lli,"axG",@progbits,_ZN12_GLOBAL__N_127rocblas_gemm_batched_kernelIdLi16ELi16ELi64ELi64ELi4ELi64ELi4ELi4ELi64ELc67ELc84EKPKdS3_KPdEEvlllT_PT11_llS8_llS6_PT12_llPT13_lli,comdat
.Lfunc_end211:
	.size	_ZN12_GLOBAL__N_127rocblas_gemm_batched_kernelIdLi16ELi16ELi64ELi64ELi4ELi64ELi4ELi4ELi64ELc67ELc84EKPKdS3_KPdEEvlllT_PT11_llS8_llS6_PT12_llPT13_lli, .Lfunc_end211-_ZN12_GLOBAL__N_127rocblas_gemm_batched_kernelIdLi16ELi16ELi64ELi64ELi4ELi64ELi4ELi4ELi64ELc67ELc84EKPKdS3_KPdEEvlllT_PT11_llS8_llS6_PT12_llPT13_lli
                                        ; -- End function
	.set _ZN12_GLOBAL__N_127rocblas_gemm_batched_kernelIdLi16ELi16ELi64ELi64ELi4ELi64ELi4ELi4ELi64ELc67ELc84EKPKdS3_KPdEEvlllT_PT11_llS8_llS6_PT12_llPT13_lli.num_vgpr, 78
	.set _ZN12_GLOBAL__N_127rocblas_gemm_batched_kernelIdLi16ELi16ELi64ELi64ELi4ELi64ELi4ELi4ELi64ELc67ELc84EKPKdS3_KPdEEvlllT_PT11_llS8_llS6_PT12_llPT13_lli.num_agpr, 0
	.set _ZN12_GLOBAL__N_127rocblas_gemm_batched_kernelIdLi16ELi16ELi64ELi64ELi4ELi64ELi4ELi4ELi64ELc67ELc84EKPKdS3_KPdEEvlllT_PT11_llS8_llS6_PT12_llPT13_lli.numbered_sgpr, 52
	.set _ZN12_GLOBAL__N_127rocblas_gemm_batched_kernelIdLi16ELi16ELi64ELi64ELi4ELi64ELi4ELi4ELi64ELc67ELc84EKPKdS3_KPdEEvlllT_PT11_llS8_llS6_PT12_llPT13_lli.num_named_barrier, 0
	.set _ZN12_GLOBAL__N_127rocblas_gemm_batched_kernelIdLi16ELi16ELi64ELi64ELi4ELi64ELi4ELi4ELi64ELc67ELc84EKPKdS3_KPdEEvlllT_PT11_llS8_llS6_PT12_llPT13_lli.private_seg_size, 0
	.set _ZN12_GLOBAL__N_127rocblas_gemm_batched_kernelIdLi16ELi16ELi64ELi64ELi4ELi64ELi4ELi4ELi64ELc67ELc84EKPKdS3_KPdEEvlllT_PT11_llS8_llS6_PT12_llPT13_lli.uses_vcc, 1
	.set _ZN12_GLOBAL__N_127rocblas_gemm_batched_kernelIdLi16ELi16ELi64ELi64ELi4ELi64ELi4ELi4ELi64ELc67ELc84EKPKdS3_KPdEEvlllT_PT11_llS8_llS6_PT12_llPT13_lli.uses_flat_scratch, 0
	.set _ZN12_GLOBAL__N_127rocblas_gemm_batched_kernelIdLi16ELi16ELi64ELi64ELi4ELi64ELi4ELi4ELi64ELc67ELc84EKPKdS3_KPdEEvlllT_PT11_llS8_llS6_PT12_llPT13_lli.has_dyn_sized_stack, 0
	.set _ZN12_GLOBAL__N_127rocblas_gemm_batched_kernelIdLi16ELi16ELi64ELi64ELi4ELi64ELi4ELi4ELi64ELc67ELc84EKPKdS3_KPdEEvlllT_PT11_llS8_llS6_PT12_llPT13_lli.has_recursion, 0
	.set _ZN12_GLOBAL__N_127rocblas_gemm_batched_kernelIdLi16ELi16ELi64ELi64ELi4ELi64ELi4ELi4ELi64ELc67ELc84EKPKdS3_KPdEEvlllT_PT11_llS8_llS6_PT12_llPT13_lli.has_indirect_call, 0
	.section	.AMDGPU.csdata,"",@progbits
; Kernel info:
; codeLenInByte = 2900
; TotalNumSgprs: 54
; NumVgprs: 78
; ScratchSize: 0
; MemoryBound: 0
; FloatMode: 240
; IeeeMode: 1
; LDSByteSize: 4096 bytes/workgroup (compile time only)
; SGPRBlocks: 0
; VGPRBlocks: 9
; NumSGPRsForWavesPerEU: 54
; NumVGPRsForWavesPerEU: 78
; Occupancy: 12
; WaveLimiterHint : 1
; COMPUTE_PGM_RSRC2:SCRATCH_EN: 0
; COMPUTE_PGM_RSRC2:USER_SGPR: 6
; COMPUTE_PGM_RSRC2:TRAP_HANDLER: 0
; COMPUTE_PGM_RSRC2:TGID_X_EN: 1
; COMPUTE_PGM_RSRC2:TGID_Y_EN: 1
; COMPUTE_PGM_RSRC2:TGID_Z_EN: 1
; COMPUTE_PGM_RSRC2:TIDIG_COMP_CNT: 1
	.section	.text._ZN12_GLOBAL__N_127rocblas_gemm_batched_kernelIdLi16ELi16ELi64ELi64ELi4ELi64ELi4ELi4ELi64ELc78ELc67EKPKdS3_KPdEEvlllT_PT11_llS8_llS6_PT12_llPT13_lli,"axG",@progbits,_ZN12_GLOBAL__N_127rocblas_gemm_batched_kernelIdLi16ELi16ELi64ELi64ELi4ELi64ELi4ELi4ELi64ELc78ELc67EKPKdS3_KPdEEvlllT_PT11_llS8_llS6_PT12_llPT13_lli,comdat
	.globl	_ZN12_GLOBAL__N_127rocblas_gemm_batched_kernelIdLi16ELi16ELi64ELi64ELi4ELi64ELi4ELi4ELi64ELc78ELc67EKPKdS3_KPdEEvlllT_PT11_llS8_llS6_PT12_llPT13_lli ; -- Begin function _ZN12_GLOBAL__N_127rocblas_gemm_batched_kernelIdLi16ELi16ELi64ELi64ELi4ELi64ELi4ELi4ELi64ELc78ELc67EKPKdS3_KPdEEvlllT_PT11_llS8_llS6_PT12_llPT13_lli
	.p2align	8
	.type	_ZN12_GLOBAL__N_127rocblas_gemm_batched_kernelIdLi16ELi16ELi64ELi64ELi4ELi64ELi4ELi4ELi64ELc78ELc67EKPKdS3_KPdEEvlllT_PT11_llS8_llS6_PT12_llPT13_lli,@function
_ZN12_GLOBAL__N_127rocblas_gemm_batched_kernelIdLi16ELi16ELi64ELi64ELi4ELi64ELi4ELi4ELi64ELc78ELc67EKPKdS3_KPdEEvlllT_PT11_llS8_llS6_PT12_llPT13_lli: ; @_ZN12_GLOBAL__N_127rocblas_gemm_batched_kernelIdLi16ELi16ELi64ELi64ELi4ELi64ELi4ELi4ELi64ELc78ELc67EKPKdS3_KPdEEvlllT_PT11_llS8_llS6_PT12_llPT13_lli
; %bb.0:
	s_clause 0x2
	s_load_dwordx8 s[36:43], s[4:5], 0x50
	s_load_dwordx8 s[44:51], s[4:5], 0x70
	s_load_dwordx16 s[12:27], s[4:5], 0x10
	s_mov_b32 s9, 0
	s_mov_b32 s10, s7
	s_lshl_b64 s[0:1], s[8:9], 3
	v_mov_b32_e32 v3, 0
	s_waitcnt lgkmcnt(0)
	s_add_u32 s2, s38, s0
	s_addc_u32 s3, s39, s1
	s_add_u32 s4, s44, s0
	s_addc_u32 s5, s45, s1
	s_load_dwordx2 s[2:3], s[2:3], 0x0
	s_load_dwordx2 s[4:5], s[4:5], 0x0
	v_cmp_lt_i64_e64 s8, s[12:13], 1
	s_ashr_i32 s7, s6, 31
	s_ashr_i32 s11, s10, 31
	s_lshl_b64 s[6:7], s[6:7], 6
	s_and_b32 vcc_lo, exec_lo, s8
	s_lshl_b64 s[8:9], s[10:11], 6
	s_cbranch_vccnz .LBB212_3
; %bb.1:
	v_lshl_add_u32 v5, v1, 4, v0
	v_and_b32_e32 v7, 3, v0
	s_add_u32 s10, s16, s0
	s_addc_u32 s11, s17, s1
	s_add_u32 s0, s22, s0
	v_lshrrev_b32_e32 v2, 2, v5
	v_lshrrev_b32_e32 v9, 6, v5
	v_and_b32_e32 v10, 63, v5
	s_addc_u32 s1, s23, s1
	v_lshlrev_b32_e32 v11, 3, v7
	v_mad_u64_u32 v[3:4], null, s24, v7, v[2:3]
	v_mad_u64_u32 v[5:6], null, s18, v9, s[6:7]
	s_load_dwordx2 s[0:1], s[0:1], 0x0
	s_load_dwordx2 s[16:17], s[10:11], 0x0
	s_lshl_b64 s[10:11], s[26:27], 3
	v_lshlrev_b32_e32 v12, 3, v10
	v_add_co_u32 v3, vcc_lo, v3, s8
	v_mad_u64_u32 v[7:8], null, s25, v7, v[4:5]
	v_lshl_or_b32 v8, v2, 5, v11
	v_mov_b32_e32 v2, v6
	v_lshl_or_b32 v40, v9, 9, v12
	v_mov_b32_e32 v12, 0
	v_mov_b32_e32 v14, 0
	v_add_nc_u32_e32 v41, 0x800, v8
	v_add_co_ci_u32_e64 v4, null, s9, v7, vcc_lo
	v_mad_u64_u32 v[6:7], null, s19, v9, v[2:3]
	v_mov_b32_e32 v8, 0
	v_lshlrev_b64 v[2:3], 3, v[3:4]
	v_add_co_u32 v4, vcc_lo, v5, v10
	s_waitcnt lgkmcnt(0)
	s_add_u32 s0, s0, s10
	s_addc_u32 s1, s1, s11
	v_add_co_ci_u32_e64 v5, null, 0, v6, vcc_lo
	v_add_co_u32 v34, vcc_lo, s0, v2
	v_add_co_ci_u32_e64 v35, null, s1, v3, vcc_lo
	v_lshlrev_b64 v[36:37], 3, v[4:5]
	s_lshl_b64 s[0:1], s[20:21], 3
	s_lshl_b64 s[10:11], s[24:25], 5
	s_add_u32 s0, s16, s0
	s_addc_u32 s1, s17, s1
	v_mov_b32_e32 v2, 0
	v_add_co_u32 v36, vcc_lo, s0, v36
	v_mov_b32_e32 v4, 0
	v_mov_b32_e32 v6, 0
	;; [unrolled: 1-line block ×12, first 2 shown]
	v_lshlrev_b32_e32 v38, 3, v0
	v_lshl_add_u32 v39, v1, 5, 0x800
	v_mov_b32_e32 v3, 0
	v_mov_b32_e32 v5, 0
	;; [unrolled: 1-line block ×16, first 2 shown]
	v_add_co_ci_u32_e64 v37, null, s1, v37, vcc_lo
	s_lshl_b64 s[16:17], s[18:19], 5
	s_mov_b64 s[18:19], 0
.LBB212_2:                              ; =>This Inner Loop Header: Depth=1
	flat_load_dwordx2 v[42:43], v[36:37]
	s_add_u32 s18, s18, 4
	s_addc_u32 s19, s19, 0
	v_add_co_u32 v36, vcc_lo, v36, s16
	v_cmp_lt_i64_e64 s0, s[18:19], s[12:13]
	v_add_co_ci_u32_e64 v37, null, s17, v37, vcc_lo
	s_and_b32 vcc_lo, exec_lo, s0
	s_waitcnt vmcnt(0) lgkmcnt(0)
	ds_write_b64 v40, v[42:43]
	flat_load_dwordx2 v[42:43], v[34:35]
	v_add_co_u32 v34, s0, v34, s10
	v_add_co_ci_u32_e64 v35, null, s11, v35, s0
	s_waitcnt vmcnt(0) lgkmcnt(0)
	ds_write_b64 v41, v[42:43]
	s_waitcnt lgkmcnt(0)
	s_barrier
	buffer_gl0_inv
	ds_read_b128 v[42:45], v39
	ds_read2_b64 v[46:49], v38 offset1:16
	ds_read_b128 v[50:53], v39 offset:512
	ds_read_b128 v[54:57], v39 offset:16
	;; [unrolled: 1-line block ×3, first 2 shown]
	s_waitcnt lgkmcnt(3)
	v_fma_f64 v[70:71], v[46:47], v[42:43], v[30:31]
	v_fma_f64 v[72:73], v[48:49], v[42:43], v[26:27]
	s_waitcnt lgkmcnt(2)
	v_fma_f64 v[74:75], v[46:47], v[50:51], v[32:33]
	v_fma_f64 v[76:77], v[48:49], v[50:51], v[28:29]
	ds_read_b128 v[26:29], v39 offset:1024
	ds_read_b128 v[62:65], v39 offset:1040
	;; [unrolled: 1-line block ×4, first 2 shown]
	s_waitcnt lgkmcnt(3)
	v_fma_f64 v[22:23], v[46:47], v[26:27], v[22:23]
	v_fma_f64 v[14:15], v[48:49], v[26:27], v[14:15]
	s_waitcnt lgkmcnt(1)
	v_fma_f64 v[46:47], v[46:47], v[30:31], v[8:9]
	v_fma_f64 v[48:49], v[48:49], v[30:31], v[6:7]
	ds_read2_b64 v[6:9], v38 offset0:32 offset1:48
	s_waitcnt lgkmcnt(0)
	v_fma_f64 v[18:19], v[6:7], v[42:43], v[18:19]
	v_fma_f64 v[16:17], v[8:9], v[42:43], v[16:17]
	v_fma_f64 v[12:13], v[6:7], v[26:27], v[12:13]
	v_fma_f64 v[10:11], v[8:9], v[26:27], v[10:11]
	v_fma_f64 v[24:25], v[6:7], v[50:51], v[24:25]
	v_fma_f64 v[20:21], v[8:9], v[50:51], v[20:21]
	v_fma_f64 v[26:27], v[6:7], v[30:31], v[4:5]
	v_fma_f64 v[30:31], v[8:9], v[30:31], v[2:3]
	ds_read2_b64 v[2:5], v38 offset0:64 offset1:80
	ds_read2_b64 v[6:9], v38 offset0:96 offset1:112
	s_waitcnt lgkmcnt(1)
	v_fma_f64 v[42:43], v[2:3], v[44:45], v[70:71]
	v_fma_f64 v[50:51], v[4:5], v[44:45], v[72:73]
	s_waitcnt lgkmcnt(0)
	v_fma_f64 v[18:19], v[6:7], v[44:45], v[18:19]
	v_fma_f64 v[16:17], v[8:9], v[44:45], v[16:17]
	;; [unrolled: 1-line block ×10, first 2 shown]
	ds_read2_b64 v[2:5], v38 offset0:128 offset1:144
	v_fma_f64 v[24:25], v[6:7], v[52:53], v[24:25]
	v_fma_f64 v[20:21], v[8:9], v[52:53], v[20:21]
	;; [unrolled: 1-line block ×4, first 2 shown]
	s_waitcnt lgkmcnt(0)
	v_fma_f64 v[26:27], v[2:3], v[54:55], v[42:43]
	v_fma_f64 v[32:33], v[4:5], v[54:55], v[50:51]
	;; [unrolled: 1-line block ×8, first 2 shown]
	ds_read2_b64 v[2:5], v38 offset0:160 offset1:176
	ds_read2_b64 v[42:45], v38 offset0:224 offset1:240
	s_waitcnt lgkmcnt(1)
	v_fma_f64 v[18:19], v[2:3], v[54:55], v[18:19]
	v_fma_f64 v[16:17], v[4:5], v[54:55], v[16:17]
	v_fma_f64 v[24:25], v[2:3], v[58:59], v[24:25]
	v_fma_f64 v[20:21], v[4:5], v[58:59], v[20:21]
	v_fma_f64 v[12:13], v[2:3], v[62:63], v[12:13]
	v_fma_f64 v[10:11], v[4:5], v[62:63], v[10:11]
	v_fma_f64 v[54:55], v[2:3], v[66:67], v[6:7]
	v_fma_f64 v[58:59], v[4:5], v[66:67], v[8:9]
	ds_read2_b64 v[2:5], v38 offset0:192 offset1:208
	s_waitcnt lgkmcnt(0)
	s_barrier
	buffer_gl0_inv
	v_fma_f64 v[18:19], v[42:43], v[56:57], v[18:19]
	v_fma_f64 v[16:17], v[44:45], v[56:57], v[16:17]
	;; [unrolled: 1-line block ×16, first 2 shown]
	s_cbranch_vccnz .LBB212_2
	s_branch .LBB212_4
.LBB212_3:
	v_mov_b32_e32 v30, 0
	v_mov_b32_e32 v26, 0
	;; [unrolled: 1-line block ×32, first 2 shown]
.LBB212_4:
	v_cmp_neq_f64_e64 s10, s[36:37], 0
	v_add_co_u32 v34, s8, s8, v1
	v_add_co_ci_u32_e64 v37, null, s9, 0, s8
	v_add_co_u32 v0, s6, s6, v0
	v_add_co_ci_u32_e64 v1, null, s7, 0, s6
	v_mul_lo_u32 v35, v37, s46
	v_mul_lo_u32 v36, v34, s47
	s_lshl_b64 s[0:1], s[48:49], 3
	v_lshlrev_b64 v[0:1], 3, v[0:1]
	s_waitcnt lgkmcnt(0)
	s_add_u32 s0, s4, s0
	s_addc_u32 s1, s5, s1
	s_and_b32 vcc_lo, exec_lo, s10
	s_cbranch_vccnz .LBB212_8
; %bb.5:
	v_mad_u64_u32 v[38:39], null, v34, s46, 0
	v_mul_f64 v[40:41], s[14:15], v[30:31]
	v_mul_f64 v[42:43], s[14:15], v[26:27]
	;; [unrolled: 1-line block ×6, first 2 shown]
	v_add3_u32 v39, v39, v36, v35
	v_mul_f64 v[52:53], s[14:15], v[24:25]
	s_lshl_b64 s[4:5], s[46:47], 7
	v_lshlrev_b64 v[38:39], 3, v[38:39]
	v_add_co_u32 v54, vcc_lo, s0, v38
	v_add_co_ci_u32_e64 v55, null, s1, v39, vcc_lo
	v_mul_f64 v[38:39], s[14:15], v[20:21]
	v_add_co_u32 v58, vcc_lo, v54, s4
	v_add_co_ci_u32_e64 v59, null, s5, v55, vcc_lo
	v_add_co_u32 v54, vcc_lo, v54, v0
	v_add_co_ci_u32_e64 v55, null, v55, v1, vcc_lo
	;; [unrolled: 2-line block ×3, first 2 shown]
	flat_store_dwordx2 v[54:55], v[40:41]
	flat_store_dwordx2 v[54:55], v[42:43] offset:128
	flat_store_dwordx2 v[54:55], v[44:45] offset:256
	;; [unrolled: 1-line block ×3, first 2 shown]
	flat_store_dwordx2 v[56:57], v[48:49]
	flat_store_dwordx2 v[56:57], v[50:51] offset:128
	flat_store_dwordx2 v[56:57], v[52:53] offset:256
	v_mul_f64 v[40:41], s[14:15], v[22:23]
	v_mul_f64 v[54:55], s[14:15], v[2:3]
	;; [unrolled: 1-line block ×7, first 2 shown]
	v_add_co_u32 v58, vcc_lo, v58, s4
	v_mul_f64 v[52:53], s[14:15], v[4:5]
	v_add_co_ci_u32_e64 v59, null, s5, v59, vcc_lo
	flat_store_dwordx2 v[56:57], v[38:39] offset:384
	v_add_co_u32 v56, vcc_lo, v58, s4
	v_add_co_ci_u32_e64 v57, null, s5, v59, vcc_lo
	v_add_co_u32 v38, vcc_lo, v58, v0
	v_add_co_ci_u32_e64 v39, null, v59, v1, vcc_lo
	;; [unrolled: 2-line block ×3, first 2 shown]
	flat_store_dwordx2 v[38:39], v[40:41]
	flat_store_dwordx2 v[38:39], v[42:43] offset:128
	flat_store_dwordx2 v[38:39], v[44:45] offset:256
	;; [unrolled: 1-line block ×3, first 2 shown]
	flat_store_dwordx2 v[56:57], v[48:49]
	flat_store_dwordx2 v[56:57], v[50:51] offset:128
	flat_store_dwordx2 v[56:57], v[52:53] offset:256
	;; [unrolled: 1-line block ×3, first 2 shown]
	s_cbranch_execnz .LBB212_7
.LBB212_6:
	v_mul_lo_u32 v39, v37, s40
	v_mul_lo_u32 v40, v34, s41
	v_mad_u64_u32 v[37:38], null, v34, s40, 0
	s_lshl_b64 s[4:5], s[42:43], 3
	v_mad_u64_u32 v[41:42], null, v34, s46, 0
	s_add_u32 s2, s2, s4
	s_addc_u32 s3, s3, s5
	v_add3_u32 v38, v38, v40, v39
	v_add3_u32 v42, v42, v36, v35
	v_lshlrev_b64 v[37:38], 3, v[37:38]
	v_lshlrev_b64 v[34:35], 3, v[41:42]
	v_add_co_u32 v43, vcc_lo, s2, v37
	v_add_co_ci_u32_e64 v44, null, s3, v38, vcc_lo
	s_lshl_b64 s[2:3], s[46:47], 7
	v_add_co_u32 v37, vcc_lo, v43, v0
	v_add_co_ci_u32_e64 v38, null, v44, v1, vcc_lo
	v_add_co_u32 v36, vcc_lo, s0, v34
	flat_load_dwordx2 v[39:40], v[37:38]
	s_waitcnt vmcnt(0) lgkmcnt(0)
	v_mul_f64 v[39:40], s[36:37], v[39:40]
	v_fma_f64 v[30:31], s[14:15], v[30:31], v[39:40]
	v_add_co_ci_u32_e64 v39, null, s1, v35, vcc_lo
	v_add_co_u32 v34, vcc_lo, v36, v0
	s_lshl_b64 s[0:1], s[40:41], 7
	v_add_co_ci_u32_e64 v35, null, v39, v1, vcc_lo
	flat_store_dwordx2 v[34:35], v[30:31]
	flat_load_dwordx2 v[30:31], v[37:38] offset:128
	s_waitcnt vmcnt(0) lgkmcnt(0)
	v_mul_f64 v[30:31], s[36:37], v[30:31]
	v_fma_f64 v[26:27], s[14:15], v[26:27], v[30:31]
	v_add_co_u32 v30, vcc_lo, v43, s0
	v_add_co_ci_u32_e64 v31, null, s1, v44, vcc_lo
	flat_store_dwordx2 v[34:35], v[26:27] offset:128
	flat_load_dwordx2 v[26:27], v[37:38] offset:256
	s_waitcnt vmcnt(0) lgkmcnt(0)
	v_mul_f64 v[26:27], s[36:37], v[26:27]
	v_fma_f64 v[18:19], s[14:15], v[18:19], v[26:27]
	flat_store_dwordx2 v[34:35], v[18:19] offset:256
	flat_load_dwordx2 v[18:19], v[37:38] offset:384
	s_waitcnt vmcnt(0) lgkmcnt(0)
	v_mul_f64 v[18:19], s[36:37], v[18:19]
	v_fma_f64 v[16:17], s[14:15], v[16:17], v[18:19]
	v_add_co_u32 v18, vcc_lo, v30, v0
	v_add_co_ci_u32_e64 v19, null, v31, v1, vcc_lo
	flat_store_dwordx2 v[34:35], v[16:17] offset:384
	flat_load_dwordx2 v[16:17], v[18:19]
	s_waitcnt vmcnt(0) lgkmcnt(0)
	v_mul_f64 v[16:17], s[36:37], v[16:17]
	v_fma_f64 v[16:17], s[14:15], v[32:33], v[16:17]
	v_add_co_u32 v32, vcc_lo, v36, s2
	v_add_co_ci_u32_e64 v33, null, s3, v39, vcc_lo
	v_add_co_u32 v26, vcc_lo, v32, v0
	v_add_co_ci_u32_e64 v27, null, v33, v1, vcc_lo
	flat_store_dwordx2 v[26:27], v[16:17]
	flat_load_dwordx2 v[16:17], v[18:19] offset:128
	s_waitcnt vmcnt(0) lgkmcnt(0)
	v_mul_f64 v[16:17], s[36:37], v[16:17]
	v_fma_f64 v[16:17], s[14:15], v[28:29], v[16:17]
	flat_store_dwordx2 v[26:27], v[16:17] offset:128
	flat_load_dwordx2 v[16:17], v[18:19] offset:256
	s_waitcnt vmcnt(0) lgkmcnt(0)
	v_mul_f64 v[16:17], s[36:37], v[16:17]
	v_fma_f64 v[16:17], s[14:15], v[24:25], v[16:17]
	v_add_co_u32 v24, vcc_lo, v30, s0
	v_add_co_ci_u32_e64 v25, null, s1, v31, vcc_lo
	flat_store_dwordx2 v[26:27], v[16:17] offset:256
	flat_load_dwordx2 v[16:17], v[18:19] offset:384
	v_add_co_u32 v18, vcc_lo, v24, v0
	v_add_co_ci_u32_e64 v19, null, v25, v1, vcc_lo
	s_waitcnt vmcnt(0) lgkmcnt(0)
	v_mul_f64 v[16:17], s[36:37], v[16:17]
	v_fma_f64 v[16:17], s[14:15], v[20:21], v[16:17]
	flat_store_dwordx2 v[26:27], v[16:17] offset:384
	flat_load_dwordx2 v[16:17], v[18:19]
	s_waitcnt vmcnt(0) lgkmcnt(0)
	v_mul_f64 v[16:17], s[36:37], v[16:17]
	v_fma_f64 v[16:17], s[14:15], v[22:23], v[16:17]
	v_add_co_u32 v22, vcc_lo, v32, s2
	v_add_co_ci_u32_e64 v23, null, s3, v33, vcc_lo
	v_add_co_u32 v20, vcc_lo, v22, v0
	v_add_co_ci_u32_e64 v21, null, v23, v1, vcc_lo
	flat_store_dwordx2 v[20:21], v[16:17]
	flat_load_dwordx2 v[16:17], v[18:19] offset:128
	s_waitcnt vmcnt(0) lgkmcnt(0)
	v_mul_f64 v[16:17], s[36:37], v[16:17]
	v_fma_f64 v[14:15], s[14:15], v[14:15], v[16:17]
	flat_store_dwordx2 v[20:21], v[14:15] offset:128
	flat_load_dwordx2 v[14:15], v[18:19] offset:256
	s_waitcnt vmcnt(0) lgkmcnt(0)
	v_mul_f64 v[14:15], s[36:37], v[14:15]
	v_fma_f64 v[12:13], s[14:15], v[12:13], v[14:15]
	flat_store_dwordx2 v[20:21], v[12:13] offset:256
	flat_load_dwordx2 v[12:13], v[18:19] offset:384
	s_waitcnt vmcnt(0) lgkmcnt(0)
	v_mul_f64 v[12:13], s[36:37], v[12:13]
	v_fma_f64 v[10:11], s[14:15], v[10:11], v[12:13]
	v_add_co_u32 v12, vcc_lo, v24, s0
	v_add_co_ci_u32_e64 v13, null, s1, v25, vcc_lo
	v_add_co_u32 v12, vcc_lo, v12, v0
	v_add_co_ci_u32_e64 v13, null, v13, v1, vcc_lo
	flat_store_dwordx2 v[20:21], v[10:11] offset:384
	flat_load_dwordx2 v[10:11], v[12:13]
	s_waitcnt vmcnt(0) lgkmcnt(0)
	v_mul_f64 v[10:11], s[36:37], v[10:11]
	v_fma_f64 v[8:9], s[14:15], v[8:9], v[10:11]
	v_add_co_u32 v10, vcc_lo, v22, s2
	v_add_co_ci_u32_e64 v11, null, s3, v23, vcc_lo
	v_add_co_u32 v0, vcc_lo, v10, v0
	v_add_co_ci_u32_e64 v1, null, v11, v1, vcc_lo
	flat_store_dwordx2 v[0:1], v[8:9]
	flat_load_dwordx2 v[8:9], v[12:13] offset:128
	s_waitcnt vmcnt(0) lgkmcnt(0)
	v_mul_f64 v[8:9], s[36:37], v[8:9]
	v_fma_f64 v[6:7], s[14:15], v[6:7], v[8:9]
	flat_store_dwordx2 v[0:1], v[6:7] offset:128
	flat_load_dwordx2 v[6:7], v[12:13] offset:256
	s_waitcnt vmcnt(0) lgkmcnt(0)
	v_mul_f64 v[6:7], s[36:37], v[6:7]
	v_fma_f64 v[4:5], s[14:15], v[4:5], v[6:7]
	flat_store_dwordx2 v[0:1], v[4:5] offset:256
	;; [unrolled: 5-line block ×3, first 2 shown]
.LBB212_7:
	s_endpgm
.LBB212_8:
	s_branch .LBB212_6
	.section	.rodata,"a",@progbits
	.p2align	6, 0x0
	.amdhsa_kernel _ZN12_GLOBAL__N_127rocblas_gemm_batched_kernelIdLi16ELi16ELi64ELi64ELi4ELi64ELi4ELi4ELi64ELc78ELc67EKPKdS3_KPdEEvlllT_PT11_llS8_llS6_PT12_llPT13_lli
		.amdhsa_group_segment_fixed_size 4096
		.amdhsa_private_segment_fixed_size 0
		.amdhsa_kernarg_size 140
		.amdhsa_user_sgpr_count 6
		.amdhsa_user_sgpr_private_segment_buffer 1
		.amdhsa_user_sgpr_dispatch_ptr 0
		.amdhsa_user_sgpr_queue_ptr 0
		.amdhsa_user_sgpr_kernarg_segment_ptr 1
		.amdhsa_user_sgpr_dispatch_id 0
		.amdhsa_user_sgpr_flat_scratch_init 0
		.amdhsa_user_sgpr_private_segment_size 0
		.amdhsa_wavefront_size32 1
		.amdhsa_uses_dynamic_stack 0
		.amdhsa_system_sgpr_private_segment_wavefront_offset 0
		.amdhsa_system_sgpr_workgroup_id_x 1
		.amdhsa_system_sgpr_workgroup_id_y 1
		.amdhsa_system_sgpr_workgroup_id_z 1
		.amdhsa_system_sgpr_workgroup_info 0
		.amdhsa_system_vgpr_workitem_id 1
		.amdhsa_next_free_vgpr 78
		.amdhsa_next_free_sgpr 52
		.amdhsa_reserve_vcc 1
		.amdhsa_reserve_flat_scratch 0
		.amdhsa_float_round_mode_32 0
		.amdhsa_float_round_mode_16_64 0
		.amdhsa_float_denorm_mode_32 3
		.amdhsa_float_denorm_mode_16_64 3
		.amdhsa_dx10_clamp 1
		.amdhsa_ieee_mode 1
		.amdhsa_fp16_overflow 0
		.amdhsa_workgroup_processor_mode 1
		.amdhsa_memory_ordered 1
		.amdhsa_forward_progress 1
		.amdhsa_shared_vgpr_count 0
		.amdhsa_exception_fp_ieee_invalid_op 0
		.amdhsa_exception_fp_denorm_src 0
		.amdhsa_exception_fp_ieee_div_zero 0
		.amdhsa_exception_fp_ieee_overflow 0
		.amdhsa_exception_fp_ieee_underflow 0
		.amdhsa_exception_fp_ieee_inexact 0
		.amdhsa_exception_int_div_zero 0
	.end_amdhsa_kernel
	.section	.text._ZN12_GLOBAL__N_127rocblas_gemm_batched_kernelIdLi16ELi16ELi64ELi64ELi4ELi64ELi4ELi4ELi64ELc78ELc67EKPKdS3_KPdEEvlllT_PT11_llS8_llS6_PT12_llPT13_lli,"axG",@progbits,_ZN12_GLOBAL__N_127rocblas_gemm_batched_kernelIdLi16ELi16ELi64ELi64ELi4ELi64ELi4ELi4ELi64ELc78ELc67EKPKdS3_KPdEEvlllT_PT11_llS8_llS6_PT12_llPT13_lli,comdat
.Lfunc_end212:
	.size	_ZN12_GLOBAL__N_127rocblas_gemm_batched_kernelIdLi16ELi16ELi64ELi64ELi4ELi64ELi4ELi4ELi64ELc78ELc67EKPKdS3_KPdEEvlllT_PT11_llS8_llS6_PT12_llPT13_lli, .Lfunc_end212-_ZN12_GLOBAL__N_127rocblas_gemm_batched_kernelIdLi16ELi16ELi64ELi64ELi4ELi64ELi4ELi4ELi64ELc78ELc67EKPKdS3_KPdEEvlllT_PT11_llS8_llS6_PT12_llPT13_lli
                                        ; -- End function
	.set _ZN12_GLOBAL__N_127rocblas_gemm_batched_kernelIdLi16ELi16ELi64ELi64ELi4ELi64ELi4ELi4ELi64ELc78ELc67EKPKdS3_KPdEEvlllT_PT11_llS8_llS6_PT12_llPT13_lli.num_vgpr, 78
	.set _ZN12_GLOBAL__N_127rocblas_gemm_batched_kernelIdLi16ELi16ELi64ELi64ELi4ELi64ELi4ELi4ELi64ELc78ELc67EKPKdS3_KPdEEvlllT_PT11_llS8_llS6_PT12_llPT13_lli.num_agpr, 0
	.set _ZN12_GLOBAL__N_127rocblas_gemm_batched_kernelIdLi16ELi16ELi64ELi64ELi4ELi64ELi4ELi4ELi64ELc78ELc67EKPKdS3_KPdEEvlllT_PT11_llS8_llS6_PT12_llPT13_lli.numbered_sgpr, 52
	.set _ZN12_GLOBAL__N_127rocblas_gemm_batched_kernelIdLi16ELi16ELi64ELi64ELi4ELi64ELi4ELi4ELi64ELc78ELc67EKPKdS3_KPdEEvlllT_PT11_llS8_llS6_PT12_llPT13_lli.num_named_barrier, 0
	.set _ZN12_GLOBAL__N_127rocblas_gemm_batched_kernelIdLi16ELi16ELi64ELi64ELi4ELi64ELi4ELi4ELi64ELc78ELc67EKPKdS3_KPdEEvlllT_PT11_llS8_llS6_PT12_llPT13_lli.private_seg_size, 0
	.set _ZN12_GLOBAL__N_127rocblas_gemm_batched_kernelIdLi16ELi16ELi64ELi64ELi4ELi64ELi4ELi4ELi64ELc78ELc67EKPKdS3_KPdEEvlllT_PT11_llS8_llS6_PT12_llPT13_lli.uses_vcc, 1
	.set _ZN12_GLOBAL__N_127rocblas_gemm_batched_kernelIdLi16ELi16ELi64ELi64ELi4ELi64ELi4ELi4ELi64ELc78ELc67EKPKdS3_KPdEEvlllT_PT11_llS8_llS6_PT12_llPT13_lli.uses_flat_scratch, 0
	.set _ZN12_GLOBAL__N_127rocblas_gemm_batched_kernelIdLi16ELi16ELi64ELi64ELi4ELi64ELi4ELi4ELi64ELc78ELc67EKPKdS3_KPdEEvlllT_PT11_llS8_llS6_PT12_llPT13_lli.has_dyn_sized_stack, 0
	.set _ZN12_GLOBAL__N_127rocblas_gemm_batched_kernelIdLi16ELi16ELi64ELi64ELi4ELi64ELi4ELi4ELi64ELc78ELc67EKPKdS3_KPdEEvlllT_PT11_llS8_llS6_PT12_llPT13_lli.has_recursion, 0
	.set _ZN12_GLOBAL__N_127rocblas_gemm_batched_kernelIdLi16ELi16ELi64ELi64ELi4ELi64ELi4ELi4ELi64ELc78ELc67EKPKdS3_KPdEEvlllT_PT11_llS8_llS6_PT12_llPT13_lli.has_indirect_call, 0
	.section	.AMDGPU.csdata,"",@progbits
; Kernel info:
; codeLenInByte = 2864
; TotalNumSgprs: 54
; NumVgprs: 78
; ScratchSize: 0
; MemoryBound: 0
; FloatMode: 240
; IeeeMode: 1
; LDSByteSize: 4096 bytes/workgroup (compile time only)
; SGPRBlocks: 0
; VGPRBlocks: 9
; NumSGPRsForWavesPerEU: 54
; NumVGPRsForWavesPerEU: 78
; Occupancy: 12
; WaveLimiterHint : 1
; COMPUTE_PGM_RSRC2:SCRATCH_EN: 0
; COMPUTE_PGM_RSRC2:USER_SGPR: 6
; COMPUTE_PGM_RSRC2:TRAP_HANDLER: 0
; COMPUTE_PGM_RSRC2:TGID_X_EN: 1
; COMPUTE_PGM_RSRC2:TGID_Y_EN: 1
; COMPUTE_PGM_RSRC2:TGID_Z_EN: 1
; COMPUTE_PGM_RSRC2:TIDIG_COMP_CNT: 1
	.section	.text._ZN12_GLOBAL__N_127rocblas_gemm_batched_kernelIdLi16ELi16ELi64ELi64ELi4ELi64ELi4ELi4ELi64ELc84ELc67EKPKdS3_KPdEEvlllT_PT11_llS8_llS6_PT12_llPT13_lli,"axG",@progbits,_ZN12_GLOBAL__N_127rocblas_gemm_batched_kernelIdLi16ELi16ELi64ELi64ELi4ELi64ELi4ELi4ELi64ELc84ELc67EKPKdS3_KPdEEvlllT_PT11_llS8_llS6_PT12_llPT13_lli,comdat
	.globl	_ZN12_GLOBAL__N_127rocblas_gemm_batched_kernelIdLi16ELi16ELi64ELi64ELi4ELi64ELi4ELi4ELi64ELc84ELc67EKPKdS3_KPdEEvlllT_PT11_llS8_llS6_PT12_llPT13_lli ; -- Begin function _ZN12_GLOBAL__N_127rocblas_gemm_batched_kernelIdLi16ELi16ELi64ELi64ELi4ELi64ELi4ELi4ELi64ELc84ELc67EKPKdS3_KPdEEvlllT_PT11_llS8_llS6_PT12_llPT13_lli
	.p2align	8
	.type	_ZN12_GLOBAL__N_127rocblas_gemm_batched_kernelIdLi16ELi16ELi64ELi64ELi4ELi64ELi4ELi4ELi64ELc84ELc67EKPKdS3_KPdEEvlllT_PT11_llS8_llS6_PT12_llPT13_lli,@function
_ZN12_GLOBAL__N_127rocblas_gemm_batched_kernelIdLi16ELi16ELi64ELi64ELi4ELi64ELi4ELi4ELi64ELc84ELc67EKPKdS3_KPdEEvlllT_PT11_llS8_llS6_PT12_llPT13_lli: ; @_ZN12_GLOBAL__N_127rocblas_gemm_batched_kernelIdLi16ELi16ELi64ELi64ELi4ELi64ELi4ELi4ELi64ELc84ELc67EKPKdS3_KPdEEvlllT_PT11_llS8_llS6_PT12_llPT13_lli
; %bb.0:
	s_clause 0x2
	s_load_dwordx8 s[36:43], s[4:5], 0x50
	s_load_dwordx8 s[44:51], s[4:5], 0x70
	s_load_dwordx16 s[12:27], s[4:5], 0x10
	s_mov_b32 s9, 0
	s_mov_b32 s10, s7
	s_lshl_b64 s[0:1], s[8:9], 3
	v_mov_b32_e32 v3, 0
	s_waitcnt lgkmcnt(0)
	s_add_u32 s2, s38, s0
	s_addc_u32 s3, s39, s1
	s_add_u32 s4, s44, s0
	s_addc_u32 s5, s45, s1
	s_load_dwordx2 s[2:3], s[2:3], 0x0
	s_load_dwordx2 s[4:5], s[4:5], 0x0
	v_cmp_lt_i64_e64 s8, s[12:13], 1
	s_ashr_i32 s7, s6, 31
	s_ashr_i32 s11, s10, 31
	s_lshl_b64 s[6:7], s[6:7], 6
	s_and_b32 vcc_lo, exec_lo, s8
	s_lshl_b64 s[8:9], s[10:11], 6
	s_cbranch_vccnz .LBB213_3
; %bb.1:
	v_lshl_add_u32 v5, v1, 4, v0
	s_add_u32 s10, s16, s0
	v_and_b32_e32 v7, 3, v0
	s_addc_u32 s11, s17, s1
	s_add_u32 s0, s22, s0
	v_and_b32_e32 v8, 63, v5
	v_lshrrev_b32_e32 v2, 2, v5
	s_addc_u32 s1, s23, s1
	v_lshrrev_b32_e32 v10, 6, v5
	s_load_dwordx2 s[0:1], s[0:1], 0x0
	v_add_co_u32 v6, s16, s6, v8
	v_mad_u64_u32 v[3:4], null, s24, v7, v[2:3]
	v_add_co_ci_u32_e64 v9, null, s7, 0, s16
	v_mul_lo_u32 v12, s19, v6
	v_mad_u64_u32 v[5:6], null, s18, v6, 0
	v_lshlrev_b32_e32 v11, 3, v7
	v_mul_lo_u32 v9, s18, v9
	v_lshlrev_b32_e32 v13, 3, v8
	s_load_dwordx2 s[10:11], s[10:11], 0x0
	s_lshl_b64 s[16:17], s[26:27], 3
	v_lshl_or_b32 v2, v2, 5, v11
	v_mad_u64_u32 v[7:8], null, s25, v7, v[4:5]
	v_lshl_or_b32 v38, v10, 9, v13
	v_add3_u32 v6, v6, v9, v12
	v_add_nc_u32_e32 v39, 0x800, v2
	v_add_co_u32 v2, vcc_lo, v3, s8
	s_waitcnt lgkmcnt(0)
	s_add_u32 s16, s0, s16
	v_add_co_ci_u32_e64 v3, null, s9, v7, vcc_lo
	v_lshlrev_b64 v[4:5], 3, v[5:6]
	s_addc_u32 s17, s1, s17
	s_lshl_b64 s[0:1], s[20:21], 3
	v_lshlrev_b64 v[2:3], 3, v[2:3]
	v_lshlrev_b32_e32 v6, 3, v10
	v_mov_b32_e32 v8, 0
	v_add_co_u32 v4, vcc_lo, v4, s0
	v_add_co_ci_u32_e64 v5, null, s1, v5, vcc_lo
	v_add_co_u32 v34, vcc_lo, s16, v2
	v_add_co_ci_u32_e64 v35, null, s17, v3, vcc_lo
	;; [unrolled: 2-line block ×3, first 2 shown]
	v_mov_b32_e32 v2, 0
	v_add_co_u32 v36, vcc_lo, s10, v36
	v_mov_b32_e32 v4, 0
	v_mov_b32_e32 v6, 0
	;; [unrolled: 1-line block ×14, first 2 shown]
	v_lshlrev_b32_e32 v40, 3, v0
	v_lshl_add_u32 v41, v1, 5, 0x800
	v_mov_b32_e32 v3, 0
	v_mov_b32_e32 v5, 0
	;; [unrolled: 1-line block ×16, first 2 shown]
	v_add_co_ci_u32_e64 v37, null, s11, v37, vcc_lo
	s_lshl_b64 s[10:11], s[24:25], 5
	s_mov_b64 s[16:17], 0
.LBB213_2:                              ; =>This Inner Loop Header: Depth=1
	flat_load_dwordx2 v[42:43], v[36:37]
	s_add_u32 s16, s16, 4
	s_addc_u32 s17, s17, 0
	v_add_co_u32 v36, vcc_lo, v36, 32
	v_cmp_lt_i64_e64 s0, s[16:17], s[12:13]
	v_add_co_ci_u32_e64 v37, null, 0, v37, vcc_lo
	s_and_b32 vcc_lo, exec_lo, s0
	s_waitcnt vmcnt(0) lgkmcnt(0)
	ds_write_b64 v38, v[42:43]
	flat_load_dwordx2 v[42:43], v[34:35]
	v_add_co_u32 v34, s0, v34, s10
	v_add_co_ci_u32_e64 v35, null, s11, v35, s0
	s_waitcnt vmcnt(0) lgkmcnt(0)
	ds_write_b64 v39, v[42:43]
	s_waitcnt lgkmcnt(0)
	s_barrier
	buffer_gl0_inv
	ds_read_b128 v[42:45], v41
	ds_read2_b64 v[46:49], v40 offset1:16
	ds_read_b128 v[50:53], v41 offset:512
	ds_read_b128 v[54:57], v41 offset:16
	;; [unrolled: 1-line block ×3, first 2 shown]
	s_waitcnt lgkmcnt(3)
	v_fma_f64 v[70:71], v[46:47], v[42:43], v[30:31]
	v_fma_f64 v[72:73], v[48:49], v[42:43], v[26:27]
	s_waitcnt lgkmcnt(2)
	v_fma_f64 v[74:75], v[46:47], v[50:51], v[32:33]
	v_fma_f64 v[76:77], v[48:49], v[50:51], v[28:29]
	ds_read_b128 v[26:29], v41 offset:1024
	ds_read_b128 v[62:65], v41 offset:1040
	ds_read_b128 v[30:33], v41 offset:1536
	ds_read_b128 v[66:69], v41 offset:1552
	s_waitcnt lgkmcnt(3)
	v_fma_f64 v[22:23], v[46:47], v[26:27], v[22:23]
	v_fma_f64 v[14:15], v[48:49], v[26:27], v[14:15]
	s_waitcnt lgkmcnt(1)
	v_fma_f64 v[46:47], v[46:47], v[30:31], v[8:9]
	v_fma_f64 v[48:49], v[48:49], v[30:31], v[6:7]
	ds_read2_b64 v[6:9], v40 offset0:32 offset1:48
	s_waitcnt lgkmcnt(0)
	v_fma_f64 v[18:19], v[6:7], v[42:43], v[18:19]
	v_fma_f64 v[16:17], v[8:9], v[42:43], v[16:17]
	;; [unrolled: 1-line block ×8, first 2 shown]
	ds_read2_b64 v[2:5], v40 offset0:64 offset1:80
	ds_read2_b64 v[6:9], v40 offset0:96 offset1:112
	s_waitcnt lgkmcnt(1)
	v_fma_f64 v[42:43], v[2:3], v[44:45], v[70:71]
	v_fma_f64 v[50:51], v[4:5], v[44:45], v[72:73]
	s_waitcnt lgkmcnt(0)
	v_fma_f64 v[18:19], v[6:7], v[44:45], v[18:19]
	v_fma_f64 v[16:17], v[8:9], v[44:45], v[16:17]
	;; [unrolled: 1-line block ×10, first 2 shown]
	ds_read2_b64 v[2:5], v40 offset0:128 offset1:144
	v_fma_f64 v[24:25], v[6:7], v[52:53], v[24:25]
	v_fma_f64 v[20:21], v[8:9], v[52:53], v[20:21]
	;; [unrolled: 1-line block ×4, first 2 shown]
	s_waitcnt lgkmcnt(0)
	v_fma_f64 v[26:27], v[2:3], v[54:55], v[42:43]
	v_fma_f64 v[32:33], v[4:5], v[54:55], v[50:51]
	;; [unrolled: 1-line block ×8, first 2 shown]
	ds_read2_b64 v[2:5], v40 offset0:160 offset1:176
	ds_read2_b64 v[42:45], v40 offset0:224 offset1:240
	s_waitcnt lgkmcnt(1)
	v_fma_f64 v[18:19], v[2:3], v[54:55], v[18:19]
	v_fma_f64 v[16:17], v[4:5], v[54:55], v[16:17]
	v_fma_f64 v[24:25], v[2:3], v[58:59], v[24:25]
	v_fma_f64 v[20:21], v[4:5], v[58:59], v[20:21]
	v_fma_f64 v[12:13], v[2:3], v[62:63], v[12:13]
	v_fma_f64 v[10:11], v[4:5], v[62:63], v[10:11]
	v_fma_f64 v[54:55], v[2:3], v[66:67], v[6:7]
	v_fma_f64 v[58:59], v[4:5], v[66:67], v[8:9]
	ds_read2_b64 v[2:5], v40 offset0:192 offset1:208
	s_waitcnt lgkmcnt(0)
	s_barrier
	buffer_gl0_inv
	v_fma_f64 v[18:19], v[42:43], v[56:57], v[18:19]
	v_fma_f64 v[16:17], v[44:45], v[56:57], v[16:17]
	;; [unrolled: 1-line block ×16, first 2 shown]
	s_cbranch_vccnz .LBB213_2
	s_branch .LBB213_4
.LBB213_3:
	v_mov_b32_e32 v30, 0
	v_mov_b32_e32 v26, 0
	;; [unrolled: 1-line block ×32, first 2 shown]
.LBB213_4:
	v_cmp_neq_f64_e64 s10, s[36:37], 0
	v_add_co_u32 v34, s8, s8, v1
	v_add_co_ci_u32_e64 v37, null, s9, 0, s8
	v_add_co_u32 v0, s6, s6, v0
	v_add_co_ci_u32_e64 v1, null, s7, 0, s6
	v_mul_lo_u32 v35, v37, s46
	v_mul_lo_u32 v36, v34, s47
	s_lshl_b64 s[0:1], s[48:49], 3
	v_lshlrev_b64 v[0:1], 3, v[0:1]
	s_waitcnt lgkmcnt(0)
	s_add_u32 s0, s4, s0
	s_addc_u32 s1, s5, s1
	s_and_b32 vcc_lo, exec_lo, s10
	s_cbranch_vccnz .LBB213_8
; %bb.5:
	v_mad_u64_u32 v[38:39], null, v34, s46, 0
	v_mul_f64 v[40:41], s[14:15], v[30:31]
	v_mul_f64 v[42:43], s[14:15], v[26:27]
	;; [unrolled: 1-line block ×6, first 2 shown]
	v_add3_u32 v39, v39, v36, v35
	v_mul_f64 v[52:53], s[14:15], v[24:25]
	s_lshl_b64 s[4:5], s[46:47], 7
	v_lshlrev_b64 v[38:39], 3, v[38:39]
	v_add_co_u32 v54, vcc_lo, s0, v38
	v_add_co_ci_u32_e64 v55, null, s1, v39, vcc_lo
	v_mul_f64 v[38:39], s[14:15], v[20:21]
	v_add_co_u32 v58, vcc_lo, v54, s4
	v_add_co_ci_u32_e64 v59, null, s5, v55, vcc_lo
	v_add_co_u32 v54, vcc_lo, v54, v0
	v_add_co_ci_u32_e64 v55, null, v55, v1, vcc_lo
	;; [unrolled: 2-line block ×3, first 2 shown]
	flat_store_dwordx2 v[54:55], v[40:41]
	flat_store_dwordx2 v[54:55], v[42:43] offset:128
	flat_store_dwordx2 v[54:55], v[44:45] offset:256
	;; [unrolled: 1-line block ×3, first 2 shown]
	flat_store_dwordx2 v[56:57], v[48:49]
	flat_store_dwordx2 v[56:57], v[50:51] offset:128
	flat_store_dwordx2 v[56:57], v[52:53] offset:256
	v_mul_f64 v[40:41], s[14:15], v[22:23]
	v_mul_f64 v[54:55], s[14:15], v[2:3]
	;; [unrolled: 1-line block ×7, first 2 shown]
	v_add_co_u32 v58, vcc_lo, v58, s4
	v_mul_f64 v[52:53], s[14:15], v[4:5]
	v_add_co_ci_u32_e64 v59, null, s5, v59, vcc_lo
	flat_store_dwordx2 v[56:57], v[38:39] offset:384
	v_add_co_u32 v56, vcc_lo, v58, s4
	v_add_co_ci_u32_e64 v57, null, s5, v59, vcc_lo
	v_add_co_u32 v38, vcc_lo, v58, v0
	v_add_co_ci_u32_e64 v39, null, v59, v1, vcc_lo
	;; [unrolled: 2-line block ×3, first 2 shown]
	flat_store_dwordx2 v[38:39], v[40:41]
	flat_store_dwordx2 v[38:39], v[42:43] offset:128
	flat_store_dwordx2 v[38:39], v[44:45] offset:256
	;; [unrolled: 1-line block ×3, first 2 shown]
	flat_store_dwordx2 v[56:57], v[48:49]
	flat_store_dwordx2 v[56:57], v[50:51] offset:128
	flat_store_dwordx2 v[56:57], v[52:53] offset:256
	;; [unrolled: 1-line block ×3, first 2 shown]
	s_cbranch_execnz .LBB213_7
.LBB213_6:
	v_mul_lo_u32 v39, v37, s40
	v_mul_lo_u32 v40, v34, s41
	v_mad_u64_u32 v[37:38], null, v34, s40, 0
	s_lshl_b64 s[4:5], s[42:43], 3
	v_mad_u64_u32 v[41:42], null, v34, s46, 0
	s_add_u32 s2, s2, s4
	s_addc_u32 s3, s3, s5
	v_add3_u32 v38, v38, v40, v39
	v_add3_u32 v42, v42, v36, v35
	v_lshlrev_b64 v[37:38], 3, v[37:38]
	v_lshlrev_b64 v[34:35], 3, v[41:42]
	v_add_co_u32 v43, vcc_lo, s2, v37
	v_add_co_ci_u32_e64 v44, null, s3, v38, vcc_lo
	s_lshl_b64 s[2:3], s[46:47], 7
	v_add_co_u32 v37, vcc_lo, v43, v0
	v_add_co_ci_u32_e64 v38, null, v44, v1, vcc_lo
	v_add_co_u32 v36, vcc_lo, s0, v34
	flat_load_dwordx2 v[39:40], v[37:38]
	s_waitcnt vmcnt(0) lgkmcnt(0)
	v_mul_f64 v[39:40], s[36:37], v[39:40]
	v_fma_f64 v[30:31], s[14:15], v[30:31], v[39:40]
	v_add_co_ci_u32_e64 v39, null, s1, v35, vcc_lo
	v_add_co_u32 v34, vcc_lo, v36, v0
	s_lshl_b64 s[0:1], s[40:41], 7
	v_add_co_ci_u32_e64 v35, null, v39, v1, vcc_lo
	flat_store_dwordx2 v[34:35], v[30:31]
	flat_load_dwordx2 v[30:31], v[37:38] offset:128
	s_waitcnt vmcnt(0) lgkmcnt(0)
	v_mul_f64 v[30:31], s[36:37], v[30:31]
	v_fma_f64 v[26:27], s[14:15], v[26:27], v[30:31]
	v_add_co_u32 v30, vcc_lo, v43, s0
	v_add_co_ci_u32_e64 v31, null, s1, v44, vcc_lo
	flat_store_dwordx2 v[34:35], v[26:27] offset:128
	flat_load_dwordx2 v[26:27], v[37:38] offset:256
	s_waitcnt vmcnt(0) lgkmcnt(0)
	v_mul_f64 v[26:27], s[36:37], v[26:27]
	v_fma_f64 v[18:19], s[14:15], v[18:19], v[26:27]
	flat_store_dwordx2 v[34:35], v[18:19] offset:256
	flat_load_dwordx2 v[18:19], v[37:38] offset:384
	s_waitcnt vmcnt(0) lgkmcnt(0)
	v_mul_f64 v[18:19], s[36:37], v[18:19]
	v_fma_f64 v[16:17], s[14:15], v[16:17], v[18:19]
	v_add_co_u32 v18, vcc_lo, v30, v0
	v_add_co_ci_u32_e64 v19, null, v31, v1, vcc_lo
	flat_store_dwordx2 v[34:35], v[16:17] offset:384
	flat_load_dwordx2 v[16:17], v[18:19]
	s_waitcnt vmcnt(0) lgkmcnt(0)
	v_mul_f64 v[16:17], s[36:37], v[16:17]
	v_fma_f64 v[16:17], s[14:15], v[32:33], v[16:17]
	v_add_co_u32 v32, vcc_lo, v36, s2
	v_add_co_ci_u32_e64 v33, null, s3, v39, vcc_lo
	v_add_co_u32 v26, vcc_lo, v32, v0
	v_add_co_ci_u32_e64 v27, null, v33, v1, vcc_lo
	flat_store_dwordx2 v[26:27], v[16:17]
	flat_load_dwordx2 v[16:17], v[18:19] offset:128
	s_waitcnt vmcnt(0) lgkmcnt(0)
	v_mul_f64 v[16:17], s[36:37], v[16:17]
	v_fma_f64 v[16:17], s[14:15], v[28:29], v[16:17]
	flat_store_dwordx2 v[26:27], v[16:17] offset:128
	flat_load_dwordx2 v[16:17], v[18:19] offset:256
	s_waitcnt vmcnt(0) lgkmcnt(0)
	v_mul_f64 v[16:17], s[36:37], v[16:17]
	v_fma_f64 v[16:17], s[14:15], v[24:25], v[16:17]
	v_add_co_u32 v24, vcc_lo, v30, s0
	v_add_co_ci_u32_e64 v25, null, s1, v31, vcc_lo
	flat_store_dwordx2 v[26:27], v[16:17] offset:256
	flat_load_dwordx2 v[16:17], v[18:19] offset:384
	v_add_co_u32 v18, vcc_lo, v24, v0
	v_add_co_ci_u32_e64 v19, null, v25, v1, vcc_lo
	s_waitcnt vmcnt(0) lgkmcnt(0)
	v_mul_f64 v[16:17], s[36:37], v[16:17]
	v_fma_f64 v[16:17], s[14:15], v[20:21], v[16:17]
	flat_store_dwordx2 v[26:27], v[16:17] offset:384
	flat_load_dwordx2 v[16:17], v[18:19]
	s_waitcnt vmcnt(0) lgkmcnt(0)
	v_mul_f64 v[16:17], s[36:37], v[16:17]
	v_fma_f64 v[16:17], s[14:15], v[22:23], v[16:17]
	v_add_co_u32 v22, vcc_lo, v32, s2
	v_add_co_ci_u32_e64 v23, null, s3, v33, vcc_lo
	v_add_co_u32 v20, vcc_lo, v22, v0
	v_add_co_ci_u32_e64 v21, null, v23, v1, vcc_lo
	flat_store_dwordx2 v[20:21], v[16:17]
	flat_load_dwordx2 v[16:17], v[18:19] offset:128
	s_waitcnt vmcnt(0) lgkmcnt(0)
	v_mul_f64 v[16:17], s[36:37], v[16:17]
	v_fma_f64 v[14:15], s[14:15], v[14:15], v[16:17]
	flat_store_dwordx2 v[20:21], v[14:15] offset:128
	flat_load_dwordx2 v[14:15], v[18:19] offset:256
	s_waitcnt vmcnt(0) lgkmcnt(0)
	v_mul_f64 v[14:15], s[36:37], v[14:15]
	v_fma_f64 v[12:13], s[14:15], v[12:13], v[14:15]
	flat_store_dwordx2 v[20:21], v[12:13] offset:256
	flat_load_dwordx2 v[12:13], v[18:19] offset:384
	s_waitcnt vmcnt(0) lgkmcnt(0)
	v_mul_f64 v[12:13], s[36:37], v[12:13]
	v_fma_f64 v[10:11], s[14:15], v[10:11], v[12:13]
	v_add_co_u32 v12, vcc_lo, v24, s0
	v_add_co_ci_u32_e64 v13, null, s1, v25, vcc_lo
	v_add_co_u32 v12, vcc_lo, v12, v0
	v_add_co_ci_u32_e64 v13, null, v13, v1, vcc_lo
	flat_store_dwordx2 v[20:21], v[10:11] offset:384
	flat_load_dwordx2 v[10:11], v[12:13]
	s_waitcnt vmcnt(0) lgkmcnt(0)
	v_mul_f64 v[10:11], s[36:37], v[10:11]
	v_fma_f64 v[8:9], s[14:15], v[8:9], v[10:11]
	v_add_co_u32 v10, vcc_lo, v22, s2
	v_add_co_ci_u32_e64 v11, null, s3, v23, vcc_lo
	v_add_co_u32 v0, vcc_lo, v10, v0
	v_add_co_ci_u32_e64 v1, null, v11, v1, vcc_lo
	flat_store_dwordx2 v[0:1], v[8:9]
	flat_load_dwordx2 v[8:9], v[12:13] offset:128
	s_waitcnt vmcnt(0) lgkmcnt(0)
	v_mul_f64 v[8:9], s[36:37], v[8:9]
	v_fma_f64 v[6:7], s[14:15], v[6:7], v[8:9]
	flat_store_dwordx2 v[0:1], v[6:7] offset:128
	flat_load_dwordx2 v[6:7], v[12:13] offset:256
	s_waitcnt vmcnt(0) lgkmcnt(0)
	v_mul_f64 v[6:7], s[36:37], v[6:7]
	v_fma_f64 v[4:5], s[14:15], v[4:5], v[6:7]
	flat_store_dwordx2 v[0:1], v[4:5] offset:256
	;; [unrolled: 5-line block ×3, first 2 shown]
.LBB213_7:
	s_endpgm
.LBB213_8:
	s_branch .LBB213_6
	.section	.rodata,"a",@progbits
	.p2align	6, 0x0
	.amdhsa_kernel _ZN12_GLOBAL__N_127rocblas_gemm_batched_kernelIdLi16ELi16ELi64ELi64ELi4ELi64ELi4ELi4ELi64ELc84ELc67EKPKdS3_KPdEEvlllT_PT11_llS8_llS6_PT12_llPT13_lli
		.amdhsa_group_segment_fixed_size 4096
		.amdhsa_private_segment_fixed_size 0
		.amdhsa_kernarg_size 140
		.amdhsa_user_sgpr_count 6
		.amdhsa_user_sgpr_private_segment_buffer 1
		.amdhsa_user_sgpr_dispatch_ptr 0
		.amdhsa_user_sgpr_queue_ptr 0
		.amdhsa_user_sgpr_kernarg_segment_ptr 1
		.amdhsa_user_sgpr_dispatch_id 0
		.amdhsa_user_sgpr_flat_scratch_init 0
		.amdhsa_user_sgpr_private_segment_size 0
		.amdhsa_wavefront_size32 1
		.amdhsa_uses_dynamic_stack 0
		.amdhsa_system_sgpr_private_segment_wavefront_offset 0
		.amdhsa_system_sgpr_workgroup_id_x 1
		.amdhsa_system_sgpr_workgroup_id_y 1
		.amdhsa_system_sgpr_workgroup_id_z 1
		.amdhsa_system_sgpr_workgroup_info 0
		.amdhsa_system_vgpr_workitem_id 1
		.amdhsa_next_free_vgpr 78
		.amdhsa_next_free_sgpr 52
		.amdhsa_reserve_vcc 1
		.amdhsa_reserve_flat_scratch 0
		.amdhsa_float_round_mode_32 0
		.amdhsa_float_round_mode_16_64 0
		.amdhsa_float_denorm_mode_32 3
		.amdhsa_float_denorm_mode_16_64 3
		.amdhsa_dx10_clamp 1
		.amdhsa_ieee_mode 1
		.amdhsa_fp16_overflow 0
		.amdhsa_workgroup_processor_mode 1
		.amdhsa_memory_ordered 1
		.amdhsa_forward_progress 1
		.amdhsa_shared_vgpr_count 0
		.amdhsa_exception_fp_ieee_invalid_op 0
		.amdhsa_exception_fp_denorm_src 0
		.amdhsa_exception_fp_ieee_div_zero 0
		.amdhsa_exception_fp_ieee_overflow 0
		.amdhsa_exception_fp_ieee_underflow 0
		.amdhsa_exception_fp_ieee_inexact 0
		.amdhsa_exception_int_div_zero 0
	.end_amdhsa_kernel
	.section	.text._ZN12_GLOBAL__N_127rocblas_gemm_batched_kernelIdLi16ELi16ELi64ELi64ELi4ELi64ELi4ELi4ELi64ELc84ELc67EKPKdS3_KPdEEvlllT_PT11_llS8_llS6_PT12_llPT13_lli,"axG",@progbits,_ZN12_GLOBAL__N_127rocblas_gemm_batched_kernelIdLi16ELi16ELi64ELi64ELi4ELi64ELi4ELi4ELi64ELc84ELc67EKPKdS3_KPdEEvlllT_PT11_llS8_llS6_PT12_llPT13_lli,comdat
.Lfunc_end213:
	.size	_ZN12_GLOBAL__N_127rocblas_gemm_batched_kernelIdLi16ELi16ELi64ELi64ELi4ELi64ELi4ELi4ELi64ELc84ELc67EKPKdS3_KPdEEvlllT_PT11_llS8_llS6_PT12_llPT13_lli, .Lfunc_end213-_ZN12_GLOBAL__N_127rocblas_gemm_batched_kernelIdLi16ELi16ELi64ELi64ELi4ELi64ELi4ELi4ELi64ELc84ELc67EKPKdS3_KPdEEvlllT_PT11_llS8_llS6_PT12_llPT13_lli
                                        ; -- End function
	.set _ZN12_GLOBAL__N_127rocblas_gemm_batched_kernelIdLi16ELi16ELi64ELi64ELi4ELi64ELi4ELi4ELi64ELc84ELc67EKPKdS3_KPdEEvlllT_PT11_llS8_llS6_PT12_llPT13_lli.num_vgpr, 78
	.set _ZN12_GLOBAL__N_127rocblas_gemm_batched_kernelIdLi16ELi16ELi64ELi64ELi4ELi64ELi4ELi4ELi64ELc84ELc67EKPKdS3_KPdEEvlllT_PT11_llS8_llS6_PT12_llPT13_lli.num_agpr, 0
	.set _ZN12_GLOBAL__N_127rocblas_gemm_batched_kernelIdLi16ELi16ELi64ELi64ELi4ELi64ELi4ELi4ELi64ELc84ELc67EKPKdS3_KPdEEvlllT_PT11_llS8_llS6_PT12_llPT13_lli.numbered_sgpr, 52
	.set _ZN12_GLOBAL__N_127rocblas_gemm_batched_kernelIdLi16ELi16ELi64ELi64ELi4ELi64ELi4ELi4ELi64ELc84ELc67EKPKdS3_KPdEEvlllT_PT11_llS8_llS6_PT12_llPT13_lli.num_named_barrier, 0
	.set _ZN12_GLOBAL__N_127rocblas_gemm_batched_kernelIdLi16ELi16ELi64ELi64ELi4ELi64ELi4ELi4ELi64ELc84ELc67EKPKdS3_KPdEEvlllT_PT11_llS8_llS6_PT12_llPT13_lli.private_seg_size, 0
	.set _ZN12_GLOBAL__N_127rocblas_gemm_batched_kernelIdLi16ELi16ELi64ELi64ELi4ELi64ELi4ELi4ELi64ELc84ELc67EKPKdS3_KPdEEvlllT_PT11_llS8_llS6_PT12_llPT13_lli.uses_vcc, 1
	.set _ZN12_GLOBAL__N_127rocblas_gemm_batched_kernelIdLi16ELi16ELi64ELi64ELi4ELi64ELi4ELi4ELi64ELc84ELc67EKPKdS3_KPdEEvlllT_PT11_llS8_llS6_PT12_llPT13_lli.uses_flat_scratch, 0
	.set _ZN12_GLOBAL__N_127rocblas_gemm_batched_kernelIdLi16ELi16ELi64ELi64ELi4ELi64ELi4ELi4ELi64ELc84ELc67EKPKdS3_KPdEEvlllT_PT11_llS8_llS6_PT12_llPT13_lli.has_dyn_sized_stack, 0
	.set _ZN12_GLOBAL__N_127rocblas_gemm_batched_kernelIdLi16ELi16ELi64ELi64ELi4ELi64ELi4ELi4ELi64ELc84ELc67EKPKdS3_KPdEEvlllT_PT11_llS8_llS6_PT12_llPT13_lli.has_recursion, 0
	.set _ZN12_GLOBAL__N_127rocblas_gemm_batched_kernelIdLi16ELi16ELi64ELi64ELi4ELi64ELi4ELi4ELi64ELc84ELc67EKPKdS3_KPdEEvlllT_PT11_llS8_llS6_PT12_llPT13_lli.has_indirect_call, 0
	.section	.AMDGPU.csdata,"",@progbits
; Kernel info:
; codeLenInByte = 2900
; TotalNumSgprs: 54
; NumVgprs: 78
; ScratchSize: 0
; MemoryBound: 0
; FloatMode: 240
; IeeeMode: 1
; LDSByteSize: 4096 bytes/workgroup (compile time only)
; SGPRBlocks: 0
; VGPRBlocks: 9
; NumSGPRsForWavesPerEU: 54
; NumVGPRsForWavesPerEU: 78
; Occupancy: 12
; WaveLimiterHint : 1
; COMPUTE_PGM_RSRC2:SCRATCH_EN: 0
; COMPUTE_PGM_RSRC2:USER_SGPR: 6
; COMPUTE_PGM_RSRC2:TRAP_HANDLER: 0
; COMPUTE_PGM_RSRC2:TGID_X_EN: 1
; COMPUTE_PGM_RSRC2:TGID_Y_EN: 1
; COMPUTE_PGM_RSRC2:TGID_Z_EN: 1
; COMPUTE_PGM_RSRC2:TIDIG_COMP_CNT: 1
	.section	.text._ZN12_GLOBAL__N_127rocblas_gemm_batched_kernelIdLi16ELi16ELi32ELi32ELi8ELi32ELi8ELi8ELi32ELc78ELc78EKPKdS3_KPdEEvlllT_PT11_llS8_llS6_PT12_llPT13_lli,"axG",@progbits,_ZN12_GLOBAL__N_127rocblas_gemm_batched_kernelIdLi16ELi16ELi32ELi32ELi8ELi32ELi8ELi8ELi32ELc78ELc78EKPKdS3_KPdEEvlllT_PT11_llS8_llS6_PT12_llPT13_lli,comdat
	.globl	_ZN12_GLOBAL__N_127rocblas_gemm_batched_kernelIdLi16ELi16ELi32ELi32ELi8ELi32ELi8ELi8ELi32ELc78ELc78EKPKdS3_KPdEEvlllT_PT11_llS8_llS6_PT12_llPT13_lli ; -- Begin function _ZN12_GLOBAL__N_127rocblas_gemm_batched_kernelIdLi16ELi16ELi32ELi32ELi8ELi32ELi8ELi8ELi32ELc78ELc78EKPKdS3_KPdEEvlllT_PT11_llS8_llS6_PT12_llPT13_lli
	.p2align	8
	.type	_ZN12_GLOBAL__N_127rocblas_gemm_batched_kernelIdLi16ELi16ELi32ELi32ELi8ELi32ELi8ELi8ELi32ELc78ELc78EKPKdS3_KPdEEvlllT_PT11_llS8_llS6_PT12_llPT13_lli,@function
_ZN12_GLOBAL__N_127rocblas_gemm_batched_kernelIdLi16ELi16ELi32ELi32ELi8ELi32ELi8ELi8ELi32ELc78ELc78EKPKdS3_KPdEEvlllT_PT11_llS8_llS6_PT12_llPT13_lli: ; @_ZN12_GLOBAL__N_127rocblas_gemm_batched_kernelIdLi16ELi16ELi32ELi32ELi8ELi32ELi8ELi8ELi32ELc78ELc78EKPKdS3_KPdEEvlllT_PT11_llS8_llS6_PT12_llPT13_lli
; %bb.0:
	s_clause 0x2
	s_load_dwordx8 s[36:43], s[4:5], 0x50
	s_load_dwordx8 s[44:51], s[4:5], 0x70
	s_load_dwordx16 s[12:27], s[4:5], 0x10
	s_mov_b32 s9, 0
	s_mov_b32 s10, s7
	s_lshl_b64 s[0:1], s[8:9], 3
	s_waitcnt lgkmcnt(0)
	s_add_u32 s2, s38, s0
	s_addc_u32 s3, s39, s1
	s_add_u32 s4, s44, s0
	s_addc_u32 s5, s45, s1
	s_load_dwordx2 s[2:3], s[2:3], 0x0
	s_load_dwordx2 s[4:5], s[4:5], 0x0
	v_cmp_lt_i64_e64 s8, s[12:13], 1
	s_ashr_i32 s7, s6, 31
	s_ashr_i32 s11, s10, 31
	s_lshl_b64 s[6:7], s[6:7], 5
	s_and_b32 vcc_lo, exec_lo, s8
	s_lshl_b64 s[8:9], s[10:11], 5
	s_cbranch_vccnz .LBB214_3
; %bb.1:
	v_lshl_add_u32 v4, v1, 4, v0
	v_and_b32_e32 v5, 7, v0
	s_add_u32 s10, s16, s0
	v_lshlrev_b32_e32 v14, 3, v0
	v_lshl_add_u32 v15, v1, 6, 0x800
	v_lshrrev_b32_e32 v6, 3, v4
	v_lshlrev_b32_e32 v11, 3, v5
	v_lshrrev_b32_e32 v9, 5, v4
	v_and_b32_e32 v10, 31, v4
	v_add_co_u32 v2, s11, v6, s8
	v_add_co_ci_u32_e64 v3, null, 0, s9, s11
	s_addc_u32 s11, s17, s1
	v_mul_lo_u32 v7, s25, v2
	s_add_u32 s0, s22, s0
	v_mul_lo_u32 v8, s24, v3
	v_mad_u64_u32 v[2:3], null, s24, v2, 0
	v_lshl_or_b32 v6, v6, 6, v11
	s_addc_u32 s1, s23, s1
	v_mad_u64_u32 v[4:5], null, s18, v9, s[6:7]
	s_load_dwordx2 s[0:1], s[0:1], 0x0
	s_lshl_b64 s[16:17], s[26:27], 3
	v_add3_u32 v3, v3, v8, v7
	v_lshlrev_b32_e32 v7, 3, v10
	v_add_nc_u32_e32 v17, 0x800, v6
	s_load_dwordx2 s[10:11], s[10:11], 0x0
	v_lshlrev_b64 v[2:3], 3, v[2:3]
	v_lshl_or_b32 v16, v9, 8, v7
	v_add_co_u32 v6, vcc_lo, v2, s16
	v_add_co_ci_u32_e64 v7, null, s17, v3, vcc_lo
	s_mov_b64 s[16:17], 0
	v_mad_u64_u32 v[2:3], null, s19, v9, v[5:6]
	v_add_co_u32 v5, vcc_lo, v6, v11
	v_add_co_ci_u32_e64 v6, null, 0, v7, vcc_lo
	v_add_co_u32 v3, vcc_lo, v4, v10
	v_add_co_ci_u32_e64 v4, null, 0, v2, vcc_lo
	s_waitcnt lgkmcnt(0)
	v_add_co_u32 v10, vcc_lo, s0, v5
	v_add_co_ci_u32_e64 v11, null, s1, v6, vcc_lo
	v_lshlrev_b64 v[12:13], 3, v[3:4]
	s_lshl_b64 s[0:1], s[20:21], 3
	v_mov_b32_e32 v2, 0
	s_add_u32 s0, s10, s0
	s_addc_u32 s1, s11, s1
	v_mov_b32_e32 v4, 0
	v_add_co_u32 v12, vcc_lo, s0, v12
	v_mov_b32_e32 v6, 0
	v_mov_b32_e32 v8, 0
	;; [unrolled: 1-line block ×6, first 2 shown]
	v_add_co_ci_u32_e64 v13, null, s1, v13, vcc_lo
	s_lshl_b64 s[10:11], s[18:19], 6
.LBB214_2:                              ; =>This Inner Loop Header: Depth=1
	flat_load_dwordx2 v[18:19], v[12:13]
	s_add_u32 s16, s16, 8
	s_addc_u32 s17, s17, 0
	v_add_co_u32 v12, vcc_lo, v12, s10
	v_cmp_lt_i64_e64 s0, s[16:17], s[12:13]
	v_add_co_ci_u32_e64 v13, null, s11, v13, vcc_lo
	s_and_b32 vcc_lo, exec_lo, s0
	s_waitcnt vmcnt(0) lgkmcnt(0)
	ds_write_b64 v16, v[18:19]
	flat_load_dwordx2 v[18:19], v[10:11]
	v_add_co_u32 v10, s0, v10, 64
	v_add_co_ci_u32_e64 v11, null, 0, v11, s0
	s_waitcnt vmcnt(0) lgkmcnt(0)
	ds_write_b64 v17, v[18:19]
	s_waitcnt lgkmcnt(0)
	s_barrier
	buffer_gl0_inv
	ds_read_b128 v[18:21], v15
	ds_read2_b64 v[22:25], v14 offset1:16
	ds_read_b128 v[26:29], v15 offset:1024
	ds_read_b128 v[30:33], v15 offset:16
	;; [unrolled: 1-line block ×3, first 2 shown]
	s_waitcnt lgkmcnt(3)
	v_fma_f64 v[8:9], v[22:23], v[18:19], v[8:9]
	v_fma_f64 v[6:7], v[24:25], v[18:19], v[6:7]
	s_waitcnt lgkmcnt(2)
	v_fma_f64 v[18:19], v[22:23], v[26:27], v[4:5]
	v_fma_f64 v[22:23], v[24:25], v[26:27], v[2:3]
	ds_read2_b64 v[2:5], v14 offset0:32 offset1:48
	s_waitcnt lgkmcnt(0)
	v_fma_f64 v[8:9], v[2:3], v[20:21], v[8:9]
	v_fma_f64 v[6:7], v[4:5], v[20:21], v[6:7]
	;; [unrolled: 1-line block ×4, first 2 shown]
	ds_read2_b64 v[2:5], v14 offset0:64 offset1:80
	s_waitcnt lgkmcnt(0)
	v_fma_f64 v[22:23], v[2:3], v[30:31], v[8:9]
	v_fma_f64 v[24:25], v[4:5], v[30:31], v[6:7]
	;; [unrolled: 1-line block ×4, first 2 shown]
	ds_read2_b64 v[2:5], v14 offset0:96 offset1:112
	ds_read_b128 v[6:9], v15 offset:32
	ds_read2_b64 v[18:21], v14 offset0:128 offset1:144
	s_waitcnt lgkmcnt(2)
	v_fma_f64 v[30:31], v[2:3], v[32:33], v[22:23]
	v_fma_f64 v[32:33], v[4:5], v[32:33], v[24:25]
	;; [unrolled: 1-line block ×4, first 2 shown]
	ds_read_b128 v[2:5], v15 offset:1056
	ds_read_b128 v[22:25], v15 offset:48
	;; [unrolled: 1-line block ×3, first 2 shown]
	s_waitcnt lgkmcnt(3)
	v_fma_f64 v[30:31], v[18:19], v[6:7], v[30:31]
	v_fma_f64 v[6:7], v[20:21], v[6:7], v[32:33]
	s_waitcnt lgkmcnt(2)
	v_fma_f64 v[32:33], v[18:19], v[2:3], v[34:35]
	v_fma_f64 v[2:3], v[20:21], v[2:3], v[36:37]
	ds_read2_b64 v[18:21], v14 offset0:160 offset1:176
	s_waitcnt lgkmcnt(0)
	v_fma_f64 v[30:31], v[18:19], v[8:9], v[30:31]
	v_fma_f64 v[6:7], v[20:21], v[8:9], v[6:7]
	;; [unrolled: 1-line block ×4, first 2 shown]
	ds_read2_b64 v[2:5], v14 offset0:192 offset1:208
	s_waitcnt lgkmcnt(0)
	v_fma_f64 v[30:31], v[2:3], v[22:23], v[30:31]
	v_fma_f64 v[6:7], v[4:5], v[22:23], v[6:7]
	;; [unrolled: 1-line block ×4, first 2 shown]
	ds_read2_b64 v[18:21], v14 offset0:224 offset1:240
	s_waitcnt lgkmcnt(0)
	s_barrier
	buffer_gl0_inv
	v_fma_f64 v[8:9], v[18:19], v[24:25], v[30:31]
	v_fma_f64 v[6:7], v[20:21], v[24:25], v[6:7]
	;; [unrolled: 1-line block ×4, first 2 shown]
	s_cbranch_vccnz .LBB214_2
	s_branch .LBB214_4
.LBB214_3:
	v_mov_b32_e32 v8, 0
	v_mov_b32_e32 v6, 0
	;; [unrolled: 1-line block ×8, first 2 shown]
.LBB214_4:
	v_cmp_neq_f64_e64 s10, s[36:37], 0
	v_add_co_u32 v10, s8, s8, v1
	v_add_co_ci_u32_e64 v13, null, s9, 0, s8
	v_add_co_u32 v0, s6, s6, v0
	v_add_co_ci_u32_e64 v1, null, s7, 0, s6
	v_mul_lo_u32 v11, v13, s46
	v_mul_lo_u32 v12, v10, s47
	s_lshl_b64 s[0:1], s[48:49], 3
	v_lshlrev_b64 v[0:1], 3, v[0:1]
	s_waitcnt lgkmcnt(0)
	s_add_u32 s0, s4, s0
	s_addc_u32 s1, s5, s1
	s_and_b32 vcc_lo, exec_lo, s10
	s_cbranch_vccnz .LBB214_8
; %bb.5:
	v_mad_u64_u32 v[14:15], null, v10, s46, 0
	v_mul_f64 v[16:17], s[14:15], v[8:9]
	v_mul_f64 v[18:19], s[14:15], v[6:7]
	;; [unrolled: 1-line block ×4, first 2 shown]
	s_lshl_b64 s[4:5], s[46:47], 7
	v_add3_u32 v15, v15, v12, v11
	v_lshlrev_b64 v[14:15], 3, v[14:15]
	v_add_co_u32 v14, vcc_lo, s0, v14
	v_add_co_ci_u32_e64 v15, null, s1, v15, vcc_lo
	v_add_co_u32 v24, vcc_lo, v14, s4
	v_add_co_ci_u32_e64 v25, null, s5, v15, vcc_lo
	;; [unrolled: 2-line block ×4, first 2 shown]
	flat_store_dwordx2 v[14:15], v[16:17]
	flat_store_dwordx2 v[14:15], v[18:19] offset:128
	flat_store_dwordx2 v[24:25], v[20:21]
	flat_store_dwordx2 v[24:25], v[22:23] offset:128
	s_cbranch_execnz .LBB214_7
.LBB214_6:
	v_mul_lo_u32 v15, v13, s40
	v_mul_lo_u32 v16, v10, s41
	v_mad_u64_u32 v[13:14], null, v10, s40, 0
	s_lshl_b64 s[4:5], s[42:43], 3
	v_mad_u64_u32 v[17:18], null, v10, s46, 0
	s_add_u32 s2, s2, s4
	s_addc_u32 s3, s3, s5
	v_add3_u32 v14, v14, v16, v15
	v_add3_u32 v18, v18, v12, v11
	v_lshlrev_b64 v[13:14], 3, v[13:14]
	v_lshlrev_b64 v[10:11], 3, v[17:18]
	v_add_co_u32 v19, vcc_lo, s2, v13
	v_add_co_ci_u32_e64 v20, null, s3, v14, vcc_lo
	v_add_co_u32 v13, vcc_lo, v19, v0
	v_add_co_ci_u32_e64 v14, null, v20, v1, vcc_lo
	v_add_co_u32 v12, vcc_lo, s0, v10
	flat_load_dwordx2 v[15:16], v[13:14]
	s_waitcnt vmcnt(0) lgkmcnt(0)
	v_mul_f64 v[15:16], s[36:37], v[15:16]
	v_fma_f64 v[8:9], s[14:15], v[8:9], v[15:16]
	v_add_co_ci_u32_e64 v15, null, s1, v11, vcc_lo
	v_add_co_u32 v10, vcc_lo, v12, v0
	s_lshl_b64 s[0:1], s[40:41], 7
	v_add_co_ci_u32_e64 v11, null, v15, v1, vcc_lo
	flat_store_dwordx2 v[10:11], v[8:9]
	flat_load_dwordx2 v[8:9], v[13:14] offset:128
	s_waitcnt vmcnt(0) lgkmcnt(0)
	v_mul_f64 v[8:9], s[36:37], v[8:9]
	v_fma_f64 v[6:7], s[14:15], v[6:7], v[8:9]
	v_add_co_u32 v8, vcc_lo, v19, s0
	v_add_co_ci_u32_e64 v9, null, s1, v20, vcc_lo
	s_lshl_b64 s[0:1], s[46:47], 7
	v_add_co_u32 v8, vcc_lo, v8, v0
	v_add_co_ci_u32_e64 v9, null, v9, v1, vcc_lo
	flat_store_dwordx2 v[10:11], v[6:7] offset:128
	flat_load_dwordx2 v[6:7], v[8:9]
	s_waitcnt vmcnt(0) lgkmcnt(0)
	v_mul_f64 v[6:7], s[36:37], v[6:7]
	v_fma_f64 v[4:5], s[14:15], v[4:5], v[6:7]
	v_add_co_u32 v6, vcc_lo, v12, s0
	v_add_co_ci_u32_e64 v7, null, s1, v15, vcc_lo
	v_add_co_u32 v0, vcc_lo, v6, v0
	v_add_co_ci_u32_e64 v1, null, v7, v1, vcc_lo
	flat_store_dwordx2 v[0:1], v[4:5]
	flat_load_dwordx2 v[4:5], v[8:9] offset:128
	s_waitcnt vmcnt(0) lgkmcnt(0)
	v_mul_f64 v[4:5], s[36:37], v[4:5]
	v_fma_f64 v[2:3], s[14:15], v[2:3], v[4:5]
	flat_store_dwordx2 v[0:1], v[2:3] offset:128
.LBB214_7:
	s_endpgm
.LBB214_8:
	s_branch .LBB214_6
	.section	.rodata,"a",@progbits
	.p2align	6, 0x0
	.amdhsa_kernel _ZN12_GLOBAL__N_127rocblas_gemm_batched_kernelIdLi16ELi16ELi32ELi32ELi8ELi32ELi8ELi8ELi32ELc78ELc78EKPKdS3_KPdEEvlllT_PT11_llS8_llS6_PT12_llPT13_lli
		.amdhsa_group_segment_fixed_size 4096
		.amdhsa_private_segment_fixed_size 0
		.amdhsa_kernarg_size 140
		.amdhsa_user_sgpr_count 6
		.amdhsa_user_sgpr_private_segment_buffer 1
		.amdhsa_user_sgpr_dispatch_ptr 0
		.amdhsa_user_sgpr_queue_ptr 0
		.amdhsa_user_sgpr_kernarg_segment_ptr 1
		.amdhsa_user_sgpr_dispatch_id 0
		.amdhsa_user_sgpr_flat_scratch_init 0
		.amdhsa_user_sgpr_private_segment_size 0
		.amdhsa_wavefront_size32 1
		.amdhsa_uses_dynamic_stack 0
		.amdhsa_system_sgpr_private_segment_wavefront_offset 0
		.amdhsa_system_sgpr_workgroup_id_x 1
		.amdhsa_system_sgpr_workgroup_id_y 1
		.amdhsa_system_sgpr_workgroup_id_z 1
		.amdhsa_system_sgpr_workgroup_info 0
		.amdhsa_system_vgpr_workitem_id 1
		.amdhsa_next_free_vgpr 38
		.amdhsa_next_free_sgpr 52
		.amdhsa_reserve_vcc 1
		.amdhsa_reserve_flat_scratch 0
		.amdhsa_float_round_mode_32 0
		.amdhsa_float_round_mode_16_64 0
		.amdhsa_float_denorm_mode_32 3
		.amdhsa_float_denorm_mode_16_64 3
		.amdhsa_dx10_clamp 1
		.amdhsa_ieee_mode 1
		.amdhsa_fp16_overflow 0
		.amdhsa_workgroup_processor_mode 1
		.amdhsa_memory_ordered 1
		.amdhsa_forward_progress 1
		.amdhsa_shared_vgpr_count 0
		.amdhsa_exception_fp_ieee_invalid_op 0
		.amdhsa_exception_fp_denorm_src 0
		.amdhsa_exception_fp_ieee_div_zero 0
		.amdhsa_exception_fp_ieee_overflow 0
		.amdhsa_exception_fp_ieee_underflow 0
		.amdhsa_exception_fp_ieee_inexact 0
		.amdhsa_exception_int_div_zero 0
	.end_amdhsa_kernel
	.section	.text._ZN12_GLOBAL__N_127rocblas_gemm_batched_kernelIdLi16ELi16ELi32ELi32ELi8ELi32ELi8ELi8ELi32ELc78ELc78EKPKdS3_KPdEEvlllT_PT11_llS8_llS6_PT12_llPT13_lli,"axG",@progbits,_ZN12_GLOBAL__N_127rocblas_gemm_batched_kernelIdLi16ELi16ELi32ELi32ELi8ELi32ELi8ELi8ELi32ELc78ELc78EKPKdS3_KPdEEvlllT_PT11_llS8_llS6_PT12_llPT13_lli,comdat
.Lfunc_end214:
	.size	_ZN12_GLOBAL__N_127rocblas_gemm_batched_kernelIdLi16ELi16ELi32ELi32ELi8ELi32ELi8ELi8ELi32ELc78ELc78EKPKdS3_KPdEEvlllT_PT11_llS8_llS6_PT12_llPT13_lli, .Lfunc_end214-_ZN12_GLOBAL__N_127rocblas_gemm_batched_kernelIdLi16ELi16ELi32ELi32ELi8ELi32ELi8ELi8ELi32ELc78ELc78EKPKdS3_KPdEEvlllT_PT11_llS8_llS6_PT12_llPT13_lli
                                        ; -- End function
	.set _ZN12_GLOBAL__N_127rocblas_gemm_batched_kernelIdLi16ELi16ELi32ELi32ELi8ELi32ELi8ELi8ELi32ELc78ELc78EKPKdS3_KPdEEvlllT_PT11_llS8_llS6_PT12_llPT13_lli.num_vgpr, 38
	.set _ZN12_GLOBAL__N_127rocblas_gemm_batched_kernelIdLi16ELi16ELi32ELi32ELi8ELi32ELi8ELi8ELi32ELc78ELc78EKPKdS3_KPdEEvlllT_PT11_llS8_llS6_PT12_llPT13_lli.num_agpr, 0
	.set _ZN12_GLOBAL__N_127rocblas_gemm_batched_kernelIdLi16ELi16ELi32ELi32ELi8ELi32ELi8ELi8ELi32ELc78ELc78EKPKdS3_KPdEEvlllT_PT11_llS8_llS6_PT12_llPT13_lli.numbered_sgpr, 52
	.set _ZN12_GLOBAL__N_127rocblas_gemm_batched_kernelIdLi16ELi16ELi32ELi32ELi8ELi32ELi8ELi8ELi32ELc78ELc78EKPKdS3_KPdEEvlllT_PT11_llS8_llS6_PT12_llPT13_lli.num_named_barrier, 0
	.set _ZN12_GLOBAL__N_127rocblas_gemm_batched_kernelIdLi16ELi16ELi32ELi32ELi8ELi32ELi8ELi8ELi32ELc78ELc78EKPKdS3_KPdEEvlllT_PT11_llS8_llS6_PT12_llPT13_lli.private_seg_size, 0
	.set _ZN12_GLOBAL__N_127rocblas_gemm_batched_kernelIdLi16ELi16ELi32ELi32ELi8ELi32ELi8ELi8ELi32ELc78ELc78EKPKdS3_KPdEEvlllT_PT11_llS8_llS6_PT12_llPT13_lli.uses_vcc, 1
	.set _ZN12_GLOBAL__N_127rocblas_gemm_batched_kernelIdLi16ELi16ELi32ELi32ELi8ELi32ELi8ELi8ELi32ELc78ELc78EKPKdS3_KPdEEvlllT_PT11_llS8_llS6_PT12_llPT13_lli.uses_flat_scratch, 0
	.set _ZN12_GLOBAL__N_127rocblas_gemm_batched_kernelIdLi16ELi16ELi32ELi32ELi8ELi32ELi8ELi8ELi32ELc78ELc78EKPKdS3_KPdEEvlllT_PT11_llS8_llS6_PT12_llPT13_lli.has_dyn_sized_stack, 0
	.set _ZN12_GLOBAL__N_127rocblas_gemm_batched_kernelIdLi16ELi16ELi32ELi32ELi8ELi32ELi8ELi8ELi32ELc78ELc78EKPKdS3_KPdEEvlllT_PT11_llS8_llS6_PT12_llPT13_lli.has_recursion, 0
	.set _ZN12_GLOBAL__N_127rocblas_gemm_batched_kernelIdLi16ELi16ELi32ELi32ELi8ELi32ELi8ELi8ELi32ELc78ELc78EKPKdS3_KPdEEvlllT_PT11_llS8_llS6_PT12_llPT13_lli.has_indirect_call, 0
	.section	.AMDGPU.csdata,"",@progbits
; Kernel info:
; codeLenInByte = 1628
; TotalNumSgprs: 54
; NumVgprs: 38
; ScratchSize: 0
; MemoryBound: 0
; FloatMode: 240
; IeeeMode: 1
; LDSByteSize: 4096 bytes/workgroup (compile time only)
; SGPRBlocks: 0
; VGPRBlocks: 4
; NumSGPRsForWavesPerEU: 54
; NumVGPRsForWavesPerEU: 38
; Occupancy: 16
; WaveLimiterHint : 1
; COMPUTE_PGM_RSRC2:SCRATCH_EN: 0
; COMPUTE_PGM_RSRC2:USER_SGPR: 6
; COMPUTE_PGM_RSRC2:TRAP_HANDLER: 0
; COMPUTE_PGM_RSRC2:TGID_X_EN: 1
; COMPUTE_PGM_RSRC2:TGID_Y_EN: 1
; COMPUTE_PGM_RSRC2:TGID_Z_EN: 1
; COMPUTE_PGM_RSRC2:TIDIG_COMP_CNT: 1
	.section	.text._ZN12_GLOBAL__N_127rocblas_gemm_batched_kernelIdLi16ELi16ELi32ELi32ELi8ELi32ELi8ELi8ELi32ELc84ELc78EKPKdS3_KPdEEvlllT_PT11_llS8_llS6_PT12_llPT13_lli,"axG",@progbits,_ZN12_GLOBAL__N_127rocblas_gemm_batched_kernelIdLi16ELi16ELi32ELi32ELi8ELi32ELi8ELi8ELi32ELc84ELc78EKPKdS3_KPdEEvlllT_PT11_llS8_llS6_PT12_llPT13_lli,comdat
	.globl	_ZN12_GLOBAL__N_127rocblas_gemm_batched_kernelIdLi16ELi16ELi32ELi32ELi8ELi32ELi8ELi8ELi32ELc84ELc78EKPKdS3_KPdEEvlllT_PT11_llS8_llS6_PT12_llPT13_lli ; -- Begin function _ZN12_GLOBAL__N_127rocblas_gemm_batched_kernelIdLi16ELi16ELi32ELi32ELi8ELi32ELi8ELi8ELi32ELc84ELc78EKPKdS3_KPdEEvlllT_PT11_llS8_llS6_PT12_llPT13_lli
	.p2align	8
	.type	_ZN12_GLOBAL__N_127rocblas_gemm_batched_kernelIdLi16ELi16ELi32ELi32ELi8ELi32ELi8ELi8ELi32ELc84ELc78EKPKdS3_KPdEEvlllT_PT11_llS8_llS6_PT12_llPT13_lli,@function
_ZN12_GLOBAL__N_127rocblas_gemm_batched_kernelIdLi16ELi16ELi32ELi32ELi8ELi32ELi8ELi8ELi32ELc84ELc78EKPKdS3_KPdEEvlllT_PT11_llS8_llS6_PT12_llPT13_lli: ; @_ZN12_GLOBAL__N_127rocblas_gemm_batched_kernelIdLi16ELi16ELi32ELi32ELi8ELi32ELi8ELi8ELi32ELc84ELc78EKPKdS3_KPdEEvlllT_PT11_llS8_llS6_PT12_llPT13_lli
; %bb.0:
	s_clause 0x2
	s_load_dwordx8 s[36:43], s[4:5], 0x50
	s_load_dwordx8 s[44:51], s[4:5], 0x70
	s_load_dwordx16 s[12:27], s[4:5], 0x10
	s_mov_b32 s9, 0
	s_mov_b32 s10, s7
	s_lshl_b64 s[0:1], s[8:9], 3
	s_waitcnt lgkmcnt(0)
	s_add_u32 s2, s38, s0
	s_addc_u32 s3, s39, s1
	s_add_u32 s4, s44, s0
	s_addc_u32 s5, s45, s1
	s_load_dwordx2 s[2:3], s[2:3], 0x0
	s_load_dwordx2 s[4:5], s[4:5], 0x0
	v_cmp_lt_i64_e64 s8, s[12:13], 1
	s_ashr_i32 s7, s6, 31
	s_ashr_i32 s11, s10, 31
	s_lshl_b64 s[6:7], s[6:7], 5
	s_and_b32 vcc_lo, exec_lo, s8
	s_lshl_b64 s[8:9], s[10:11], 5
	s_cbranch_vccnz .LBB215_3
; %bb.1:
	v_lshl_add_u32 v2, v1, 4, v0
	s_add_u32 s10, s16, s0
	v_and_b32_e32 v4, 7, v0
	s_addc_u32 s11, s17, s1
	s_add_u32 s0, s22, s0
	v_lshrrev_b32_e32 v5, 3, v2
	v_and_b32_e32 v7, 31, v2
	v_lshrrev_b32_e32 v8, 5, v2
	v_lshlrev_b32_e32 v10, 3, v4
	s_addc_u32 s1, s23, s1
	v_add_co_u32 v3, s16, v5, s8
	v_add_co_ci_u32_e64 v6, null, 0, s9, s16
	v_add_co_u32 v4, s16, s6, v7
	v_mul_lo_u32 v9, s25, v3
	v_mul_lo_u32 v6, s24, v6
	v_mad_u64_u32 v[2:3], null, s24, v3, 0
	v_add_co_ci_u32_e64 v11, null, s7, 0, s16
	v_lshl_or_b32 v12, v5, 6, v10
	s_load_dwordx2 s[0:1], s[0:1], 0x0
	v_lshlrev_b32_e32 v7, 3, v7
	s_load_dwordx2 s[10:11], s[10:11], 0x0
	v_add3_u32 v3, v3, v6, v9
	v_mul_lo_u32 v6, s19, v4
	v_mul_lo_u32 v9, s18, v11
	v_mad_u64_u32 v[4:5], null, s18, v4, 0
	v_lshlrev_b64 v[2:3], 3, v[2:3]
	s_lshl_b64 s[16:17], s[26:27], 3
	v_lshl_or_b32 v14, v8, 8, v7
	v_add_nc_u32_e32 v15, 0x800, v12
	v_lshlrev_b32_e32 v16, 3, v0
	v_lshl_add_u32 v17, v1, 6, 0x800
	v_add3_u32 v5, v5, v9, v6
	v_add_co_u32 v6, vcc_lo, v2, s16
	v_add_co_ci_u32_e64 v7, null, s17, v3, vcc_lo
	v_lshlrev_b64 v[2:3], 3, v[4:5]
	v_add_co_u32 v4, vcc_lo, v6, v10
	s_lshl_b64 s[16:17], s[20:21], 3
	v_add_co_ci_u32_e64 v5, null, 0, v7, vcc_lo
	v_add_co_u32 v2, vcc_lo, v2, s16
	v_lshlrev_b32_e32 v6, 3, v8
	v_add_co_ci_u32_e64 v3, null, s17, v3, vcc_lo
	s_waitcnt lgkmcnt(0)
	v_add_co_u32 v10, vcc_lo, s0, v4
	v_add_co_ci_u32_e64 v11, null, s1, v5, vcc_lo
	v_add_co_u32 v12, vcc_lo, v2, v6
	v_add_co_ci_u32_e64 v13, null, 0, v3, vcc_lo
	v_mov_b32_e32 v2, 0
	v_add_co_u32 v12, vcc_lo, s10, v12
	v_mov_b32_e32 v4, 0
	v_mov_b32_e32 v6, 0
	;; [unrolled: 1-line block ×7, first 2 shown]
	v_add_co_ci_u32_e64 v13, null, s11, v13, vcc_lo
	s_mov_b64 s[10:11], 0
.LBB215_2:                              ; =>This Inner Loop Header: Depth=1
	flat_load_dwordx2 v[18:19], v[12:13]
	s_add_u32 s10, s10, 8
	s_addc_u32 s11, s11, 0
	v_add_co_u32 v12, vcc_lo, v12, 64
	v_cmp_lt_i64_e64 s0, s[10:11], s[12:13]
	v_add_co_ci_u32_e64 v13, null, 0, v13, vcc_lo
	s_and_b32 vcc_lo, exec_lo, s0
	s_waitcnt vmcnt(0) lgkmcnt(0)
	ds_write_b64 v14, v[18:19]
	flat_load_dwordx2 v[18:19], v[10:11]
	v_add_co_u32 v10, s0, v10, 64
	v_add_co_ci_u32_e64 v11, null, 0, v11, s0
	s_waitcnt vmcnt(0) lgkmcnt(0)
	ds_write_b64 v15, v[18:19]
	s_waitcnt lgkmcnt(0)
	s_barrier
	buffer_gl0_inv
	ds_read_b128 v[18:21], v17
	ds_read2_b64 v[22:25], v16 offset1:16
	ds_read_b128 v[26:29], v17 offset:1024
	ds_read_b128 v[30:33], v17 offset:16
	;; [unrolled: 1-line block ×3, first 2 shown]
	s_waitcnt lgkmcnt(3)
	v_fma_f64 v[8:9], v[22:23], v[18:19], v[8:9]
	v_fma_f64 v[6:7], v[24:25], v[18:19], v[6:7]
	s_waitcnt lgkmcnt(2)
	v_fma_f64 v[18:19], v[22:23], v[26:27], v[4:5]
	v_fma_f64 v[22:23], v[24:25], v[26:27], v[2:3]
	ds_read2_b64 v[2:5], v16 offset0:32 offset1:48
	s_waitcnt lgkmcnt(0)
	v_fma_f64 v[8:9], v[2:3], v[20:21], v[8:9]
	v_fma_f64 v[6:7], v[4:5], v[20:21], v[6:7]
	;; [unrolled: 1-line block ×4, first 2 shown]
	ds_read2_b64 v[2:5], v16 offset0:64 offset1:80
	s_waitcnt lgkmcnt(0)
	v_fma_f64 v[22:23], v[2:3], v[30:31], v[8:9]
	v_fma_f64 v[24:25], v[4:5], v[30:31], v[6:7]
	v_fma_f64 v[26:27], v[2:3], v[34:35], v[18:19]
	v_fma_f64 v[28:29], v[4:5], v[34:35], v[20:21]
	ds_read2_b64 v[2:5], v16 offset0:96 offset1:112
	ds_read_b128 v[6:9], v17 offset:32
	ds_read2_b64 v[18:21], v16 offset0:128 offset1:144
	s_waitcnt lgkmcnt(2)
	v_fma_f64 v[30:31], v[2:3], v[32:33], v[22:23]
	v_fma_f64 v[32:33], v[4:5], v[32:33], v[24:25]
	;; [unrolled: 1-line block ×4, first 2 shown]
	ds_read_b128 v[2:5], v17 offset:1056
	ds_read_b128 v[22:25], v17 offset:48
	;; [unrolled: 1-line block ×3, first 2 shown]
	s_waitcnt lgkmcnt(3)
	v_fma_f64 v[30:31], v[18:19], v[6:7], v[30:31]
	v_fma_f64 v[6:7], v[20:21], v[6:7], v[32:33]
	s_waitcnt lgkmcnt(2)
	v_fma_f64 v[32:33], v[18:19], v[2:3], v[34:35]
	v_fma_f64 v[2:3], v[20:21], v[2:3], v[36:37]
	ds_read2_b64 v[18:21], v16 offset0:160 offset1:176
	s_waitcnt lgkmcnt(0)
	v_fma_f64 v[30:31], v[18:19], v[8:9], v[30:31]
	v_fma_f64 v[6:7], v[20:21], v[8:9], v[6:7]
	;; [unrolled: 1-line block ×4, first 2 shown]
	ds_read2_b64 v[2:5], v16 offset0:192 offset1:208
	s_waitcnt lgkmcnt(0)
	v_fma_f64 v[30:31], v[2:3], v[22:23], v[30:31]
	v_fma_f64 v[6:7], v[4:5], v[22:23], v[6:7]
	;; [unrolled: 1-line block ×4, first 2 shown]
	ds_read2_b64 v[18:21], v16 offset0:224 offset1:240
	s_waitcnt lgkmcnt(0)
	s_barrier
	buffer_gl0_inv
	v_fma_f64 v[8:9], v[18:19], v[24:25], v[30:31]
	v_fma_f64 v[6:7], v[20:21], v[24:25], v[6:7]
	;; [unrolled: 1-line block ×4, first 2 shown]
	s_cbranch_vccnz .LBB215_2
	s_branch .LBB215_4
.LBB215_3:
	v_mov_b32_e32 v8, 0
	v_mov_b32_e32 v6, 0
	;; [unrolled: 1-line block ×8, first 2 shown]
.LBB215_4:
	v_cmp_neq_f64_e64 s10, s[36:37], 0
	v_add_co_u32 v10, s8, s8, v1
	v_add_co_ci_u32_e64 v13, null, s9, 0, s8
	v_add_co_u32 v0, s6, s6, v0
	v_add_co_ci_u32_e64 v1, null, s7, 0, s6
	v_mul_lo_u32 v11, v13, s46
	v_mul_lo_u32 v12, v10, s47
	s_lshl_b64 s[0:1], s[48:49], 3
	v_lshlrev_b64 v[0:1], 3, v[0:1]
	s_waitcnt lgkmcnt(0)
	s_add_u32 s0, s4, s0
	s_addc_u32 s1, s5, s1
	s_and_b32 vcc_lo, exec_lo, s10
	s_cbranch_vccnz .LBB215_8
; %bb.5:
	v_mad_u64_u32 v[14:15], null, v10, s46, 0
	v_mul_f64 v[16:17], s[14:15], v[8:9]
	v_mul_f64 v[18:19], s[14:15], v[6:7]
	;; [unrolled: 1-line block ×4, first 2 shown]
	s_lshl_b64 s[4:5], s[46:47], 7
	v_add3_u32 v15, v15, v12, v11
	v_lshlrev_b64 v[14:15], 3, v[14:15]
	v_add_co_u32 v14, vcc_lo, s0, v14
	v_add_co_ci_u32_e64 v15, null, s1, v15, vcc_lo
	v_add_co_u32 v24, vcc_lo, v14, s4
	v_add_co_ci_u32_e64 v25, null, s5, v15, vcc_lo
	;; [unrolled: 2-line block ×4, first 2 shown]
	flat_store_dwordx2 v[14:15], v[16:17]
	flat_store_dwordx2 v[14:15], v[18:19] offset:128
	flat_store_dwordx2 v[24:25], v[20:21]
	flat_store_dwordx2 v[24:25], v[22:23] offset:128
	s_cbranch_execnz .LBB215_7
.LBB215_6:
	v_mul_lo_u32 v15, v13, s40
	v_mul_lo_u32 v16, v10, s41
	v_mad_u64_u32 v[13:14], null, v10, s40, 0
	s_lshl_b64 s[4:5], s[42:43], 3
	v_mad_u64_u32 v[17:18], null, v10, s46, 0
	s_add_u32 s2, s2, s4
	s_addc_u32 s3, s3, s5
	v_add3_u32 v14, v14, v16, v15
	v_add3_u32 v18, v18, v12, v11
	v_lshlrev_b64 v[13:14], 3, v[13:14]
	v_lshlrev_b64 v[10:11], 3, v[17:18]
	v_add_co_u32 v19, vcc_lo, s2, v13
	v_add_co_ci_u32_e64 v20, null, s3, v14, vcc_lo
	v_add_co_u32 v13, vcc_lo, v19, v0
	v_add_co_ci_u32_e64 v14, null, v20, v1, vcc_lo
	v_add_co_u32 v12, vcc_lo, s0, v10
	flat_load_dwordx2 v[15:16], v[13:14]
	s_waitcnt vmcnt(0) lgkmcnt(0)
	v_mul_f64 v[15:16], s[36:37], v[15:16]
	v_fma_f64 v[8:9], s[14:15], v[8:9], v[15:16]
	v_add_co_ci_u32_e64 v15, null, s1, v11, vcc_lo
	v_add_co_u32 v10, vcc_lo, v12, v0
	s_lshl_b64 s[0:1], s[40:41], 7
	v_add_co_ci_u32_e64 v11, null, v15, v1, vcc_lo
	flat_store_dwordx2 v[10:11], v[8:9]
	flat_load_dwordx2 v[8:9], v[13:14] offset:128
	s_waitcnt vmcnt(0) lgkmcnt(0)
	v_mul_f64 v[8:9], s[36:37], v[8:9]
	v_fma_f64 v[6:7], s[14:15], v[6:7], v[8:9]
	v_add_co_u32 v8, vcc_lo, v19, s0
	v_add_co_ci_u32_e64 v9, null, s1, v20, vcc_lo
	s_lshl_b64 s[0:1], s[46:47], 7
	v_add_co_u32 v8, vcc_lo, v8, v0
	v_add_co_ci_u32_e64 v9, null, v9, v1, vcc_lo
	flat_store_dwordx2 v[10:11], v[6:7] offset:128
	flat_load_dwordx2 v[6:7], v[8:9]
	s_waitcnt vmcnt(0) lgkmcnt(0)
	v_mul_f64 v[6:7], s[36:37], v[6:7]
	v_fma_f64 v[4:5], s[14:15], v[4:5], v[6:7]
	v_add_co_u32 v6, vcc_lo, v12, s0
	v_add_co_ci_u32_e64 v7, null, s1, v15, vcc_lo
	v_add_co_u32 v0, vcc_lo, v6, v0
	v_add_co_ci_u32_e64 v1, null, v7, v1, vcc_lo
	flat_store_dwordx2 v[0:1], v[4:5]
	flat_load_dwordx2 v[4:5], v[8:9] offset:128
	s_waitcnt vmcnt(0) lgkmcnt(0)
	v_mul_f64 v[4:5], s[36:37], v[4:5]
	v_fma_f64 v[2:3], s[14:15], v[2:3], v[4:5]
	flat_store_dwordx2 v[0:1], v[2:3] offset:128
.LBB215_7:
	s_endpgm
.LBB215_8:
	s_branch .LBB215_6
	.section	.rodata,"a",@progbits
	.p2align	6, 0x0
	.amdhsa_kernel _ZN12_GLOBAL__N_127rocblas_gemm_batched_kernelIdLi16ELi16ELi32ELi32ELi8ELi32ELi8ELi8ELi32ELc84ELc78EKPKdS3_KPdEEvlllT_PT11_llS8_llS6_PT12_llPT13_lli
		.amdhsa_group_segment_fixed_size 4096
		.amdhsa_private_segment_fixed_size 0
		.amdhsa_kernarg_size 140
		.amdhsa_user_sgpr_count 6
		.amdhsa_user_sgpr_private_segment_buffer 1
		.amdhsa_user_sgpr_dispatch_ptr 0
		.amdhsa_user_sgpr_queue_ptr 0
		.amdhsa_user_sgpr_kernarg_segment_ptr 1
		.amdhsa_user_sgpr_dispatch_id 0
		.amdhsa_user_sgpr_flat_scratch_init 0
		.amdhsa_user_sgpr_private_segment_size 0
		.amdhsa_wavefront_size32 1
		.amdhsa_uses_dynamic_stack 0
		.amdhsa_system_sgpr_private_segment_wavefront_offset 0
		.amdhsa_system_sgpr_workgroup_id_x 1
		.amdhsa_system_sgpr_workgroup_id_y 1
		.amdhsa_system_sgpr_workgroup_id_z 1
		.amdhsa_system_sgpr_workgroup_info 0
		.amdhsa_system_vgpr_workitem_id 1
		.amdhsa_next_free_vgpr 38
		.amdhsa_next_free_sgpr 52
		.amdhsa_reserve_vcc 1
		.amdhsa_reserve_flat_scratch 0
		.amdhsa_float_round_mode_32 0
		.amdhsa_float_round_mode_16_64 0
		.amdhsa_float_denorm_mode_32 3
		.amdhsa_float_denorm_mode_16_64 3
		.amdhsa_dx10_clamp 1
		.amdhsa_ieee_mode 1
		.amdhsa_fp16_overflow 0
		.amdhsa_workgroup_processor_mode 1
		.amdhsa_memory_ordered 1
		.amdhsa_forward_progress 1
		.amdhsa_shared_vgpr_count 0
		.amdhsa_exception_fp_ieee_invalid_op 0
		.amdhsa_exception_fp_denorm_src 0
		.amdhsa_exception_fp_ieee_div_zero 0
		.amdhsa_exception_fp_ieee_overflow 0
		.amdhsa_exception_fp_ieee_underflow 0
		.amdhsa_exception_fp_ieee_inexact 0
		.amdhsa_exception_int_div_zero 0
	.end_amdhsa_kernel
	.section	.text._ZN12_GLOBAL__N_127rocblas_gemm_batched_kernelIdLi16ELi16ELi32ELi32ELi8ELi32ELi8ELi8ELi32ELc84ELc78EKPKdS3_KPdEEvlllT_PT11_llS8_llS6_PT12_llPT13_lli,"axG",@progbits,_ZN12_GLOBAL__N_127rocblas_gemm_batched_kernelIdLi16ELi16ELi32ELi32ELi8ELi32ELi8ELi8ELi32ELc84ELc78EKPKdS3_KPdEEvlllT_PT11_llS8_llS6_PT12_llPT13_lli,comdat
.Lfunc_end215:
	.size	_ZN12_GLOBAL__N_127rocblas_gemm_batched_kernelIdLi16ELi16ELi32ELi32ELi8ELi32ELi8ELi8ELi32ELc84ELc78EKPKdS3_KPdEEvlllT_PT11_llS8_llS6_PT12_llPT13_lli, .Lfunc_end215-_ZN12_GLOBAL__N_127rocblas_gemm_batched_kernelIdLi16ELi16ELi32ELi32ELi8ELi32ELi8ELi8ELi32ELc84ELc78EKPKdS3_KPdEEvlllT_PT11_llS8_llS6_PT12_llPT13_lli
                                        ; -- End function
	.set _ZN12_GLOBAL__N_127rocblas_gemm_batched_kernelIdLi16ELi16ELi32ELi32ELi8ELi32ELi8ELi8ELi32ELc84ELc78EKPKdS3_KPdEEvlllT_PT11_llS8_llS6_PT12_llPT13_lli.num_vgpr, 38
	.set _ZN12_GLOBAL__N_127rocblas_gemm_batched_kernelIdLi16ELi16ELi32ELi32ELi8ELi32ELi8ELi8ELi32ELc84ELc78EKPKdS3_KPdEEvlllT_PT11_llS8_llS6_PT12_llPT13_lli.num_agpr, 0
	.set _ZN12_GLOBAL__N_127rocblas_gemm_batched_kernelIdLi16ELi16ELi32ELi32ELi8ELi32ELi8ELi8ELi32ELc84ELc78EKPKdS3_KPdEEvlllT_PT11_llS8_llS6_PT12_llPT13_lli.numbered_sgpr, 52
	.set _ZN12_GLOBAL__N_127rocblas_gemm_batched_kernelIdLi16ELi16ELi32ELi32ELi8ELi32ELi8ELi8ELi32ELc84ELc78EKPKdS3_KPdEEvlllT_PT11_llS8_llS6_PT12_llPT13_lli.num_named_barrier, 0
	.set _ZN12_GLOBAL__N_127rocblas_gemm_batched_kernelIdLi16ELi16ELi32ELi32ELi8ELi32ELi8ELi8ELi32ELc84ELc78EKPKdS3_KPdEEvlllT_PT11_llS8_llS6_PT12_llPT13_lli.private_seg_size, 0
	.set _ZN12_GLOBAL__N_127rocblas_gemm_batched_kernelIdLi16ELi16ELi32ELi32ELi8ELi32ELi8ELi8ELi32ELc84ELc78EKPKdS3_KPdEEvlllT_PT11_llS8_llS6_PT12_llPT13_lli.uses_vcc, 1
	.set _ZN12_GLOBAL__N_127rocblas_gemm_batched_kernelIdLi16ELi16ELi32ELi32ELi8ELi32ELi8ELi8ELi32ELc84ELc78EKPKdS3_KPdEEvlllT_PT11_llS8_llS6_PT12_llPT13_lli.uses_flat_scratch, 0
	.set _ZN12_GLOBAL__N_127rocblas_gemm_batched_kernelIdLi16ELi16ELi32ELi32ELi8ELi32ELi8ELi8ELi32ELc84ELc78EKPKdS3_KPdEEvlllT_PT11_llS8_llS6_PT12_llPT13_lli.has_dyn_sized_stack, 0
	.set _ZN12_GLOBAL__N_127rocblas_gemm_batched_kernelIdLi16ELi16ELi32ELi32ELi8ELi32ELi8ELi8ELi32ELc84ELc78EKPKdS3_KPdEEvlllT_PT11_llS8_llS6_PT12_llPT13_lli.has_recursion, 0
	.set _ZN12_GLOBAL__N_127rocblas_gemm_batched_kernelIdLi16ELi16ELi32ELi32ELi8ELi32ELi8ELi8ELi32ELc84ELc78EKPKdS3_KPdEEvlllT_PT11_llS8_llS6_PT12_llPT13_lli.has_indirect_call, 0
	.section	.AMDGPU.csdata,"",@progbits
; Kernel info:
; codeLenInByte = 1668
; TotalNumSgprs: 54
; NumVgprs: 38
; ScratchSize: 0
; MemoryBound: 0
; FloatMode: 240
; IeeeMode: 1
; LDSByteSize: 4096 bytes/workgroup (compile time only)
; SGPRBlocks: 0
; VGPRBlocks: 4
; NumSGPRsForWavesPerEU: 54
; NumVGPRsForWavesPerEU: 38
; Occupancy: 16
; WaveLimiterHint : 1
; COMPUTE_PGM_RSRC2:SCRATCH_EN: 0
; COMPUTE_PGM_RSRC2:USER_SGPR: 6
; COMPUTE_PGM_RSRC2:TRAP_HANDLER: 0
; COMPUTE_PGM_RSRC2:TGID_X_EN: 1
; COMPUTE_PGM_RSRC2:TGID_Y_EN: 1
; COMPUTE_PGM_RSRC2:TGID_Z_EN: 1
; COMPUTE_PGM_RSRC2:TIDIG_COMP_CNT: 1
	.section	.text._ZN12_GLOBAL__N_127rocblas_gemm_batched_kernelIdLi16ELi16ELi32ELi32ELi8ELi32ELi8ELi8ELi32ELc78ELc84EKPKdS3_KPdEEvlllT_PT11_llS8_llS6_PT12_llPT13_lli,"axG",@progbits,_ZN12_GLOBAL__N_127rocblas_gemm_batched_kernelIdLi16ELi16ELi32ELi32ELi8ELi32ELi8ELi8ELi32ELc78ELc84EKPKdS3_KPdEEvlllT_PT11_llS8_llS6_PT12_llPT13_lli,comdat
	.globl	_ZN12_GLOBAL__N_127rocblas_gemm_batched_kernelIdLi16ELi16ELi32ELi32ELi8ELi32ELi8ELi8ELi32ELc78ELc84EKPKdS3_KPdEEvlllT_PT11_llS8_llS6_PT12_llPT13_lli ; -- Begin function _ZN12_GLOBAL__N_127rocblas_gemm_batched_kernelIdLi16ELi16ELi32ELi32ELi8ELi32ELi8ELi8ELi32ELc78ELc84EKPKdS3_KPdEEvlllT_PT11_llS8_llS6_PT12_llPT13_lli
	.p2align	8
	.type	_ZN12_GLOBAL__N_127rocblas_gemm_batched_kernelIdLi16ELi16ELi32ELi32ELi8ELi32ELi8ELi8ELi32ELc78ELc84EKPKdS3_KPdEEvlllT_PT11_llS8_llS6_PT12_llPT13_lli,@function
_ZN12_GLOBAL__N_127rocblas_gemm_batched_kernelIdLi16ELi16ELi32ELi32ELi8ELi32ELi8ELi8ELi32ELc78ELc84EKPKdS3_KPdEEvlllT_PT11_llS8_llS6_PT12_llPT13_lli: ; @_ZN12_GLOBAL__N_127rocblas_gemm_batched_kernelIdLi16ELi16ELi32ELi32ELi8ELi32ELi8ELi8ELi32ELc78ELc84EKPKdS3_KPdEEvlllT_PT11_llS8_llS6_PT12_llPT13_lli
; %bb.0:
	s_clause 0x2
	s_load_dwordx8 s[36:43], s[4:5], 0x50
	s_load_dwordx8 s[44:51], s[4:5], 0x70
	s_load_dwordx16 s[12:27], s[4:5], 0x10
	s_mov_b32 s9, 0
	s_mov_b32 s10, s7
	s_lshl_b64 s[0:1], s[8:9], 3
	v_mov_b32_e32 v3, 0
	s_waitcnt lgkmcnt(0)
	s_add_u32 s2, s38, s0
	s_addc_u32 s3, s39, s1
	s_add_u32 s4, s44, s0
	s_addc_u32 s5, s45, s1
	s_load_dwordx2 s[2:3], s[2:3], 0x0
	s_load_dwordx2 s[4:5], s[4:5], 0x0
	v_cmp_lt_i64_e64 s8, s[12:13], 1
	s_ashr_i32 s7, s6, 31
	s_ashr_i32 s11, s10, 31
	s_lshl_b64 s[6:7], s[6:7], 5
	s_and_b32 vcc_lo, exec_lo, s8
	s_lshl_b64 s[8:9], s[10:11], 5
	s_cbranch_vccnz .LBB216_3
; %bb.1:
	v_lshl_add_u32 v5, v1, 4, v0
	v_and_b32_e32 v7, 7, v0
	s_add_u32 s10, s16, s0
	s_addc_u32 s11, s17, s1
	s_add_u32 s0, s22, s0
	v_lshrrev_b32_e32 v2, 3, v5
	v_lshrrev_b32_e32 v9, 5, v5
	v_and_b32_e32 v10, 31, v5
	s_addc_u32 s1, s23, s1
	v_lshlrev_b32_e32 v11, 3, v7
	v_mad_u64_u32 v[3:4], null, s24, v7, v[2:3]
	v_mad_u64_u32 v[5:6], null, s18, v9, s[6:7]
	s_load_dwordx2 s[0:1], s[0:1], 0x0
	s_load_dwordx2 s[16:17], s[10:11], 0x0
	v_lshlrev_b32_e32 v12, 3, v10
	s_lshl_b64 s[10:11], s[26:27], 3
	v_add_co_u32 v3, vcc_lo, v3, s8
	v_mad_u64_u32 v[7:8], null, s25, v7, v[4:5]
	v_lshl_or_b32 v8, v2, 6, v11
	v_mov_b32_e32 v2, v6
	v_lshl_or_b32 v16, v9, 8, v12
	v_lshlrev_b32_e32 v14, 3, v0
	v_lshl_add_u32 v15, v1, 6, 0x800
	v_add_nc_u32_e32 v17, 0x800, v8
	v_add_co_ci_u32_e64 v4, null, s9, v7, vcc_lo
	v_mad_u64_u32 v[6:7], null, s19, v9, v[2:3]
	v_mov_b32_e32 v8, 0
	v_lshlrev_b64 v[2:3], 3, v[3:4]
	v_add_co_u32 v4, vcc_lo, v5, v10
	s_waitcnt lgkmcnt(0)
	s_add_u32 s0, s0, s10
	s_addc_u32 s1, s1, s11
	v_add_co_ci_u32_e64 v5, null, 0, v6, vcc_lo
	v_add_co_u32 v10, vcc_lo, s0, v2
	v_add_co_ci_u32_e64 v11, null, s1, v3, vcc_lo
	v_lshlrev_b64 v[12:13], 3, v[4:5]
	s_lshl_b64 s[0:1], s[20:21], 3
	s_lshl_b64 s[10:11], s[24:25], 6
	s_add_u32 s0, s16, s0
	s_addc_u32 s1, s17, s1
	v_mov_b32_e32 v2, 0
	v_add_co_u32 v12, vcc_lo, s0, v12
	v_mov_b32_e32 v4, 0
	v_mov_b32_e32 v6, 0
	v_mov_b32_e32 v3, 0
	v_mov_b32_e32 v5, 0
	v_mov_b32_e32 v7, 0
	v_mov_b32_e32 v9, 0
	v_add_co_ci_u32_e64 v13, null, s1, v13, vcc_lo
	s_lshl_b64 s[16:17], s[18:19], 6
	s_mov_b64 s[18:19], 0
.LBB216_2:                              ; =>This Inner Loop Header: Depth=1
	flat_load_dwordx2 v[18:19], v[12:13]
	s_add_u32 s18, s18, 8
	s_addc_u32 s19, s19, 0
	v_add_co_u32 v12, vcc_lo, v12, s16
	v_cmp_lt_i64_e64 s0, s[18:19], s[12:13]
	v_add_co_ci_u32_e64 v13, null, s17, v13, vcc_lo
	s_and_b32 vcc_lo, exec_lo, s0
	s_waitcnt vmcnt(0) lgkmcnt(0)
	ds_write_b64 v16, v[18:19]
	flat_load_dwordx2 v[18:19], v[10:11]
	v_add_co_u32 v10, s0, v10, s10
	v_add_co_ci_u32_e64 v11, null, s11, v11, s0
	s_waitcnt vmcnt(0) lgkmcnt(0)
	ds_write_b64 v17, v[18:19]
	s_waitcnt lgkmcnt(0)
	s_barrier
	buffer_gl0_inv
	ds_read_b128 v[18:21], v15
	ds_read2_b64 v[22:25], v14 offset1:16
	ds_read_b128 v[26:29], v15 offset:1024
	ds_read_b128 v[30:33], v15 offset:16
	;; [unrolled: 1-line block ×3, first 2 shown]
	s_waitcnt lgkmcnt(3)
	v_fma_f64 v[8:9], v[22:23], v[18:19], v[8:9]
	v_fma_f64 v[6:7], v[24:25], v[18:19], v[6:7]
	s_waitcnt lgkmcnt(2)
	v_fma_f64 v[18:19], v[22:23], v[26:27], v[4:5]
	v_fma_f64 v[22:23], v[24:25], v[26:27], v[2:3]
	ds_read2_b64 v[2:5], v14 offset0:32 offset1:48
	s_waitcnt lgkmcnt(0)
	v_fma_f64 v[8:9], v[2:3], v[20:21], v[8:9]
	v_fma_f64 v[6:7], v[4:5], v[20:21], v[6:7]
	;; [unrolled: 1-line block ×4, first 2 shown]
	ds_read2_b64 v[2:5], v14 offset0:64 offset1:80
	s_waitcnt lgkmcnt(0)
	v_fma_f64 v[22:23], v[2:3], v[30:31], v[8:9]
	v_fma_f64 v[24:25], v[4:5], v[30:31], v[6:7]
	v_fma_f64 v[26:27], v[2:3], v[34:35], v[18:19]
	v_fma_f64 v[28:29], v[4:5], v[34:35], v[20:21]
	ds_read2_b64 v[2:5], v14 offset0:96 offset1:112
	ds_read_b128 v[6:9], v15 offset:32
	ds_read2_b64 v[18:21], v14 offset0:128 offset1:144
	s_waitcnt lgkmcnt(2)
	v_fma_f64 v[30:31], v[2:3], v[32:33], v[22:23]
	v_fma_f64 v[32:33], v[4:5], v[32:33], v[24:25]
	;; [unrolled: 1-line block ×4, first 2 shown]
	ds_read_b128 v[2:5], v15 offset:1056
	ds_read_b128 v[22:25], v15 offset:48
	;; [unrolled: 1-line block ×3, first 2 shown]
	s_waitcnt lgkmcnt(3)
	v_fma_f64 v[30:31], v[18:19], v[6:7], v[30:31]
	v_fma_f64 v[6:7], v[20:21], v[6:7], v[32:33]
	s_waitcnt lgkmcnt(2)
	v_fma_f64 v[32:33], v[18:19], v[2:3], v[34:35]
	v_fma_f64 v[2:3], v[20:21], v[2:3], v[36:37]
	ds_read2_b64 v[18:21], v14 offset0:160 offset1:176
	s_waitcnt lgkmcnt(0)
	v_fma_f64 v[30:31], v[18:19], v[8:9], v[30:31]
	v_fma_f64 v[6:7], v[20:21], v[8:9], v[6:7]
	;; [unrolled: 1-line block ×4, first 2 shown]
	ds_read2_b64 v[2:5], v14 offset0:192 offset1:208
	s_waitcnt lgkmcnt(0)
	v_fma_f64 v[30:31], v[2:3], v[22:23], v[30:31]
	v_fma_f64 v[6:7], v[4:5], v[22:23], v[6:7]
	;; [unrolled: 1-line block ×4, first 2 shown]
	ds_read2_b64 v[18:21], v14 offset0:224 offset1:240
	s_waitcnt lgkmcnt(0)
	s_barrier
	buffer_gl0_inv
	v_fma_f64 v[8:9], v[18:19], v[24:25], v[30:31]
	v_fma_f64 v[6:7], v[20:21], v[24:25], v[6:7]
	;; [unrolled: 1-line block ×4, first 2 shown]
	s_cbranch_vccnz .LBB216_2
	s_branch .LBB216_4
.LBB216_3:
	v_mov_b32_e32 v8, 0
	v_mov_b32_e32 v6, 0
	;; [unrolled: 1-line block ×8, first 2 shown]
.LBB216_4:
	v_cmp_neq_f64_e64 s10, s[36:37], 0
	v_add_co_u32 v10, s8, s8, v1
	v_add_co_ci_u32_e64 v13, null, s9, 0, s8
	v_add_co_u32 v0, s6, s6, v0
	v_add_co_ci_u32_e64 v1, null, s7, 0, s6
	v_mul_lo_u32 v11, v13, s46
	v_mul_lo_u32 v12, v10, s47
	s_lshl_b64 s[0:1], s[48:49], 3
	v_lshlrev_b64 v[0:1], 3, v[0:1]
	s_waitcnt lgkmcnt(0)
	s_add_u32 s0, s4, s0
	s_addc_u32 s1, s5, s1
	s_and_b32 vcc_lo, exec_lo, s10
	s_cbranch_vccnz .LBB216_8
; %bb.5:
	v_mad_u64_u32 v[14:15], null, v10, s46, 0
	v_mul_f64 v[16:17], s[14:15], v[8:9]
	v_mul_f64 v[18:19], s[14:15], v[6:7]
	;; [unrolled: 1-line block ×4, first 2 shown]
	s_lshl_b64 s[4:5], s[46:47], 7
	v_add3_u32 v15, v15, v12, v11
	v_lshlrev_b64 v[14:15], 3, v[14:15]
	v_add_co_u32 v14, vcc_lo, s0, v14
	v_add_co_ci_u32_e64 v15, null, s1, v15, vcc_lo
	v_add_co_u32 v24, vcc_lo, v14, s4
	v_add_co_ci_u32_e64 v25, null, s5, v15, vcc_lo
	;; [unrolled: 2-line block ×4, first 2 shown]
	flat_store_dwordx2 v[14:15], v[16:17]
	flat_store_dwordx2 v[14:15], v[18:19] offset:128
	flat_store_dwordx2 v[24:25], v[20:21]
	flat_store_dwordx2 v[24:25], v[22:23] offset:128
	s_cbranch_execnz .LBB216_7
.LBB216_6:
	v_mul_lo_u32 v15, v13, s40
	v_mul_lo_u32 v16, v10, s41
	v_mad_u64_u32 v[13:14], null, v10, s40, 0
	s_lshl_b64 s[4:5], s[42:43], 3
	v_mad_u64_u32 v[17:18], null, v10, s46, 0
	s_add_u32 s2, s2, s4
	s_addc_u32 s3, s3, s5
	v_add3_u32 v14, v14, v16, v15
	v_add3_u32 v18, v18, v12, v11
	v_lshlrev_b64 v[13:14], 3, v[13:14]
	v_lshlrev_b64 v[10:11], 3, v[17:18]
	v_add_co_u32 v19, vcc_lo, s2, v13
	v_add_co_ci_u32_e64 v20, null, s3, v14, vcc_lo
	v_add_co_u32 v13, vcc_lo, v19, v0
	v_add_co_ci_u32_e64 v14, null, v20, v1, vcc_lo
	v_add_co_u32 v12, vcc_lo, s0, v10
	flat_load_dwordx2 v[15:16], v[13:14]
	s_waitcnt vmcnt(0) lgkmcnt(0)
	v_mul_f64 v[15:16], s[36:37], v[15:16]
	v_fma_f64 v[8:9], s[14:15], v[8:9], v[15:16]
	v_add_co_ci_u32_e64 v15, null, s1, v11, vcc_lo
	v_add_co_u32 v10, vcc_lo, v12, v0
	s_lshl_b64 s[0:1], s[40:41], 7
	v_add_co_ci_u32_e64 v11, null, v15, v1, vcc_lo
	flat_store_dwordx2 v[10:11], v[8:9]
	flat_load_dwordx2 v[8:9], v[13:14] offset:128
	s_waitcnt vmcnt(0) lgkmcnt(0)
	v_mul_f64 v[8:9], s[36:37], v[8:9]
	v_fma_f64 v[6:7], s[14:15], v[6:7], v[8:9]
	v_add_co_u32 v8, vcc_lo, v19, s0
	v_add_co_ci_u32_e64 v9, null, s1, v20, vcc_lo
	s_lshl_b64 s[0:1], s[46:47], 7
	v_add_co_u32 v8, vcc_lo, v8, v0
	v_add_co_ci_u32_e64 v9, null, v9, v1, vcc_lo
	flat_store_dwordx2 v[10:11], v[6:7] offset:128
	flat_load_dwordx2 v[6:7], v[8:9]
	s_waitcnt vmcnt(0) lgkmcnt(0)
	v_mul_f64 v[6:7], s[36:37], v[6:7]
	v_fma_f64 v[4:5], s[14:15], v[4:5], v[6:7]
	v_add_co_u32 v6, vcc_lo, v12, s0
	v_add_co_ci_u32_e64 v7, null, s1, v15, vcc_lo
	v_add_co_u32 v0, vcc_lo, v6, v0
	v_add_co_ci_u32_e64 v1, null, v7, v1, vcc_lo
	flat_store_dwordx2 v[0:1], v[4:5]
	flat_load_dwordx2 v[4:5], v[8:9] offset:128
	s_waitcnt vmcnt(0) lgkmcnt(0)
	v_mul_f64 v[4:5], s[36:37], v[4:5]
	v_fma_f64 v[2:3], s[14:15], v[2:3], v[4:5]
	flat_store_dwordx2 v[0:1], v[2:3] offset:128
.LBB216_7:
	s_endpgm
.LBB216_8:
	s_branch .LBB216_6
	.section	.rodata,"a",@progbits
	.p2align	6, 0x0
	.amdhsa_kernel _ZN12_GLOBAL__N_127rocblas_gemm_batched_kernelIdLi16ELi16ELi32ELi32ELi8ELi32ELi8ELi8ELi32ELc78ELc84EKPKdS3_KPdEEvlllT_PT11_llS8_llS6_PT12_llPT13_lli
		.amdhsa_group_segment_fixed_size 4096
		.amdhsa_private_segment_fixed_size 0
		.amdhsa_kernarg_size 140
		.amdhsa_user_sgpr_count 6
		.amdhsa_user_sgpr_private_segment_buffer 1
		.amdhsa_user_sgpr_dispatch_ptr 0
		.amdhsa_user_sgpr_queue_ptr 0
		.amdhsa_user_sgpr_kernarg_segment_ptr 1
		.amdhsa_user_sgpr_dispatch_id 0
		.amdhsa_user_sgpr_flat_scratch_init 0
		.amdhsa_user_sgpr_private_segment_size 0
		.amdhsa_wavefront_size32 1
		.amdhsa_uses_dynamic_stack 0
		.amdhsa_system_sgpr_private_segment_wavefront_offset 0
		.amdhsa_system_sgpr_workgroup_id_x 1
		.amdhsa_system_sgpr_workgroup_id_y 1
		.amdhsa_system_sgpr_workgroup_id_z 1
		.amdhsa_system_sgpr_workgroup_info 0
		.amdhsa_system_vgpr_workitem_id 1
		.amdhsa_next_free_vgpr 38
		.amdhsa_next_free_sgpr 52
		.amdhsa_reserve_vcc 1
		.amdhsa_reserve_flat_scratch 0
		.amdhsa_float_round_mode_32 0
		.amdhsa_float_round_mode_16_64 0
		.amdhsa_float_denorm_mode_32 3
		.amdhsa_float_denorm_mode_16_64 3
		.amdhsa_dx10_clamp 1
		.amdhsa_ieee_mode 1
		.amdhsa_fp16_overflow 0
		.amdhsa_workgroup_processor_mode 1
		.amdhsa_memory_ordered 1
		.amdhsa_forward_progress 1
		.amdhsa_shared_vgpr_count 0
		.amdhsa_exception_fp_ieee_invalid_op 0
		.amdhsa_exception_fp_denorm_src 0
		.amdhsa_exception_fp_ieee_div_zero 0
		.amdhsa_exception_fp_ieee_overflow 0
		.amdhsa_exception_fp_ieee_underflow 0
		.amdhsa_exception_fp_ieee_inexact 0
		.amdhsa_exception_int_div_zero 0
	.end_amdhsa_kernel
	.section	.text._ZN12_GLOBAL__N_127rocblas_gemm_batched_kernelIdLi16ELi16ELi32ELi32ELi8ELi32ELi8ELi8ELi32ELc78ELc84EKPKdS3_KPdEEvlllT_PT11_llS8_llS6_PT12_llPT13_lli,"axG",@progbits,_ZN12_GLOBAL__N_127rocblas_gemm_batched_kernelIdLi16ELi16ELi32ELi32ELi8ELi32ELi8ELi8ELi32ELc78ELc84EKPKdS3_KPdEEvlllT_PT11_llS8_llS6_PT12_llPT13_lli,comdat
.Lfunc_end216:
	.size	_ZN12_GLOBAL__N_127rocblas_gemm_batched_kernelIdLi16ELi16ELi32ELi32ELi8ELi32ELi8ELi8ELi32ELc78ELc84EKPKdS3_KPdEEvlllT_PT11_llS8_llS6_PT12_llPT13_lli, .Lfunc_end216-_ZN12_GLOBAL__N_127rocblas_gemm_batched_kernelIdLi16ELi16ELi32ELi32ELi8ELi32ELi8ELi8ELi32ELc78ELc84EKPKdS3_KPdEEvlllT_PT11_llS8_llS6_PT12_llPT13_lli
                                        ; -- End function
	.set _ZN12_GLOBAL__N_127rocblas_gemm_batched_kernelIdLi16ELi16ELi32ELi32ELi8ELi32ELi8ELi8ELi32ELc78ELc84EKPKdS3_KPdEEvlllT_PT11_llS8_llS6_PT12_llPT13_lli.num_vgpr, 38
	.set _ZN12_GLOBAL__N_127rocblas_gemm_batched_kernelIdLi16ELi16ELi32ELi32ELi8ELi32ELi8ELi8ELi32ELc78ELc84EKPKdS3_KPdEEvlllT_PT11_llS8_llS6_PT12_llPT13_lli.num_agpr, 0
	.set _ZN12_GLOBAL__N_127rocblas_gemm_batched_kernelIdLi16ELi16ELi32ELi32ELi8ELi32ELi8ELi8ELi32ELc78ELc84EKPKdS3_KPdEEvlllT_PT11_llS8_llS6_PT12_llPT13_lli.numbered_sgpr, 52
	.set _ZN12_GLOBAL__N_127rocblas_gemm_batched_kernelIdLi16ELi16ELi32ELi32ELi8ELi32ELi8ELi8ELi32ELc78ELc84EKPKdS3_KPdEEvlllT_PT11_llS8_llS6_PT12_llPT13_lli.num_named_barrier, 0
	.set _ZN12_GLOBAL__N_127rocblas_gemm_batched_kernelIdLi16ELi16ELi32ELi32ELi8ELi32ELi8ELi8ELi32ELc78ELc84EKPKdS3_KPdEEvlllT_PT11_llS8_llS6_PT12_llPT13_lli.private_seg_size, 0
	.set _ZN12_GLOBAL__N_127rocblas_gemm_batched_kernelIdLi16ELi16ELi32ELi32ELi8ELi32ELi8ELi8ELi32ELc78ELc84EKPKdS3_KPdEEvlllT_PT11_llS8_llS6_PT12_llPT13_lli.uses_vcc, 1
	.set _ZN12_GLOBAL__N_127rocblas_gemm_batched_kernelIdLi16ELi16ELi32ELi32ELi8ELi32ELi8ELi8ELi32ELc78ELc84EKPKdS3_KPdEEvlllT_PT11_llS8_llS6_PT12_llPT13_lli.uses_flat_scratch, 0
	.set _ZN12_GLOBAL__N_127rocblas_gemm_batched_kernelIdLi16ELi16ELi32ELi32ELi8ELi32ELi8ELi8ELi32ELc78ELc84EKPKdS3_KPdEEvlllT_PT11_llS8_llS6_PT12_llPT13_lli.has_dyn_sized_stack, 0
	.set _ZN12_GLOBAL__N_127rocblas_gemm_batched_kernelIdLi16ELi16ELi32ELi32ELi8ELi32ELi8ELi8ELi32ELc78ELc84EKPKdS3_KPdEEvlllT_PT11_llS8_llS6_PT12_llPT13_lli.has_recursion, 0
	.set _ZN12_GLOBAL__N_127rocblas_gemm_batched_kernelIdLi16ELi16ELi32ELi32ELi8ELi32ELi8ELi8ELi32ELc78ELc84EKPKdS3_KPdEEvlllT_PT11_llS8_llS6_PT12_llPT13_lli.has_indirect_call, 0
	.section	.AMDGPU.csdata,"",@progbits
; Kernel info:
; codeLenInByte = 1600
; TotalNumSgprs: 54
; NumVgprs: 38
; ScratchSize: 0
; MemoryBound: 0
; FloatMode: 240
; IeeeMode: 1
; LDSByteSize: 4096 bytes/workgroup (compile time only)
; SGPRBlocks: 0
; VGPRBlocks: 4
; NumSGPRsForWavesPerEU: 54
; NumVGPRsForWavesPerEU: 38
; Occupancy: 16
; WaveLimiterHint : 1
; COMPUTE_PGM_RSRC2:SCRATCH_EN: 0
; COMPUTE_PGM_RSRC2:USER_SGPR: 6
; COMPUTE_PGM_RSRC2:TRAP_HANDLER: 0
; COMPUTE_PGM_RSRC2:TGID_X_EN: 1
; COMPUTE_PGM_RSRC2:TGID_Y_EN: 1
; COMPUTE_PGM_RSRC2:TGID_Z_EN: 1
; COMPUTE_PGM_RSRC2:TIDIG_COMP_CNT: 1
	.section	.text._ZN12_GLOBAL__N_127rocblas_gemm_batched_kernelIdLi16ELi16ELi32ELi32ELi8ELi32ELi8ELi8ELi32ELc84ELc84EKPKdS3_KPdEEvlllT_PT11_llS8_llS6_PT12_llPT13_lli,"axG",@progbits,_ZN12_GLOBAL__N_127rocblas_gemm_batched_kernelIdLi16ELi16ELi32ELi32ELi8ELi32ELi8ELi8ELi32ELc84ELc84EKPKdS3_KPdEEvlllT_PT11_llS8_llS6_PT12_llPT13_lli,comdat
	.globl	_ZN12_GLOBAL__N_127rocblas_gemm_batched_kernelIdLi16ELi16ELi32ELi32ELi8ELi32ELi8ELi8ELi32ELc84ELc84EKPKdS3_KPdEEvlllT_PT11_llS8_llS6_PT12_llPT13_lli ; -- Begin function _ZN12_GLOBAL__N_127rocblas_gemm_batched_kernelIdLi16ELi16ELi32ELi32ELi8ELi32ELi8ELi8ELi32ELc84ELc84EKPKdS3_KPdEEvlllT_PT11_llS8_llS6_PT12_llPT13_lli
	.p2align	8
	.type	_ZN12_GLOBAL__N_127rocblas_gemm_batched_kernelIdLi16ELi16ELi32ELi32ELi8ELi32ELi8ELi8ELi32ELc84ELc84EKPKdS3_KPdEEvlllT_PT11_llS8_llS6_PT12_llPT13_lli,@function
_ZN12_GLOBAL__N_127rocblas_gemm_batched_kernelIdLi16ELi16ELi32ELi32ELi8ELi32ELi8ELi8ELi32ELc84ELc84EKPKdS3_KPdEEvlllT_PT11_llS8_llS6_PT12_llPT13_lli: ; @_ZN12_GLOBAL__N_127rocblas_gemm_batched_kernelIdLi16ELi16ELi32ELi32ELi8ELi32ELi8ELi8ELi32ELc84ELc84EKPKdS3_KPdEEvlllT_PT11_llS8_llS6_PT12_llPT13_lli
; %bb.0:
	s_clause 0x2
	s_load_dwordx8 s[36:43], s[4:5], 0x50
	s_load_dwordx8 s[44:51], s[4:5], 0x70
	s_load_dwordx16 s[12:27], s[4:5], 0x10
	s_mov_b32 s9, 0
	s_mov_b32 s10, s7
	s_lshl_b64 s[0:1], s[8:9], 3
	v_mov_b32_e32 v3, 0
	s_waitcnt lgkmcnt(0)
	s_add_u32 s2, s38, s0
	s_addc_u32 s3, s39, s1
	s_add_u32 s4, s44, s0
	s_addc_u32 s5, s45, s1
	s_load_dwordx2 s[2:3], s[2:3], 0x0
	s_load_dwordx2 s[4:5], s[4:5], 0x0
	v_cmp_lt_i64_e64 s8, s[12:13], 1
	s_ashr_i32 s7, s6, 31
	s_ashr_i32 s11, s10, 31
	s_lshl_b64 s[6:7], s[6:7], 5
	s_and_b32 vcc_lo, exec_lo, s8
	s_lshl_b64 s[8:9], s[10:11], 5
	s_cbranch_vccnz .LBB217_3
; %bb.1:
	v_lshl_add_u32 v5, v1, 4, v0
	s_add_u32 s10, s16, s0
	v_and_b32_e32 v7, 7, v0
	s_addc_u32 s11, s17, s1
	s_add_u32 s0, s22, s0
	v_and_b32_e32 v8, 31, v5
	v_lshrrev_b32_e32 v2, 3, v5
	s_addc_u32 s1, s23, s1
	v_lshrrev_b32_e32 v10, 5, v5
	s_load_dwordx2 s[0:1], s[0:1], 0x0
	v_add_co_u32 v6, s16, s6, v8
	v_mad_u64_u32 v[3:4], null, s24, v7, v[2:3]
	v_add_co_ci_u32_e64 v9, null, s7, 0, s16
	v_mul_lo_u32 v12, s19, v6
	v_mad_u64_u32 v[5:6], null, s18, v6, 0
	v_lshlrev_b32_e32 v11, 3, v7
	v_mul_lo_u32 v9, s18, v9
	v_lshlrev_b32_e32 v13, 3, v8
	s_load_dwordx2 s[10:11], s[10:11], 0x0
	s_lshl_b64 s[16:17], s[26:27], 3
	v_lshl_or_b32 v2, v2, 6, v11
	v_mad_u64_u32 v[7:8], null, s25, v7, v[4:5]
	v_lshl_or_b32 v14, v10, 8, v13
	v_add3_u32 v6, v6, v9, v12
	v_add_nc_u32_e32 v15, 0x800, v2
	v_add_co_u32 v2, vcc_lo, v3, s8
	s_waitcnt lgkmcnt(0)
	s_add_u32 s16, s0, s16
	v_add_co_ci_u32_e64 v3, null, s9, v7, vcc_lo
	v_lshlrev_b64 v[4:5], 3, v[5:6]
	s_addc_u32 s17, s1, s17
	s_lshl_b64 s[0:1], s[20:21], 3
	v_lshlrev_b64 v[2:3], 3, v[2:3]
	v_lshlrev_b32_e32 v6, 3, v10
	v_mov_b32_e32 v8, 0
	v_add_co_u32 v4, vcc_lo, v4, s0
	v_add_co_ci_u32_e64 v5, null, s1, v5, vcc_lo
	v_add_co_u32 v10, vcc_lo, s16, v2
	v_add_co_ci_u32_e64 v11, null, s17, v3, vcc_lo
	;; [unrolled: 2-line block ×3, first 2 shown]
	v_mov_b32_e32 v2, 0
	v_add_co_u32 v12, vcc_lo, s10, v12
	v_mov_b32_e32 v4, 0
	v_mov_b32_e32 v6, 0
	v_lshlrev_b32_e32 v16, 3, v0
	v_lshl_add_u32 v17, v1, 6, 0x800
	v_mov_b32_e32 v3, 0
	v_mov_b32_e32 v5, 0
	;; [unrolled: 1-line block ×4, first 2 shown]
	v_add_co_ci_u32_e64 v13, null, s11, v13, vcc_lo
	s_lshl_b64 s[10:11], s[24:25], 6
	s_mov_b64 s[16:17], 0
.LBB217_2:                              ; =>This Inner Loop Header: Depth=1
	flat_load_dwordx2 v[18:19], v[12:13]
	s_add_u32 s16, s16, 8
	s_addc_u32 s17, s17, 0
	v_add_co_u32 v12, vcc_lo, v12, 64
	v_cmp_lt_i64_e64 s0, s[16:17], s[12:13]
	v_add_co_ci_u32_e64 v13, null, 0, v13, vcc_lo
	s_and_b32 vcc_lo, exec_lo, s0
	s_waitcnt vmcnt(0) lgkmcnt(0)
	ds_write_b64 v14, v[18:19]
	flat_load_dwordx2 v[18:19], v[10:11]
	v_add_co_u32 v10, s0, v10, s10
	v_add_co_ci_u32_e64 v11, null, s11, v11, s0
	s_waitcnt vmcnt(0) lgkmcnt(0)
	ds_write_b64 v15, v[18:19]
	s_waitcnt lgkmcnt(0)
	s_barrier
	buffer_gl0_inv
	ds_read_b128 v[18:21], v17
	ds_read2_b64 v[22:25], v16 offset1:16
	ds_read_b128 v[26:29], v17 offset:1024
	ds_read_b128 v[30:33], v17 offset:16
	;; [unrolled: 1-line block ×3, first 2 shown]
	s_waitcnt lgkmcnt(3)
	v_fma_f64 v[8:9], v[22:23], v[18:19], v[8:9]
	v_fma_f64 v[6:7], v[24:25], v[18:19], v[6:7]
	s_waitcnt lgkmcnt(2)
	v_fma_f64 v[18:19], v[22:23], v[26:27], v[4:5]
	v_fma_f64 v[22:23], v[24:25], v[26:27], v[2:3]
	ds_read2_b64 v[2:5], v16 offset0:32 offset1:48
	s_waitcnt lgkmcnt(0)
	v_fma_f64 v[8:9], v[2:3], v[20:21], v[8:9]
	v_fma_f64 v[6:7], v[4:5], v[20:21], v[6:7]
	;; [unrolled: 1-line block ×4, first 2 shown]
	ds_read2_b64 v[2:5], v16 offset0:64 offset1:80
	s_waitcnt lgkmcnt(0)
	v_fma_f64 v[22:23], v[2:3], v[30:31], v[8:9]
	v_fma_f64 v[24:25], v[4:5], v[30:31], v[6:7]
	;; [unrolled: 1-line block ×4, first 2 shown]
	ds_read2_b64 v[2:5], v16 offset0:96 offset1:112
	ds_read_b128 v[6:9], v17 offset:32
	ds_read2_b64 v[18:21], v16 offset0:128 offset1:144
	s_waitcnt lgkmcnt(2)
	v_fma_f64 v[30:31], v[2:3], v[32:33], v[22:23]
	v_fma_f64 v[32:33], v[4:5], v[32:33], v[24:25]
	;; [unrolled: 1-line block ×4, first 2 shown]
	ds_read_b128 v[2:5], v17 offset:1056
	ds_read_b128 v[22:25], v17 offset:48
	;; [unrolled: 1-line block ×3, first 2 shown]
	s_waitcnt lgkmcnt(3)
	v_fma_f64 v[30:31], v[18:19], v[6:7], v[30:31]
	v_fma_f64 v[6:7], v[20:21], v[6:7], v[32:33]
	s_waitcnt lgkmcnt(2)
	v_fma_f64 v[32:33], v[18:19], v[2:3], v[34:35]
	v_fma_f64 v[2:3], v[20:21], v[2:3], v[36:37]
	ds_read2_b64 v[18:21], v16 offset0:160 offset1:176
	s_waitcnt lgkmcnt(0)
	v_fma_f64 v[30:31], v[18:19], v[8:9], v[30:31]
	v_fma_f64 v[6:7], v[20:21], v[8:9], v[6:7]
	;; [unrolled: 1-line block ×4, first 2 shown]
	ds_read2_b64 v[2:5], v16 offset0:192 offset1:208
	s_waitcnt lgkmcnt(0)
	v_fma_f64 v[30:31], v[2:3], v[22:23], v[30:31]
	v_fma_f64 v[6:7], v[4:5], v[22:23], v[6:7]
	;; [unrolled: 1-line block ×4, first 2 shown]
	ds_read2_b64 v[18:21], v16 offset0:224 offset1:240
	s_waitcnt lgkmcnt(0)
	s_barrier
	buffer_gl0_inv
	v_fma_f64 v[8:9], v[18:19], v[24:25], v[30:31]
	v_fma_f64 v[6:7], v[20:21], v[24:25], v[6:7]
	v_fma_f64 v[4:5], v[18:19], v[28:29], v[2:3]
	v_fma_f64 v[2:3], v[20:21], v[28:29], v[22:23]
	s_cbranch_vccnz .LBB217_2
	s_branch .LBB217_4
.LBB217_3:
	v_mov_b32_e32 v8, 0
	v_mov_b32_e32 v6, 0
	;; [unrolled: 1-line block ×8, first 2 shown]
.LBB217_4:
	v_cmp_neq_f64_e64 s10, s[36:37], 0
	v_add_co_u32 v10, s8, s8, v1
	v_add_co_ci_u32_e64 v13, null, s9, 0, s8
	v_add_co_u32 v0, s6, s6, v0
	v_add_co_ci_u32_e64 v1, null, s7, 0, s6
	v_mul_lo_u32 v11, v13, s46
	v_mul_lo_u32 v12, v10, s47
	s_lshl_b64 s[0:1], s[48:49], 3
	v_lshlrev_b64 v[0:1], 3, v[0:1]
	s_waitcnt lgkmcnt(0)
	s_add_u32 s0, s4, s0
	s_addc_u32 s1, s5, s1
	s_and_b32 vcc_lo, exec_lo, s10
	s_cbranch_vccnz .LBB217_8
; %bb.5:
	v_mad_u64_u32 v[14:15], null, v10, s46, 0
	v_mul_f64 v[16:17], s[14:15], v[8:9]
	v_mul_f64 v[18:19], s[14:15], v[6:7]
	;; [unrolled: 1-line block ×4, first 2 shown]
	s_lshl_b64 s[4:5], s[46:47], 7
	v_add3_u32 v15, v15, v12, v11
	v_lshlrev_b64 v[14:15], 3, v[14:15]
	v_add_co_u32 v14, vcc_lo, s0, v14
	v_add_co_ci_u32_e64 v15, null, s1, v15, vcc_lo
	v_add_co_u32 v24, vcc_lo, v14, s4
	v_add_co_ci_u32_e64 v25, null, s5, v15, vcc_lo
	v_add_co_u32 v14, vcc_lo, v14, v0
	v_add_co_ci_u32_e64 v15, null, v15, v1, vcc_lo
	v_add_co_u32 v24, vcc_lo, v24, v0
	v_add_co_ci_u32_e64 v25, null, v25, v1, vcc_lo
	flat_store_dwordx2 v[14:15], v[16:17]
	flat_store_dwordx2 v[14:15], v[18:19] offset:128
	flat_store_dwordx2 v[24:25], v[20:21]
	flat_store_dwordx2 v[24:25], v[22:23] offset:128
	s_cbranch_execnz .LBB217_7
.LBB217_6:
	v_mul_lo_u32 v15, v13, s40
	v_mul_lo_u32 v16, v10, s41
	v_mad_u64_u32 v[13:14], null, v10, s40, 0
	s_lshl_b64 s[4:5], s[42:43], 3
	v_mad_u64_u32 v[17:18], null, v10, s46, 0
	s_add_u32 s2, s2, s4
	s_addc_u32 s3, s3, s5
	v_add3_u32 v14, v14, v16, v15
	v_add3_u32 v18, v18, v12, v11
	v_lshlrev_b64 v[13:14], 3, v[13:14]
	v_lshlrev_b64 v[10:11], 3, v[17:18]
	v_add_co_u32 v19, vcc_lo, s2, v13
	v_add_co_ci_u32_e64 v20, null, s3, v14, vcc_lo
	v_add_co_u32 v13, vcc_lo, v19, v0
	v_add_co_ci_u32_e64 v14, null, v20, v1, vcc_lo
	v_add_co_u32 v12, vcc_lo, s0, v10
	flat_load_dwordx2 v[15:16], v[13:14]
	s_waitcnt vmcnt(0) lgkmcnt(0)
	v_mul_f64 v[15:16], s[36:37], v[15:16]
	v_fma_f64 v[8:9], s[14:15], v[8:9], v[15:16]
	v_add_co_ci_u32_e64 v15, null, s1, v11, vcc_lo
	v_add_co_u32 v10, vcc_lo, v12, v0
	s_lshl_b64 s[0:1], s[40:41], 7
	v_add_co_ci_u32_e64 v11, null, v15, v1, vcc_lo
	flat_store_dwordx2 v[10:11], v[8:9]
	flat_load_dwordx2 v[8:9], v[13:14] offset:128
	s_waitcnt vmcnt(0) lgkmcnt(0)
	v_mul_f64 v[8:9], s[36:37], v[8:9]
	v_fma_f64 v[6:7], s[14:15], v[6:7], v[8:9]
	v_add_co_u32 v8, vcc_lo, v19, s0
	v_add_co_ci_u32_e64 v9, null, s1, v20, vcc_lo
	s_lshl_b64 s[0:1], s[46:47], 7
	v_add_co_u32 v8, vcc_lo, v8, v0
	v_add_co_ci_u32_e64 v9, null, v9, v1, vcc_lo
	flat_store_dwordx2 v[10:11], v[6:7] offset:128
	flat_load_dwordx2 v[6:7], v[8:9]
	s_waitcnt vmcnt(0) lgkmcnt(0)
	v_mul_f64 v[6:7], s[36:37], v[6:7]
	v_fma_f64 v[4:5], s[14:15], v[4:5], v[6:7]
	v_add_co_u32 v6, vcc_lo, v12, s0
	v_add_co_ci_u32_e64 v7, null, s1, v15, vcc_lo
	v_add_co_u32 v0, vcc_lo, v6, v0
	v_add_co_ci_u32_e64 v1, null, v7, v1, vcc_lo
	flat_store_dwordx2 v[0:1], v[4:5]
	flat_load_dwordx2 v[4:5], v[8:9] offset:128
	s_waitcnt vmcnt(0) lgkmcnt(0)
	v_mul_f64 v[4:5], s[36:37], v[4:5]
	v_fma_f64 v[2:3], s[14:15], v[2:3], v[4:5]
	flat_store_dwordx2 v[0:1], v[2:3] offset:128
.LBB217_7:
	s_endpgm
.LBB217_8:
	s_branch .LBB217_6
	.section	.rodata,"a",@progbits
	.p2align	6, 0x0
	.amdhsa_kernel _ZN12_GLOBAL__N_127rocblas_gemm_batched_kernelIdLi16ELi16ELi32ELi32ELi8ELi32ELi8ELi8ELi32ELc84ELc84EKPKdS3_KPdEEvlllT_PT11_llS8_llS6_PT12_llPT13_lli
		.amdhsa_group_segment_fixed_size 4096
		.amdhsa_private_segment_fixed_size 0
		.amdhsa_kernarg_size 140
		.amdhsa_user_sgpr_count 6
		.amdhsa_user_sgpr_private_segment_buffer 1
		.amdhsa_user_sgpr_dispatch_ptr 0
		.amdhsa_user_sgpr_queue_ptr 0
		.amdhsa_user_sgpr_kernarg_segment_ptr 1
		.amdhsa_user_sgpr_dispatch_id 0
		.amdhsa_user_sgpr_flat_scratch_init 0
		.amdhsa_user_sgpr_private_segment_size 0
		.amdhsa_wavefront_size32 1
		.amdhsa_uses_dynamic_stack 0
		.amdhsa_system_sgpr_private_segment_wavefront_offset 0
		.amdhsa_system_sgpr_workgroup_id_x 1
		.amdhsa_system_sgpr_workgroup_id_y 1
		.amdhsa_system_sgpr_workgroup_id_z 1
		.amdhsa_system_sgpr_workgroup_info 0
		.amdhsa_system_vgpr_workitem_id 1
		.amdhsa_next_free_vgpr 38
		.amdhsa_next_free_sgpr 52
		.amdhsa_reserve_vcc 1
		.amdhsa_reserve_flat_scratch 0
		.amdhsa_float_round_mode_32 0
		.amdhsa_float_round_mode_16_64 0
		.amdhsa_float_denorm_mode_32 3
		.amdhsa_float_denorm_mode_16_64 3
		.amdhsa_dx10_clamp 1
		.amdhsa_ieee_mode 1
		.amdhsa_fp16_overflow 0
		.amdhsa_workgroup_processor_mode 1
		.amdhsa_memory_ordered 1
		.amdhsa_forward_progress 1
		.amdhsa_shared_vgpr_count 0
		.amdhsa_exception_fp_ieee_invalid_op 0
		.amdhsa_exception_fp_denorm_src 0
		.amdhsa_exception_fp_ieee_div_zero 0
		.amdhsa_exception_fp_ieee_overflow 0
		.amdhsa_exception_fp_ieee_underflow 0
		.amdhsa_exception_fp_ieee_inexact 0
		.amdhsa_exception_int_div_zero 0
	.end_amdhsa_kernel
	.section	.text._ZN12_GLOBAL__N_127rocblas_gemm_batched_kernelIdLi16ELi16ELi32ELi32ELi8ELi32ELi8ELi8ELi32ELc84ELc84EKPKdS3_KPdEEvlllT_PT11_llS8_llS6_PT12_llPT13_lli,"axG",@progbits,_ZN12_GLOBAL__N_127rocblas_gemm_batched_kernelIdLi16ELi16ELi32ELi32ELi8ELi32ELi8ELi8ELi32ELc84ELc84EKPKdS3_KPdEEvlllT_PT11_llS8_llS6_PT12_llPT13_lli,comdat
.Lfunc_end217:
	.size	_ZN12_GLOBAL__N_127rocblas_gemm_batched_kernelIdLi16ELi16ELi32ELi32ELi8ELi32ELi8ELi8ELi32ELc84ELc84EKPKdS3_KPdEEvlllT_PT11_llS8_llS6_PT12_llPT13_lli, .Lfunc_end217-_ZN12_GLOBAL__N_127rocblas_gemm_batched_kernelIdLi16ELi16ELi32ELi32ELi8ELi32ELi8ELi8ELi32ELc84ELc84EKPKdS3_KPdEEvlllT_PT11_llS8_llS6_PT12_llPT13_lli
                                        ; -- End function
	.set _ZN12_GLOBAL__N_127rocblas_gemm_batched_kernelIdLi16ELi16ELi32ELi32ELi8ELi32ELi8ELi8ELi32ELc84ELc84EKPKdS3_KPdEEvlllT_PT11_llS8_llS6_PT12_llPT13_lli.num_vgpr, 38
	.set _ZN12_GLOBAL__N_127rocblas_gemm_batched_kernelIdLi16ELi16ELi32ELi32ELi8ELi32ELi8ELi8ELi32ELc84ELc84EKPKdS3_KPdEEvlllT_PT11_llS8_llS6_PT12_llPT13_lli.num_agpr, 0
	.set _ZN12_GLOBAL__N_127rocblas_gemm_batched_kernelIdLi16ELi16ELi32ELi32ELi8ELi32ELi8ELi8ELi32ELc84ELc84EKPKdS3_KPdEEvlllT_PT11_llS8_llS6_PT12_llPT13_lli.numbered_sgpr, 52
	.set _ZN12_GLOBAL__N_127rocblas_gemm_batched_kernelIdLi16ELi16ELi32ELi32ELi8ELi32ELi8ELi8ELi32ELc84ELc84EKPKdS3_KPdEEvlllT_PT11_llS8_llS6_PT12_llPT13_lli.num_named_barrier, 0
	.set _ZN12_GLOBAL__N_127rocblas_gemm_batched_kernelIdLi16ELi16ELi32ELi32ELi8ELi32ELi8ELi8ELi32ELc84ELc84EKPKdS3_KPdEEvlllT_PT11_llS8_llS6_PT12_llPT13_lli.private_seg_size, 0
	.set _ZN12_GLOBAL__N_127rocblas_gemm_batched_kernelIdLi16ELi16ELi32ELi32ELi8ELi32ELi8ELi8ELi32ELc84ELc84EKPKdS3_KPdEEvlllT_PT11_llS8_llS6_PT12_llPT13_lli.uses_vcc, 1
	.set _ZN12_GLOBAL__N_127rocblas_gemm_batched_kernelIdLi16ELi16ELi32ELi32ELi8ELi32ELi8ELi8ELi32ELc84ELc84EKPKdS3_KPdEEvlllT_PT11_llS8_llS6_PT12_llPT13_lli.uses_flat_scratch, 0
	.set _ZN12_GLOBAL__N_127rocblas_gemm_batched_kernelIdLi16ELi16ELi32ELi32ELi8ELi32ELi8ELi8ELi32ELc84ELc84EKPKdS3_KPdEEvlllT_PT11_llS8_llS6_PT12_llPT13_lli.has_dyn_sized_stack, 0
	.set _ZN12_GLOBAL__N_127rocblas_gemm_batched_kernelIdLi16ELi16ELi32ELi32ELi8ELi32ELi8ELi8ELi32ELc84ELc84EKPKdS3_KPdEEvlllT_PT11_llS8_llS6_PT12_llPT13_lli.has_recursion, 0
	.set _ZN12_GLOBAL__N_127rocblas_gemm_batched_kernelIdLi16ELi16ELi32ELi32ELi8ELi32ELi8ELi8ELi32ELc84ELc84EKPKdS3_KPdEEvlllT_PT11_llS8_llS6_PT12_llPT13_lli.has_indirect_call, 0
	.section	.AMDGPU.csdata,"",@progbits
; Kernel info:
; codeLenInByte = 1636
; TotalNumSgprs: 54
; NumVgprs: 38
; ScratchSize: 0
; MemoryBound: 0
; FloatMode: 240
; IeeeMode: 1
; LDSByteSize: 4096 bytes/workgroup (compile time only)
; SGPRBlocks: 0
; VGPRBlocks: 4
; NumSGPRsForWavesPerEU: 54
; NumVGPRsForWavesPerEU: 38
; Occupancy: 16
; WaveLimiterHint : 1
; COMPUTE_PGM_RSRC2:SCRATCH_EN: 0
; COMPUTE_PGM_RSRC2:USER_SGPR: 6
; COMPUTE_PGM_RSRC2:TRAP_HANDLER: 0
; COMPUTE_PGM_RSRC2:TGID_X_EN: 1
; COMPUTE_PGM_RSRC2:TGID_Y_EN: 1
; COMPUTE_PGM_RSRC2:TGID_Z_EN: 1
; COMPUTE_PGM_RSRC2:TIDIG_COMP_CNT: 1
	.section	.text._ZN12_GLOBAL__N_127rocblas_gemm_batched_kernelIdLi16ELi16ELi32ELi32ELi8ELi32ELi8ELi8ELi32ELc67ELc67EKPKdS3_KPdEEvlllT_PT11_llS8_llS6_PT12_llPT13_lli,"axG",@progbits,_ZN12_GLOBAL__N_127rocblas_gemm_batched_kernelIdLi16ELi16ELi32ELi32ELi8ELi32ELi8ELi8ELi32ELc67ELc67EKPKdS3_KPdEEvlllT_PT11_llS8_llS6_PT12_llPT13_lli,comdat
	.globl	_ZN12_GLOBAL__N_127rocblas_gemm_batched_kernelIdLi16ELi16ELi32ELi32ELi8ELi32ELi8ELi8ELi32ELc67ELc67EKPKdS3_KPdEEvlllT_PT11_llS8_llS6_PT12_llPT13_lli ; -- Begin function _ZN12_GLOBAL__N_127rocblas_gemm_batched_kernelIdLi16ELi16ELi32ELi32ELi8ELi32ELi8ELi8ELi32ELc67ELc67EKPKdS3_KPdEEvlllT_PT11_llS8_llS6_PT12_llPT13_lli
	.p2align	8
	.type	_ZN12_GLOBAL__N_127rocblas_gemm_batched_kernelIdLi16ELi16ELi32ELi32ELi8ELi32ELi8ELi8ELi32ELc67ELc67EKPKdS3_KPdEEvlllT_PT11_llS8_llS6_PT12_llPT13_lli,@function
_ZN12_GLOBAL__N_127rocblas_gemm_batched_kernelIdLi16ELi16ELi32ELi32ELi8ELi32ELi8ELi8ELi32ELc67ELc67EKPKdS3_KPdEEvlllT_PT11_llS8_llS6_PT12_llPT13_lli: ; @_ZN12_GLOBAL__N_127rocblas_gemm_batched_kernelIdLi16ELi16ELi32ELi32ELi8ELi32ELi8ELi8ELi32ELc67ELc67EKPKdS3_KPdEEvlllT_PT11_llS8_llS6_PT12_llPT13_lli
; %bb.0:
	s_clause 0x2
	s_load_dwordx8 s[36:43], s[4:5], 0x50
	s_load_dwordx8 s[44:51], s[4:5], 0x70
	s_load_dwordx16 s[12:27], s[4:5], 0x10
	s_mov_b32 s9, 0
	s_mov_b32 s10, s7
	s_lshl_b64 s[0:1], s[8:9], 3
	v_mov_b32_e32 v3, 0
	s_waitcnt lgkmcnt(0)
	s_add_u32 s2, s38, s0
	s_addc_u32 s3, s39, s1
	s_add_u32 s4, s44, s0
	s_addc_u32 s5, s45, s1
	s_load_dwordx2 s[2:3], s[2:3], 0x0
	s_load_dwordx2 s[4:5], s[4:5], 0x0
	v_cmp_lt_i64_e64 s8, s[12:13], 1
	s_ashr_i32 s7, s6, 31
	s_ashr_i32 s11, s10, 31
	s_lshl_b64 s[6:7], s[6:7], 5
	s_and_b32 vcc_lo, exec_lo, s8
	s_lshl_b64 s[8:9], s[10:11], 5
	s_cbranch_vccnz .LBB218_3
; %bb.1:
	v_lshl_add_u32 v5, v1, 4, v0
	s_add_u32 s10, s16, s0
	v_and_b32_e32 v7, 7, v0
	s_addc_u32 s11, s17, s1
	s_add_u32 s0, s22, s0
	v_and_b32_e32 v8, 31, v5
	v_lshrrev_b32_e32 v2, 3, v5
	s_addc_u32 s1, s23, s1
	v_lshrrev_b32_e32 v10, 5, v5
	s_load_dwordx2 s[0:1], s[0:1], 0x0
	v_add_co_u32 v6, s16, s6, v8
	v_mad_u64_u32 v[3:4], null, s24, v7, v[2:3]
	v_add_co_ci_u32_e64 v9, null, s7, 0, s16
	v_mul_lo_u32 v12, s19, v6
	v_mad_u64_u32 v[5:6], null, s18, v6, 0
	v_lshlrev_b32_e32 v11, 3, v7
	v_mul_lo_u32 v9, s18, v9
	v_lshlrev_b32_e32 v13, 3, v8
	s_load_dwordx2 s[10:11], s[10:11], 0x0
	s_lshl_b64 s[16:17], s[26:27], 3
	v_lshl_or_b32 v2, v2, 6, v11
	v_mad_u64_u32 v[7:8], null, s25, v7, v[4:5]
	v_lshl_or_b32 v14, v10, 8, v13
	v_add3_u32 v6, v6, v9, v12
	v_add_nc_u32_e32 v15, 0x800, v2
	v_add_co_u32 v2, vcc_lo, v3, s8
	s_waitcnt lgkmcnt(0)
	s_add_u32 s16, s0, s16
	v_add_co_ci_u32_e64 v3, null, s9, v7, vcc_lo
	v_lshlrev_b64 v[4:5], 3, v[5:6]
	s_addc_u32 s17, s1, s17
	s_lshl_b64 s[0:1], s[20:21], 3
	v_lshlrev_b64 v[2:3], 3, v[2:3]
	v_lshlrev_b32_e32 v6, 3, v10
	v_mov_b32_e32 v8, 0
	v_add_co_u32 v4, vcc_lo, v4, s0
	v_add_co_ci_u32_e64 v5, null, s1, v5, vcc_lo
	v_add_co_u32 v10, vcc_lo, s16, v2
	v_add_co_ci_u32_e64 v11, null, s17, v3, vcc_lo
	v_add_co_u32 v12, vcc_lo, v4, v6
	v_add_co_ci_u32_e64 v13, null, 0, v5, vcc_lo
	v_mov_b32_e32 v2, 0
	v_add_co_u32 v12, vcc_lo, s10, v12
	v_mov_b32_e32 v4, 0
	v_mov_b32_e32 v6, 0
	v_lshlrev_b32_e32 v16, 3, v0
	v_lshl_add_u32 v17, v1, 6, 0x800
	v_mov_b32_e32 v3, 0
	v_mov_b32_e32 v5, 0
	;; [unrolled: 1-line block ×4, first 2 shown]
	v_add_co_ci_u32_e64 v13, null, s11, v13, vcc_lo
	s_lshl_b64 s[10:11], s[24:25], 6
	s_mov_b64 s[16:17], 0
.LBB218_2:                              ; =>This Inner Loop Header: Depth=1
	flat_load_dwordx2 v[18:19], v[12:13]
	s_add_u32 s16, s16, 8
	s_addc_u32 s17, s17, 0
	v_add_co_u32 v12, vcc_lo, v12, 64
	v_cmp_lt_i64_e64 s0, s[16:17], s[12:13]
	v_add_co_ci_u32_e64 v13, null, 0, v13, vcc_lo
	s_and_b32 vcc_lo, exec_lo, s0
	s_waitcnt vmcnt(0) lgkmcnt(0)
	ds_write_b64 v14, v[18:19]
	flat_load_dwordx2 v[18:19], v[10:11]
	v_add_co_u32 v10, s0, v10, s10
	v_add_co_ci_u32_e64 v11, null, s11, v11, s0
	s_waitcnt vmcnt(0) lgkmcnt(0)
	ds_write_b64 v15, v[18:19]
	s_waitcnt lgkmcnt(0)
	s_barrier
	buffer_gl0_inv
	ds_read_b128 v[18:21], v17
	ds_read2_b64 v[22:25], v16 offset1:16
	ds_read_b128 v[26:29], v17 offset:1024
	ds_read_b128 v[30:33], v17 offset:16
	;; [unrolled: 1-line block ×3, first 2 shown]
	s_waitcnt lgkmcnt(3)
	v_fma_f64 v[8:9], v[22:23], v[18:19], v[8:9]
	v_fma_f64 v[6:7], v[24:25], v[18:19], v[6:7]
	s_waitcnt lgkmcnt(2)
	v_fma_f64 v[18:19], v[22:23], v[26:27], v[4:5]
	v_fma_f64 v[22:23], v[24:25], v[26:27], v[2:3]
	ds_read2_b64 v[2:5], v16 offset0:32 offset1:48
	s_waitcnt lgkmcnt(0)
	v_fma_f64 v[8:9], v[2:3], v[20:21], v[8:9]
	v_fma_f64 v[6:7], v[4:5], v[20:21], v[6:7]
	;; [unrolled: 1-line block ×4, first 2 shown]
	ds_read2_b64 v[2:5], v16 offset0:64 offset1:80
	s_waitcnt lgkmcnt(0)
	v_fma_f64 v[22:23], v[2:3], v[30:31], v[8:9]
	v_fma_f64 v[24:25], v[4:5], v[30:31], v[6:7]
	v_fma_f64 v[26:27], v[2:3], v[34:35], v[18:19]
	v_fma_f64 v[28:29], v[4:5], v[34:35], v[20:21]
	ds_read2_b64 v[2:5], v16 offset0:96 offset1:112
	ds_read_b128 v[6:9], v17 offset:32
	ds_read2_b64 v[18:21], v16 offset0:128 offset1:144
	s_waitcnt lgkmcnt(2)
	v_fma_f64 v[30:31], v[2:3], v[32:33], v[22:23]
	v_fma_f64 v[32:33], v[4:5], v[32:33], v[24:25]
	;; [unrolled: 1-line block ×4, first 2 shown]
	ds_read_b128 v[2:5], v17 offset:1056
	ds_read_b128 v[22:25], v17 offset:48
	;; [unrolled: 1-line block ×3, first 2 shown]
	s_waitcnt lgkmcnt(3)
	v_fma_f64 v[30:31], v[18:19], v[6:7], v[30:31]
	v_fma_f64 v[6:7], v[20:21], v[6:7], v[32:33]
	s_waitcnt lgkmcnt(2)
	v_fma_f64 v[32:33], v[18:19], v[2:3], v[34:35]
	v_fma_f64 v[2:3], v[20:21], v[2:3], v[36:37]
	ds_read2_b64 v[18:21], v16 offset0:160 offset1:176
	s_waitcnt lgkmcnt(0)
	v_fma_f64 v[30:31], v[18:19], v[8:9], v[30:31]
	v_fma_f64 v[6:7], v[20:21], v[8:9], v[6:7]
	;; [unrolled: 1-line block ×4, first 2 shown]
	ds_read2_b64 v[2:5], v16 offset0:192 offset1:208
	s_waitcnt lgkmcnt(0)
	v_fma_f64 v[30:31], v[2:3], v[22:23], v[30:31]
	v_fma_f64 v[6:7], v[4:5], v[22:23], v[6:7]
	v_fma_f64 v[2:3], v[2:3], v[26:27], v[8:9]
	v_fma_f64 v[22:23], v[4:5], v[26:27], v[18:19]
	ds_read2_b64 v[18:21], v16 offset0:224 offset1:240
	s_waitcnt lgkmcnt(0)
	s_barrier
	buffer_gl0_inv
	v_fma_f64 v[8:9], v[18:19], v[24:25], v[30:31]
	v_fma_f64 v[6:7], v[20:21], v[24:25], v[6:7]
	;; [unrolled: 1-line block ×4, first 2 shown]
	s_cbranch_vccnz .LBB218_2
	s_branch .LBB218_4
.LBB218_3:
	v_mov_b32_e32 v8, 0
	v_mov_b32_e32 v6, 0
	;; [unrolled: 1-line block ×8, first 2 shown]
.LBB218_4:
	v_cmp_neq_f64_e64 s10, s[36:37], 0
	v_add_co_u32 v10, s8, s8, v1
	v_add_co_ci_u32_e64 v13, null, s9, 0, s8
	v_add_co_u32 v0, s6, s6, v0
	v_add_co_ci_u32_e64 v1, null, s7, 0, s6
	v_mul_lo_u32 v11, v13, s46
	v_mul_lo_u32 v12, v10, s47
	s_lshl_b64 s[0:1], s[48:49], 3
	v_lshlrev_b64 v[0:1], 3, v[0:1]
	s_waitcnt lgkmcnt(0)
	s_add_u32 s0, s4, s0
	s_addc_u32 s1, s5, s1
	s_and_b32 vcc_lo, exec_lo, s10
	s_cbranch_vccnz .LBB218_8
; %bb.5:
	v_mad_u64_u32 v[14:15], null, v10, s46, 0
	v_mul_f64 v[16:17], s[14:15], v[8:9]
	v_mul_f64 v[18:19], s[14:15], v[6:7]
	;; [unrolled: 1-line block ×4, first 2 shown]
	s_lshl_b64 s[4:5], s[46:47], 7
	v_add3_u32 v15, v15, v12, v11
	v_lshlrev_b64 v[14:15], 3, v[14:15]
	v_add_co_u32 v14, vcc_lo, s0, v14
	v_add_co_ci_u32_e64 v15, null, s1, v15, vcc_lo
	v_add_co_u32 v24, vcc_lo, v14, s4
	v_add_co_ci_u32_e64 v25, null, s5, v15, vcc_lo
	;; [unrolled: 2-line block ×4, first 2 shown]
	flat_store_dwordx2 v[14:15], v[16:17]
	flat_store_dwordx2 v[14:15], v[18:19] offset:128
	flat_store_dwordx2 v[24:25], v[20:21]
	flat_store_dwordx2 v[24:25], v[22:23] offset:128
	s_cbranch_execnz .LBB218_7
.LBB218_6:
	v_mul_lo_u32 v15, v13, s40
	v_mul_lo_u32 v16, v10, s41
	v_mad_u64_u32 v[13:14], null, v10, s40, 0
	s_lshl_b64 s[4:5], s[42:43], 3
	v_mad_u64_u32 v[17:18], null, v10, s46, 0
	s_add_u32 s2, s2, s4
	s_addc_u32 s3, s3, s5
	v_add3_u32 v14, v14, v16, v15
	v_add3_u32 v18, v18, v12, v11
	v_lshlrev_b64 v[13:14], 3, v[13:14]
	v_lshlrev_b64 v[10:11], 3, v[17:18]
	v_add_co_u32 v19, vcc_lo, s2, v13
	v_add_co_ci_u32_e64 v20, null, s3, v14, vcc_lo
	v_add_co_u32 v13, vcc_lo, v19, v0
	v_add_co_ci_u32_e64 v14, null, v20, v1, vcc_lo
	v_add_co_u32 v12, vcc_lo, s0, v10
	flat_load_dwordx2 v[15:16], v[13:14]
	s_waitcnt vmcnt(0) lgkmcnt(0)
	v_mul_f64 v[15:16], s[36:37], v[15:16]
	v_fma_f64 v[8:9], s[14:15], v[8:9], v[15:16]
	v_add_co_ci_u32_e64 v15, null, s1, v11, vcc_lo
	v_add_co_u32 v10, vcc_lo, v12, v0
	s_lshl_b64 s[0:1], s[40:41], 7
	v_add_co_ci_u32_e64 v11, null, v15, v1, vcc_lo
	flat_store_dwordx2 v[10:11], v[8:9]
	flat_load_dwordx2 v[8:9], v[13:14] offset:128
	s_waitcnt vmcnt(0) lgkmcnt(0)
	v_mul_f64 v[8:9], s[36:37], v[8:9]
	v_fma_f64 v[6:7], s[14:15], v[6:7], v[8:9]
	v_add_co_u32 v8, vcc_lo, v19, s0
	v_add_co_ci_u32_e64 v9, null, s1, v20, vcc_lo
	s_lshl_b64 s[0:1], s[46:47], 7
	v_add_co_u32 v8, vcc_lo, v8, v0
	v_add_co_ci_u32_e64 v9, null, v9, v1, vcc_lo
	flat_store_dwordx2 v[10:11], v[6:7] offset:128
	flat_load_dwordx2 v[6:7], v[8:9]
	s_waitcnt vmcnt(0) lgkmcnt(0)
	v_mul_f64 v[6:7], s[36:37], v[6:7]
	v_fma_f64 v[4:5], s[14:15], v[4:5], v[6:7]
	v_add_co_u32 v6, vcc_lo, v12, s0
	v_add_co_ci_u32_e64 v7, null, s1, v15, vcc_lo
	v_add_co_u32 v0, vcc_lo, v6, v0
	v_add_co_ci_u32_e64 v1, null, v7, v1, vcc_lo
	flat_store_dwordx2 v[0:1], v[4:5]
	flat_load_dwordx2 v[4:5], v[8:9] offset:128
	s_waitcnt vmcnt(0) lgkmcnt(0)
	v_mul_f64 v[4:5], s[36:37], v[4:5]
	v_fma_f64 v[2:3], s[14:15], v[2:3], v[4:5]
	flat_store_dwordx2 v[0:1], v[2:3] offset:128
.LBB218_7:
	s_endpgm
.LBB218_8:
	s_branch .LBB218_6
	.section	.rodata,"a",@progbits
	.p2align	6, 0x0
	.amdhsa_kernel _ZN12_GLOBAL__N_127rocblas_gemm_batched_kernelIdLi16ELi16ELi32ELi32ELi8ELi32ELi8ELi8ELi32ELc67ELc67EKPKdS3_KPdEEvlllT_PT11_llS8_llS6_PT12_llPT13_lli
		.amdhsa_group_segment_fixed_size 4096
		.amdhsa_private_segment_fixed_size 0
		.amdhsa_kernarg_size 140
		.amdhsa_user_sgpr_count 6
		.amdhsa_user_sgpr_private_segment_buffer 1
		.amdhsa_user_sgpr_dispatch_ptr 0
		.amdhsa_user_sgpr_queue_ptr 0
		.amdhsa_user_sgpr_kernarg_segment_ptr 1
		.amdhsa_user_sgpr_dispatch_id 0
		.amdhsa_user_sgpr_flat_scratch_init 0
		.amdhsa_user_sgpr_private_segment_size 0
		.amdhsa_wavefront_size32 1
		.amdhsa_uses_dynamic_stack 0
		.amdhsa_system_sgpr_private_segment_wavefront_offset 0
		.amdhsa_system_sgpr_workgroup_id_x 1
		.amdhsa_system_sgpr_workgroup_id_y 1
		.amdhsa_system_sgpr_workgroup_id_z 1
		.amdhsa_system_sgpr_workgroup_info 0
		.amdhsa_system_vgpr_workitem_id 1
		.amdhsa_next_free_vgpr 38
		.amdhsa_next_free_sgpr 52
		.amdhsa_reserve_vcc 1
		.amdhsa_reserve_flat_scratch 0
		.amdhsa_float_round_mode_32 0
		.amdhsa_float_round_mode_16_64 0
		.amdhsa_float_denorm_mode_32 3
		.amdhsa_float_denorm_mode_16_64 3
		.amdhsa_dx10_clamp 1
		.amdhsa_ieee_mode 1
		.amdhsa_fp16_overflow 0
		.amdhsa_workgroup_processor_mode 1
		.amdhsa_memory_ordered 1
		.amdhsa_forward_progress 1
		.amdhsa_shared_vgpr_count 0
		.amdhsa_exception_fp_ieee_invalid_op 0
		.amdhsa_exception_fp_denorm_src 0
		.amdhsa_exception_fp_ieee_div_zero 0
		.amdhsa_exception_fp_ieee_overflow 0
		.amdhsa_exception_fp_ieee_underflow 0
		.amdhsa_exception_fp_ieee_inexact 0
		.amdhsa_exception_int_div_zero 0
	.end_amdhsa_kernel
	.section	.text._ZN12_GLOBAL__N_127rocblas_gemm_batched_kernelIdLi16ELi16ELi32ELi32ELi8ELi32ELi8ELi8ELi32ELc67ELc67EKPKdS3_KPdEEvlllT_PT11_llS8_llS6_PT12_llPT13_lli,"axG",@progbits,_ZN12_GLOBAL__N_127rocblas_gemm_batched_kernelIdLi16ELi16ELi32ELi32ELi8ELi32ELi8ELi8ELi32ELc67ELc67EKPKdS3_KPdEEvlllT_PT11_llS8_llS6_PT12_llPT13_lli,comdat
.Lfunc_end218:
	.size	_ZN12_GLOBAL__N_127rocblas_gemm_batched_kernelIdLi16ELi16ELi32ELi32ELi8ELi32ELi8ELi8ELi32ELc67ELc67EKPKdS3_KPdEEvlllT_PT11_llS8_llS6_PT12_llPT13_lli, .Lfunc_end218-_ZN12_GLOBAL__N_127rocblas_gemm_batched_kernelIdLi16ELi16ELi32ELi32ELi8ELi32ELi8ELi8ELi32ELc67ELc67EKPKdS3_KPdEEvlllT_PT11_llS8_llS6_PT12_llPT13_lli
                                        ; -- End function
	.set _ZN12_GLOBAL__N_127rocblas_gemm_batched_kernelIdLi16ELi16ELi32ELi32ELi8ELi32ELi8ELi8ELi32ELc67ELc67EKPKdS3_KPdEEvlllT_PT11_llS8_llS6_PT12_llPT13_lli.num_vgpr, 38
	.set _ZN12_GLOBAL__N_127rocblas_gemm_batched_kernelIdLi16ELi16ELi32ELi32ELi8ELi32ELi8ELi8ELi32ELc67ELc67EKPKdS3_KPdEEvlllT_PT11_llS8_llS6_PT12_llPT13_lli.num_agpr, 0
	.set _ZN12_GLOBAL__N_127rocblas_gemm_batched_kernelIdLi16ELi16ELi32ELi32ELi8ELi32ELi8ELi8ELi32ELc67ELc67EKPKdS3_KPdEEvlllT_PT11_llS8_llS6_PT12_llPT13_lli.numbered_sgpr, 52
	.set _ZN12_GLOBAL__N_127rocblas_gemm_batched_kernelIdLi16ELi16ELi32ELi32ELi8ELi32ELi8ELi8ELi32ELc67ELc67EKPKdS3_KPdEEvlllT_PT11_llS8_llS6_PT12_llPT13_lli.num_named_barrier, 0
	.set _ZN12_GLOBAL__N_127rocblas_gemm_batched_kernelIdLi16ELi16ELi32ELi32ELi8ELi32ELi8ELi8ELi32ELc67ELc67EKPKdS3_KPdEEvlllT_PT11_llS8_llS6_PT12_llPT13_lli.private_seg_size, 0
	.set _ZN12_GLOBAL__N_127rocblas_gemm_batched_kernelIdLi16ELi16ELi32ELi32ELi8ELi32ELi8ELi8ELi32ELc67ELc67EKPKdS3_KPdEEvlllT_PT11_llS8_llS6_PT12_llPT13_lli.uses_vcc, 1
	.set _ZN12_GLOBAL__N_127rocblas_gemm_batched_kernelIdLi16ELi16ELi32ELi32ELi8ELi32ELi8ELi8ELi32ELc67ELc67EKPKdS3_KPdEEvlllT_PT11_llS8_llS6_PT12_llPT13_lli.uses_flat_scratch, 0
	.set _ZN12_GLOBAL__N_127rocblas_gemm_batched_kernelIdLi16ELi16ELi32ELi32ELi8ELi32ELi8ELi8ELi32ELc67ELc67EKPKdS3_KPdEEvlllT_PT11_llS8_llS6_PT12_llPT13_lli.has_dyn_sized_stack, 0
	.set _ZN12_GLOBAL__N_127rocblas_gemm_batched_kernelIdLi16ELi16ELi32ELi32ELi8ELi32ELi8ELi8ELi32ELc67ELc67EKPKdS3_KPdEEvlllT_PT11_llS8_llS6_PT12_llPT13_lli.has_recursion, 0
	.set _ZN12_GLOBAL__N_127rocblas_gemm_batched_kernelIdLi16ELi16ELi32ELi32ELi8ELi32ELi8ELi8ELi32ELc67ELc67EKPKdS3_KPdEEvlllT_PT11_llS8_llS6_PT12_llPT13_lli.has_indirect_call, 0
	.section	.AMDGPU.csdata,"",@progbits
; Kernel info:
; codeLenInByte = 1636
; TotalNumSgprs: 54
; NumVgprs: 38
; ScratchSize: 0
; MemoryBound: 0
; FloatMode: 240
; IeeeMode: 1
; LDSByteSize: 4096 bytes/workgroup (compile time only)
; SGPRBlocks: 0
; VGPRBlocks: 4
; NumSGPRsForWavesPerEU: 54
; NumVGPRsForWavesPerEU: 38
; Occupancy: 16
; WaveLimiterHint : 1
; COMPUTE_PGM_RSRC2:SCRATCH_EN: 0
; COMPUTE_PGM_RSRC2:USER_SGPR: 6
; COMPUTE_PGM_RSRC2:TRAP_HANDLER: 0
; COMPUTE_PGM_RSRC2:TGID_X_EN: 1
; COMPUTE_PGM_RSRC2:TGID_Y_EN: 1
; COMPUTE_PGM_RSRC2:TGID_Z_EN: 1
; COMPUTE_PGM_RSRC2:TIDIG_COMP_CNT: 1
	.section	.text._ZN12_GLOBAL__N_127rocblas_gemm_batched_kernelIdLi16ELi16ELi32ELi32ELi8ELi32ELi8ELi8ELi32ELc67ELc78EKPKdS3_KPdEEvlllT_PT11_llS8_llS6_PT12_llPT13_lli,"axG",@progbits,_ZN12_GLOBAL__N_127rocblas_gemm_batched_kernelIdLi16ELi16ELi32ELi32ELi8ELi32ELi8ELi8ELi32ELc67ELc78EKPKdS3_KPdEEvlllT_PT11_llS8_llS6_PT12_llPT13_lli,comdat
	.globl	_ZN12_GLOBAL__N_127rocblas_gemm_batched_kernelIdLi16ELi16ELi32ELi32ELi8ELi32ELi8ELi8ELi32ELc67ELc78EKPKdS3_KPdEEvlllT_PT11_llS8_llS6_PT12_llPT13_lli ; -- Begin function _ZN12_GLOBAL__N_127rocblas_gemm_batched_kernelIdLi16ELi16ELi32ELi32ELi8ELi32ELi8ELi8ELi32ELc67ELc78EKPKdS3_KPdEEvlllT_PT11_llS8_llS6_PT12_llPT13_lli
	.p2align	8
	.type	_ZN12_GLOBAL__N_127rocblas_gemm_batched_kernelIdLi16ELi16ELi32ELi32ELi8ELi32ELi8ELi8ELi32ELc67ELc78EKPKdS3_KPdEEvlllT_PT11_llS8_llS6_PT12_llPT13_lli,@function
_ZN12_GLOBAL__N_127rocblas_gemm_batched_kernelIdLi16ELi16ELi32ELi32ELi8ELi32ELi8ELi8ELi32ELc67ELc78EKPKdS3_KPdEEvlllT_PT11_llS8_llS6_PT12_llPT13_lli: ; @_ZN12_GLOBAL__N_127rocblas_gemm_batched_kernelIdLi16ELi16ELi32ELi32ELi8ELi32ELi8ELi8ELi32ELc67ELc78EKPKdS3_KPdEEvlllT_PT11_llS8_llS6_PT12_llPT13_lli
; %bb.0:
	s_clause 0x2
	s_load_dwordx8 s[36:43], s[4:5], 0x50
	s_load_dwordx8 s[44:51], s[4:5], 0x70
	s_load_dwordx16 s[12:27], s[4:5], 0x10
	s_mov_b32 s9, 0
	s_mov_b32 s10, s7
	s_lshl_b64 s[0:1], s[8:9], 3
	s_waitcnt lgkmcnt(0)
	s_add_u32 s2, s38, s0
	s_addc_u32 s3, s39, s1
	s_add_u32 s4, s44, s0
	s_addc_u32 s5, s45, s1
	s_load_dwordx2 s[2:3], s[2:3], 0x0
	s_load_dwordx2 s[4:5], s[4:5], 0x0
	v_cmp_lt_i64_e64 s8, s[12:13], 1
	s_ashr_i32 s7, s6, 31
	s_ashr_i32 s11, s10, 31
	s_lshl_b64 s[6:7], s[6:7], 5
	s_and_b32 vcc_lo, exec_lo, s8
	s_lshl_b64 s[8:9], s[10:11], 5
	s_cbranch_vccnz .LBB219_3
; %bb.1:
	v_lshl_add_u32 v2, v1, 4, v0
	s_add_u32 s10, s16, s0
	v_and_b32_e32 v4, 7, v0
	s_addc_u32 s11, s17, s1
	s_add_u32 s0, s22, s0
	v_lshrrev_b32_e32 v5, 3, v2
	v_and_b32_e32 v7, 31, v2
	v_lshrrev_b32_e32 v8, 5, v2
	v_lshlrev_b32_e32 v10, 3, v4
	s_addc_u32 s1, s23, s1
	v_add_co_u32 v3, s16, v5, s8
	v_add_co_ci_u32_e64 v6, null, 0, s9, s16
	v_add_co_u32 v4, s16, s6, v7
	v_mul_lo_u32 v9, s25, v3
	v_mul_lo_u32 v6, s24, v6
	v_mad_u64_u32 v[2:3], null, s24, v3, 0
	v_add_co_ci_u32_e64 v11, null, s7, 0, s16
	v_lshl_or_b32 v12, v5, 6, v10
	s_load_dwordx2 s[0:1], s[0:1], 0x0
	v_lshlrev_b32_e32 v7, 3, v7
	s_load_dwordx2 s[10:11], s[10:11], 0x0
	v_add3_u32 v3, v3, v6, v9
	v_mul_lo_u32 v6, s19, v4
	v_mul_lo_u32 v9, s18, v11
	v_mad_u64_u32 v[4:5], null, s18, v4, 0
	v_lshlrev_b64 v[2:3], 3, v[2:3]
	s_lshl_b64 s[16:17], s[26:27], 3
	v_lshl_or_b32 v14, v8, 8, v7
	v_add_nc_u32_e32 v15, 0x800, v12
	v_lshlrev_b32_e32 v16, 3, v0
	v_lshl_add_u32 v17, v1, 6, 0x800
	v_add3_u32 v5, v5, v9, v6
	v_add_co_u32 v6, vcc_lo, v2, s16
	v_add_co_ci_u32_e64 v7, null, s17, v3, vcc_lo
	v_lshlrev_b64 v[2:3], 3, v[4:5]
	v_add_co_u32 v4, vcc_lo, v6, v10
	s_lshl_b64 s[16:17], s[20:21], 3
	v_add_co_ci_u32_e64 v5, null, 0, v7, vcc_lo
	v_add_co_u32 v2, vcc_lo, v2, s16
	v_lshlrev_b32_e32 v6, 3, v8
	v_add_co_ci_u32_e64 v3, null, s17, v3, vcc_lo
	s_waitcnt lgkmcnt(0)
	v_add_co_u32 v10, vcc_lo, s0, v4
	v_add_co_ci_u32_e64 v11, null, s1, v5, vcc_lo
	v_add_co_u32 v12, vcc_lo, v2, v6
	v_add_co_ci_u32_e64 v13, null, 0, v3, vcc_lo
	v_mov_b32_e32 v2, 0
	v_add_co_u32 v12, vcc_lo, s10, v12
	v_mov_b32_e32 v4, 0
	v_mov_b32_e32 v6, 0
	;; [unrolled: 1-line block ×7, first 2 shown]
	v_add_co_ci_u32_e64 v13, null, s11, v13, vcc_lo
	s_mov_b64 s[10:11], 0
.LBB219_2:                              ; =>This Inner Loop Header: Depth=1
	flat_load_dwordx2 v[18:19], v[12:13]
	s_add_u32 s10, s10, 8
	s_addc_u32 s11, s11, 0
	v_add_co_u32 v12, vcc_lo, v12, 64
	v_cmp_lt_i64_e64 s0, s[10:11], s[12:13]
	v_add_co_ci_u32_e64 v13, null, 0, v13, vcc_lo
	s_and_b32 vcc_lo, exec_lo, s0
	s_waitcnt vmcnt(0) lgkmcnt(0)
	ds_write_b64 v14, v[18:19]
	flat_load_dwordx2 v[18:19], v[10:11]
	v_add_co_u32 v10, s0, v10, 64
	v_add_co_ci_u32_e64 v11, null, 0, v11, s0
	s_waitcnt vmcnt(0) lgkmcnt(0)
	ds_write_b64 v15, v[18:19]
	s_waitcnt lgkmcnt(0)
	s_barrier
	buffer_gl0_inv
	ds_read_b128 v[18:21], v17
	ds_read2_b64 v[22:25], v16 offset1:16
	ds_read_b128 v[26:29], v17 offset:1024
	ds_read_b128 v[30:33], v17 offset:16
	ds_read_b128 v[34:37], v17 offset:1040
	s_waitcnt lgkmcnt(3)
	v_fma_f64 v[8:9], v[22:23], v[18:19], v[8:9]
	v_fma_f64 v[6:7], v[24:25], v[18:19], v[6:7]
	s_waitcnt lgkmcnt(2)
	v_fma_f64 v[18:19], v[22:23], v[26:27], v[4:5]
	v_fma_f64 v[22:23], v[24:25], v[26:27], v[2:3]
	ds_read2_b64 v[2:5], v16 offset0:32 offset1:48
	s_waitcnt lgkmcnt(0)
	v_fma_f64 v[8:9], v[2:3], v[20:21], v[8:9]
	v_fma_f64 v[6:7], v[4:5], v[20:21], v[6:7]
	;; [unrolled: 1-line block ×4, first 2 shown]
	ds_read2_b64 v[2:5], v16 offset0:64 offset1:80
	s_waitcnt lgkmcnt(0)
	v_fma_f64 v[22:23], v[2:3], v[30:31], v[8:9]
	v_fma_f64 v[24:25], v[4:5], v[30:31], v[6:7]
	;; [unrolled: 1-line block ×4, first 2 shown]
	ds_read2_b64 v[2:5], v16 offset0:96 offset1:112
	ds_read_b128 v[6:9], v17 offset:32
	ds_read2_b64 v[18:21], v16 offset0:128 offset1:144
	s_waitcnt lgkmcnt(2)
	v_fma_f64 v[30:31], v[2:3], v[32:33], v[22:23]
	v_fma_f64 v[32:33], v[4:5], v[32:33], v[24:25]
	;; [unrolled: 1-line block ×4, first 2 shown]
	ds_read_b128 v[2:5], v17 offset:1056
	ds_read_b128 v[22:25], v17 offset:48
	ds_read_b128 v[26:29], v17 offset:1072
	s_waitcnt lgkmcnt(3)
	v_fma_f64 v[30:31], v[18:19], v[6:7], v[30:31]
	v_fma_f64 v[6:7], v[20:21], v[6:7], v[32:33]
	s_waitcnt lgkmcnt(2)
	v_fma_f64 v[32:33], v[18:19], v[2:3], v[34:35]
	v_fma_f64 v[2:3], v[20:21], v[2:3], v[36:37]
	ds_read2_b64 v[18:21], v16 offset0:160 offset1:176
	s_waitcnt lgkmcnt(0)
	v_fma_f64 v[30:31], v[18:19], v[8:9], v[30:31]
	v_fma_f64 v[6:7], v[20:21], v[8:9], v[6:7]
	;; [unrolled: 1-line block ×4, first 2 shown]
	ds_read2_b64 v[2:5], v16 offset0:192 offset1:208
	s_waitcnt lgkmcnt(0)
	v_fma_f64 v[30:31], v[2:3], v[22:23], v[30:31]
	v_fma_f64 v[6:7], v[4:5], v[22:23], v[6:7]
	;; [unrolled: 1-line block ×4, first 2 shown]
	ds_read2_b64 v[18:21], v16 offset0:224 offset1:240
	s_waitcnt lgkmcnt(0)
	s_barrier
	buffer_gl0_inv
	v_fma_f64 v[8:9], v[18:19], v[24:25], v[30:31]
	v_fma_f64 v[6:7], v[20:21], v[24:25], v[6:7]
	;; [unrolled: 1-line block ×4, first 2 shown]
	s_cbranch_vccnz .LBB219_2
	s_branch .LBB219_4
.LBB219_3:
	v_mov_b32_e32 v8, 0
	v_mov_b32_e32 v6, 0
	;; [unrolled: 1-line block ×8, first 2 shown]
.LBB219_4:
	v_cmp_neq_f64_e64 s10, s[36:37], 0
	v_add_co_u32 v10, s8, s8, v1
	v_add_co_ci_u32_e64 v13, null, s9, 0, s8
	v_add_co_u32 v0, s6, s6, v0
	v_add_co_ci_u32_e64 v1, null, s7, 0, s6
	v_mul_lo_u32 v11, v13, s46
	v_mul_lo_u32 v12, v10, s47
	s_lshl_b64 s[0:1], s[48:49], 3
	v_lshlrev_b64 v[0:1], 3, v[0:1]
	s_waitcnt lgkmcnt(0)
	s_add_u32 s0, s4, s0
	s_addc_u32 s1, s5, s1
	s_and_b32 vcc_lo, exec_lo, s10
	s_cbranch_vccnz .LBB219_8
; %bb.5:
	v_mad_u64_u32 v[14:15], null, v10, s46, 0
	v_mul_f64 v[16:17], s[14:15], v[8:9]
	v_mul_f64 v[18:19], s[14:15], v[6:7]
	;; [unrolled: 1-line block ×4, first 2 shown]
	s_lshl_b64 s[4:5], s[46:47], 7
	v_add3_u32 v15, v15, v12, v11
	v_lshlrev_b64 v[14:15], 3, v[14:15]
	v_add_co_u32 v14, vcc_lo, s0, v14
	v_add_co_ci_u32_e64 v15, null, s1, v15, vcc_lo
	v_add_co_u32 v24, vcc_lo, v14, s4
	v_add_co_ci_u32_e64 v25, null, s5, v15, vcc_lo
	;; [unrolled: 2-line block ×4, first 2 shown]
	flat_store_dwordx2 v[14:15], v[16:17]
	flat_store_dwordx2 v[14:15], v[18:19] offset:128
	flat_store_dwordx2 v[24:25], v[20:21]
	flat_store_dwordx2 v[24:25], v[22:23] offset:128
	s_cbranch_execnz .LBB219_7
.LBB219_6:
	v_mul_lo_u32 v15, v13, s40
	v_mul_lo_u32 v16, v10, s41
	v_mad_u64_u32 v[13:14], null, v10, s40, 0
	s_lshl_b64 s[4:5], s[42:43], 3
	v_mad_u64_u32 v[17:18], null, v10, s46, 0
	s_add_u32 s2, s2, s4
	s_addc_u32 s3, s3, s5
	v_add3_u32 v14, v14, v16, v15
	v_add3_u32 v18, v18, v12, v11
	v_lshlrev_b64 v[13:14], 3, v[13:14]
	v_lshlrev_b64 v[10:11], 3, v[17:18]
	v_add_co_u32 v19, vcc_lo, s2, v13
	v_add_co_ci_u32_e64 v20, null, s3, v14, vcc_lo
	v_add_co_u32 v13, vcc_lo, v19, v0
	v_add_co_ci_u32_e64 v14, null, v20, v1, vcc_lo
	v_add_co_u32 v12, vcc_lo, s0, v10
	flat_load_dwordx2 v[15:16], v[13:14]
	s_waitcnt vmcnt(0) lgkmcnt(0)
	v_mul_f64 v[15:16], s[36:37], v[15:16]
	v_fma_f64 v[8:9], s[14:15], v[8:9], v[15:16]
	v_add_co_ci_u32_e64 v15, null, s1, v11, vcc_lo
	v_add_co_u32 v10, vcc_lo, v12, v0
	s_lshl_b64 s[0:1], s[40:41], 7
	v_add_co_ci_u32_e64 v11, null, v15, v1, vcc_lo
	flat_store_dwordx2 v[10:11], v[8:9]
	flat_load_dwordx2 v[8:9], v[13:14] offset:128
	s_waitcnt vmcnt(0) lgkmcnt(0)
	v_mul_f64 v[8:9], s[36:37], v[8:9]
	v_fma_f64 v[6:7], s[14:15], v[6:7], v[8:9]
	v_add_co_u32 v8, vcc_lo, v19, s0
	v_add_co_ci_u32_e64 v9, null, s1, v20, vcc_lo
	s_lshl_b64 s[0:1], s[46:47], 7
	v_add_co_u32 v8, vcc_lo, v8, v0
	v_add_co_ci_u32_e64 v9, null, v9, v1, vcc_lo
	flat_store_dwordx2 v[10:11], v[6:7] offset:128
	flat_load_dwordx2 v[6:7], v[8:9]
	s_waitcnt vmcnt(0) lgkmcnt(0)
	v_mul_f64 v[6:7], s[36:37], v[6:7]
	v_fma_f64 v[4:5], s[14:15], v[4:5], v[6:7]
	v_add_co_u32 v6, vcc_lo, v12, s0
	v_add_co_ci_u32_e64 v7, null, s1, v15, vcc_lo
	v_add_co_u32 v0, vcc_lo, v6, v0
	v_add_co_ci_u32_e64 v1, null, v7, v1, vcc_lo
	flat_store_dwordx2 v[0:1], v[4:5]
	flat_load_dwordx2 v[4:5], v[8:9] offset:128
	s_waitcnt vmcnt(0) lgkmcnt(0)
	v_mul_f64 v[4:5], s[36:37], v[4:5]
	v_fma_f64 v[2:3], s[14:15], v[2:3], v[4:5]
	flat_store_dwordx2 v[0:1], v[2:3] offset:128
.LBB219_7:
	s_endpgm
.LBB219_8:
	s_branch .LBB219_6
	.section	.rodata,"a",@progbits
	.p2align	6, 0x0
	.amdhsa_kernel _ZN12_GLOBAL__N_127rocblas_gemm_batched_kernelIdLi16ELi16ELi32ELi32ELi8ELi32ELi8ELi8ELi32ELc67ELc78EKPKdS3_KPdEEvlllT_PT11_llS8_llS6_PT12_llPT13_lli
		.amdhsa_group_segment_fixed_size 4096
		.amdhsa_private_segment_fixed_size 0
		.amdhsa_kernarg_size 140
		.amdhsa_user_sgpr_count 6
		.amdhsa_user_sgpr_private_segment_buffer 1
		.amdhsa_user_sgpr_dispatch_ptr 0
		.amdhsa_user_sgpr_queue_ptr 0
		.amdhsa_user_sgpr_kernarg_segment_ptr 1
		.amdhsa_user_sgpr_dispatch_id 0
		.amdhsa_user_sgpr_flat_scratch_init 0
		.amdhsa_user_sgpr_private_segment_size 0
		.amdhsa_wavefront_size32 1
		.amdhsa_uses_dynamic_stack 0
		.amdhsa_system_sgpr_private_segment_wavefront_offset 0
		.amdhsa_system_sgpr_workgroup_id_x 1
		.amdhsa_system_sgpr_workgroup_id_y 1
		.amdhsa_system_sgpr_workgroup_id_z 1
		.amdhsa_system_sgpr_workgroup_info 0
		.amdhsa_system_vgpr_workitem_id 1
		.amdhsa_next_free_vgpr 38
		.amdhsa_next_free_sgpr 52
		.amdhsa_reserve_vcc 1
		.amdhsa_reserve_flat_scratch 0
		.amdhsa_float_round_mode_32 0
		.amdhsa_float_round_mode_16_64 0
		.amdhsa_float_denorm_mode_32 3
		.amdhsa_float_denorm_mode_16_64 3
		.amdhsa_dx10_clamp 1
		.amdhsa_ieee_mode 1
		.amdhsa_fp16_overflow 0
		.amdhsa_workgroup_processor_mode 1
		.amdhsa_memory_ordered 1
		.amdhsa_forward_progress 1
		.amdhsa_shared_vgpr_count 0
		.amdhsa_exception_fp_ieee_invalid_op 0
		.amdhsa_exception_fp_denorm_src 0
		.amdhsa_exception_fp_ieee_div_zero 0
		.amdhsa_exception_fp_ieee_overflow 0
		.amdhsa_exception_fp_ieee_underflow 0
		.amdhsa_exception_fp_ieee_inexact 0
		.amdhsa_exception_int_div_zero 0
	.end_amdhsa_kernel
	.section	.text._ZN12_GLOBAL__N_127rocblas_gemm_batched_kernelIdLi16ELi16ELi32ELi32ELi8ELi32ELi8ELi8ELi32ELc67ELc78EKPKdS3_KPdEEvlllT_PT11_llS8_llS6_PT12_llPT13_lli,"axG",@progbits,_ZN12_GLOBAL__N_127rocblas_gemm_batched_kernelIdLi16ELi16ELi32ELi32ELi8ELi32ELi8ELi8ELi32ELc67ELc78EKPKdS3_KPdEEvlllT_PT11_llS8_llS6_PT12_llPT13_lli,comdat
.Lfunc_end219:
	.size	_ZN12_GLOBAL__N_127rocblas_gemm_batched_kernelIdLi16ELi16ELi32ELi32ELi8ELi32ELi8ELi8ELi32ELc67ELc78EKPKdS3_KPdEEvlllT_PT11_llS8_llS6_PT12_llPT13_lli, .Lfunc_end219-_ZN12_GLOBAL__N_127rocblas_gemm_batched_kernelIdLi16ELi16ELi32ELi32ELi8ELi32ELi8ELi8ELi32ELc67ELc78EKPKdS3_KPdEEvlllT_PT11_llS8_llS6_PT12_llPT13_lli
                                        ; -- End function
	.set _ZN12_GLOBAL__N_127rocblas_gemm_batched_kernelIdLi16ELi16ELi32ELi32ELi8ELi32ELi8ELi8ELi32ELc67ELc78EKPKdS3_KPdEEvlllT_PT11_llS8_llS6_PT12_llPT13_lli.num_vgpr, 38
	.set _ZN12_GLOBAL__N_127rocblas_gemm_batched_kernelIdLi16ELi16ELi32ELi32ELi8ELi32ELi8ELi8ELi32ELc67ELc78EKPKdS3_KPdEEvlllT_PT11_llS8_llS6_PT12_llPT13_lli.num_agpr, 0
	.set _ZN12_GLOBAL__N_127rocblas_gemm_batched_kernelIdLi16ELi16ELi32ELi32ELi8ELi32ELi8ELi8ELi32ELc67ELc78EKPKdS3_KPdEEvlllT_PT11_llS8_llS6_PT12_llPT13_lli.numbered_sgpr, 52
	.set _ZN12_GLOBAL__N_127rocblas_gemm_batched_kernelIdLi16ELi16ELi32ELi32ELi8ELi32ELi8ELi8ELi32ELc67ELc78EKPKdS3_KPdEEvlllT_PT11_llS8_llS6_PT12_llPT13_lli.num_named_barrier, 0
	.set _ZN12_GLOBAL__N_127rocblas_gemm_batched_kernelIdLi16ELi16ELi32ELi32ELi8ELi32ELi8ELi8ELi32ELc67ELc78EKPKdS3_KPdEEvlllT_PT11_llS8_llS6_PT12_llPT13_lli.private_seg_size, 0
	.set _ZN12_GLOBAL__N_127rocblas_gemm_batched_kernelIdLi16ELi16ELi32ELi32ELi8ELi32ELi8ELi8ELi32ELc67ELc78EKPKdS3_KPdEEvlllT_PT11_llS8_llS6_PT12_llPT13_lli.uses_vcc, 1
	.set _ZN12_GLOBAL__N_127rocblas_gemm_batched_kernelIdLi16ELi16ELi32ELi32ELi8ELi32ELi8ELi8ELi32ELc67ELc78EKPKdS3_KPdEEvlllT_PT11_llS8_llS6_PT12_llPT13_lli.uses_flat_scratch, 0
	.set _ZN12_GLOBAL__N_127rocblas_gemm_batched_kernelIdLi16ELi16ELi32ELi32ELi8ELi32ELi8ELi8ELi32ELc67ELc78EKPKdS3_KPdEEvlllT_PT11_llS8_llS6_PT12_llPT13_lli.has_dyn_sized_stack, 0
	.set _ZN12_GLOBAL__N_127rocblas_gemm_batched_kernelIdLi16ELi16ELi32ELi32ELi8ELi32ELi8ELi8ELi32ELc67ELc78EKPKdS3_KPdEEvlllT_PT11_llS8_llS6_PT12_llPT13_lli.has_recursion, 0
	.set _ZN12_GLOBAL__N_127rocblas_gemm_batched_kernelIdLi16ELi16ELi32ELi32ELi8ELi32ELi8ELi8ELi32ELc67ELc78EKPKdS3_KPdEEvlllT_PT11_llS8_llS6_PT12_llPT13_lli.has_indirect_call, 0
	.section	.AMDGPU.csdata,"",@progbits
; Kernel info:
; codeLenInByte = 1668
; TotalNumSgprs: 54
; NumVgprs: 38
; ScratchSize: 0
; MemoryBound: 0
; FloatMode: 240
; IeeeMode: 1
; LDSByteSize: 4096 bytes/workgroup (compile time only)
; SGPRBlocks: 0
; VGPRBlocks: 4
; NumSGPRsForWavesPerEU: 54
; NumVGPRsForWavesPerEU: 38
; Occupancy: 16
; WaveLimiterHint : 1
; COMPUTE_PGM_RSRC2:SCRATCH_EN: 0
; COMPUTE_PGM_RSRC2:USER_SGPR: 6
; COMPUTE_PGM_RSRC2:TRAP_HANDLER: 0
; COMPUTE_PGM_RSRC2:TGID_X_EN: 1
; COMPUTE_PGM_RSRC2:TGID_Y_EN: 1
; COMPUTE_PGM_RSRC2:TGID_Z_EN: 1
; COMPUTE_PGM_RSRC2:TIDIG_COMP_CNT: 1
	.section	.text._ZN12_GLOBAL__N_127rocblas_gemm_batched_kernelIdLi16ELi16ELi32ELi32ELi8ELi32ELi8ELi8ELi32ELc67ELc84EKPKdS3_KPdEEvlllT_PT11_llS8_llS6_PT12_llPT13_lli,"axG",@progbits,_ZN12_GLOBAL__N_127rocblas_gemm_batched_kernelIdLi16ELi16ELi32ELi32ELi8ELi32ELi8ELi8ELi32ELc67ELc84EKPKdS3_KPdEEvlllT_PT11_llS8_llS6_PT12_llPT13_lli,comdat
	.globl	_ZN12_GLOBAL__N_127rocblas_gemm_batched_kernelIdLi16ELi16ELi32ELi32ELi8ELi32ELi8ELi8ELi32ELc67ELc84EKPKdS3_KPdEEvlllT_PT11_llS8_llS6_PT12_llPT13_lli ; -- Begin function _ZN12_GLOBAL__N_127rocblas_gemm_batched_kernelIdLi16ELi16ELi32ELi32ELi8ELi32ELi8ELi8ELi32ELc67ELc84EKPKdS3_KPdEEvlllT_PT11_llS8_llS6_PT12_llPT13_lli
	.p2align	8
	.type	_ZN12_GLOBAL__N_127rocblas_gemm_batched_kernelIdLi16ELi16ELi32ELi32ELi8ELi32ELi8ELi8ELi32ELc67ELc84EKPKdS3_KPdEEvlllT_PT11_llS8_llS6_PT12_llPT13_lli,@function
_ZN12_GLOBAL__N_127rocblas_gemm_batched_kernelIdLi16ELi16ELi32ELi32ELi8ELi32ELi8ELi8ELi32ELc67ELc84EKPKdS3_KPdEEvlllT_PT11_llS8_llS6_PT12_llPT13_lli: ; @_ZN12_GLOBAL__N_127rocblas_gemm_batched_kernelIdLi16ELi16ELi32ELi32ELi8ELi32ELi8ELi8ELi32ELc67ELc84EKPKdS3_KPdEEvlllT_PT11_llS8_llS6_PT12_llPT13_lli
; %bb.0:
	s_clause 0x2
	s_load_dwordx8 s[36:43], s[4:5], 0x50
	s_load_dwordx8 s[44:51], s[4:5], 0x70
	s_load_dwordx16 s[12:27], s[4:5], 0x10
	s_mov_b32 s9, 0
	s_mov_b32 s10, s7
	s_lshl_b64 s[0:1], s[8:9], 3
	v_mov_b32_e32 v3, 0
	s_waitcnt lgkmcnt(0)
	s_add_u32 s2, s38, s0
	s_addc_u32 s3, s39, s1
	s_add_u32 s4, s44, s0
	s_addc_u32 s5, s45, s1
	s_load_dwordx2 s[2:3], s[2:3], 0x0
	s_load_dwordx2 s[4:5], s[4:5], 0x0
	v_cmp_lt_i64_e64 s8, s[12:13], 1
	s_ashr_i32 s7, s6, 31
	s_ashr_i32 s11, s10, 31
	s_lshl_b64 s[6:7], s[6:7], 5
	s_and_b32 vcc_lo, exec_lo, s8
	s_lshl_b64 s[8:9], s[10:11], 5
	s_cbranch_vccnz .LBB220_3
; %bb.1:
	v_lshl_add_u32 v5, v1, 4, v0
	s_add_u32 s10, s16, s0
	v_and_b32_e32 v7, 7, v0
	s_addc_u32 s11, s17, s1
	s_add_u32 s0, s22, s0
	v_and_b32_e32 v8, 31, v5
	v_lshrrev_b32_e32 v2, 3, v5
	s_addc_u32 s1, s23, s1
	v_lshrrev_b32_e32 v10, 5, v5
	s_load_dwordx2 s[0:1], s[0:1], 0x0
	v_add_co_u32 v6, s16, s6, v8
	v_mad_u64_u32 v[3:4], null, s24, v7, v[2:3]
	v_add_co_ci_u32_e64 v9, null, s7, 0, s16
	v_mul_lo_u32 v12, s19, v6
	v_mad_u64_u32 v[5:6], null, s18, v6, 0
	v_lshlrev_b32_e32 v11, 3, v7
	v_mul_lo_u32 v9, s18, v9
	v_lshlrev_b32_e32 v13, 3, v8
	s_load_dwordx2 s[10:11], s[10:11], 0x0
	s_lshl_b64 s[16:17], s[26:27], 3
	v_lshl_or_b32 v2, v2, 6, v11
	v_mad_u64_u32 v[7:8], null, s25, v7, v[4:5]
	v_lshl_or_b32 v14, v10, 8, v13
	v_add3_u32 v6, v6, v9, v12
	v_add_nc_u32_e32 v15, 0x800, v2
	v_add_co_u32 v2, vcc_lo, v3, s8
	s_waitcnt lgkmcnt(0)
	s_add_u32 s16, s0, s16
	v_add_co_ci_u32_e64 v3, null, s9, v7, vcc_lo
	v_lshlrev_b64 v[4:5], 3, v[5:6]
	s_addc_u32 s17, s1, s17
	s_lshl_b64 s[0:1], s[20:21], 3
	v_lshlrev_b64 v[2:3], 3, v[2:3]
	v_lshlrev_b32_e32 v6, 3, v10
	v_mov_b32_e32 v8, 0
	v_add_co_u32 v4, vcc_lo, v4, s0
	v_add_co_ci_u32_e64 v5, null, s1, v5, vcc_lo
	v_add_co_u32 v10, vcc_lo, s16, v2
	v_add_co_ci_u32_e64 v11, null, s17, v3, vcc_lo
	;; [unrolled: 2-line block ×3, first 2 shown]
	v_mov_b32_e32 v2, 0
	v_add_co_u32 v12, vcc_lo, s10, v12
	v_mov_b32_e32 v4, 0
	v_mov_b32_e32 v6, 0
	v_lshlrev_b32_e32 v16, 3, v0
	v_lshl_add_u32 v17, v1, 6, 0x800
	v_mov_b32_e32 v3, 0
	v_mov_b32_e32 v5, 0
	;; [unrolled: 1-line block ×4, first 2 shown]
	v_add_co_ci_u32_e64 v13, null, s11, v13, vcc_lo
	s_lshl_b64 s[10:11], s[24:25], 6
	s_mov_b64 s[16:17], 0
.LBB220_2:                              ; =>This Inner Loop Header: Depth=1
	flat_load_dwordx2 v[18:19], v[12:13]
	s_add_u32 s16, s16, 8
	s_addc_u32 s17, s17, 0
	v_add_co_u32 v12, vcc_lo, v12, 64
	v_cmp_lt_i64_e64 s0, s[16:17], s[12:13]
	v_add_co_ci_u32_e64 v13, null, 0, v13, vcc_lo
	s_and_b32 vcc_lo, exec_lo, s0
	s_waitcnt vmcnt(0) lgkmcnt(0)
	ds_write_b64 v14, v[18:19]
	flat_load_dwordx2 v[18:19], v[10:11]
	v_add_co_u32 v10, s0, v10, s10
	v_add_co_ci_u32_e64 v11, null, s11, v11, s0
	s_waitcnt vmcnt(0) lgkmcnt(0)
	ds_write_b64 v15, v[18:19]
	s_waitcnt lgkmcnt(0)
	s_barrier
	buffer_gl0_inv
	ds_read_b128 v[18:21], v17
	ds_read2_b64 v[22:25], v16 offset1:16
	ds_read_b128 v[26:29], v17 offset:1024
	ds_read_b128 v[30:33], v17 offset:16
	;; [unrolled: 1-line block ×3, first 2 shown]
	s_waitcnt lgkmcnt(3)
	v_fma_f64 v[8:9], v[22:23], v[18:19], v[8:9]
	v_fma_f64 v[6:7], v[24:25], v[18:19], v[6:7]
	s_waitcnt lgkmcnt(2)
	v_fma_f64 v[18:19], v[22:23], v[26:27], v[4:5]
	v_fma_f64 v[22:23], v[24:25], v[26:27], v[2:3]
	ds_read2_b64 v[2:5], v16 offset0:32 offset1:48
	s_waitcnt lgkmcnt(0)
	v_fma_f64 v[8:9], v[2:3], v[20:21], v[8:9]
	v_fma_f64 v[6:7], v[4:5], v[20:21], v[6:7]
	;; [unrolled: 1-line block ×4, first 2 shown]
	ds_read2_b64 v[2:5], v16 offset0:64 offset1:80
	s_waitcnt lgkmcnt(0)
	v_fma_f64 v[22:23], v[2:3], v[30:31], v[8:9]
	v_fma_f64 v[24:25], v[4:5], v[30:31], v[6:7]
	v_fma_f64 v[26:27], v[2:3], v[34:35], v[18:19]
	v_fma_f64 v[28:29], v[4:5], v[34:35], v[20:21]
	ds_read2_b64 v[2:5], v16 offset0:96 offset1:112
	ds_read_b128 v[6:9], v17 offset:32
	ds_read2_b64 v[18:21], v16 offset0:128 offset1:144
	s_waitcnt lgkmcnt(2)
	v_fma_f64 v[30:31], v[2:3], v[32:33], v[22:23]
	v_fma_f64 v[32:33], v[4:5], v[32:33], v[24:25]
	;; [unrolled: 1-line block ×4, first 2 shown]
	ds_read_b128 v[2:5], v17 offset:1056
	ds_read_b128 v[22:25], v17 offset:48
	;; [unrolled: 1-line block ×3, first 2 shown]
	s_waitcnt lgkmcnt(3)
	v_fma_f64 v[30:31], v[18:19], v[6:7], v[30:31]
	v_fma_f64 v[6:7], v[20:21], v[6:7], v[32:33]
	s_waitcnt lgkmcnt(2)
	v_fma_f64 v[32:33], v[18:19], v[2:3], v[34:35]
	v_fma_f64 v[2:3], v[20:21], v[2:3], v[36:37]
	ds_read2_b64 v[18:21], v16 offset0:160 offset1:176
	s_waitcnt lgkmcnt(0)
	v_fma_f64 v[30:31], v[18:19], v[8:9], v[30:31]
	v_fma_f64 v[6:7], v[20:21], v[8:9], v[6:7]
	;; [unrolled: 1-line block ×4, first 2 shown]
	ds_read2_b64 v[2:5], v16 offset0:192 offset1:208
	s_waitcnt lgkmcnt(0)
	v_fma_f64 v[30:31], v[2:3], v[22:23], v[30:31]
	v_fma_f64 v[6:7], v[4:5], v[22:23], v[6:7]
	;; [unrolled: 1-line block ×4, first 2 shown]
	ds_read2_b64 v[18:21], v16 offset0:224 offset1:240
	s_waitcnt lgkmcnt(0)
	s_barrier
	buffer_gl0_inv
	v_fma_f64 v[8:9], v[18:19], v[24:25], v[30:31]
	v_fma_f64 v[6:7], v[20:21], v[24:25], v[6:7]
	;; [unrolled: 1-line block ×4, first 2 shown]
	s_cbranch_vccnz .LBB220_2
	s_branch .LBB220_4
.LBB220_3:
	v_mov_b32_e32 v8, 0
	v_mov_b32_e32 v6, 0
	v_mov_b32_e32 v4, 0
	v_mov_b32_e32 v2, 0
	v_mov_b32_e32 v9, 0
	v_mov_b32_e32 v7, 0
	v_mov_b32_e32 v5, 0
	v_mov_b32_e32 v3, 0
.LBB220_4:
	v_cmp_neq_f64_e64 s10, s[36:37], 0
	v_add_co_u32 v10, s8, s8, v1
	v_add_co_ci_u32_e64 v13, null, s9, 0, s8
	v_add_co_u32 v0, s6, s6, v0
	v_add_co_ci_u32_e64 v1, null, s7, 0, s6
	v_mul_lo_u32 v11, v13, s46
	v_mul_lo_u32 v12, v10, s47
	s_lshl_b64 s[0:1], s[48:49], 3
	v_lshlrev_b64 v[0:1], 3, v[0:1]
	s_waitcnt lgkmcnt(0)
	s_add_u32 s0, s4, s0
	s_addc_u32 s1, s5, s1
	s_and_b32 vcc_lo, exec_lo, s10
	s_cbranch_vccnz .LBB220_8
; %bb.5:
	v_mad_u64_u32 v[14:15], null, v10, s46, 0
	v_mul_f64 v[16:17], s[14:15], v[8:9]
	v_mul_f64 v[18:19], s[14:15], v[6:7]
	;; [unrolled: 1-line block ×4, first 2 shown]
	s_lshl_b64 s[4:5], s[46:47], 7
	v_add3_u32 v15, v15, v12, v11
	v_lshlrev_b64 v[14:15], 3, v[14:15]
	v_add_co_u32 v14, vcc_lo, s0, v14
	v_add_co_ci_u32_e64 v15, null, s1, v15, vcc_lo
	v_add_co_u32 v24, vcc_lo, v14, s4
	v_add_co_ci_u32_e64 v25, null, s5, v15, vcc_lo
	v_add_co_u32 v14, vcc_lo, v14, v0
	v_add_co_ci_u32_e64 v15, null, v15, v1, vcc_lo
	v_add_co_u32 v24, vcc_lo, v24, v0
	v_add_co_ci_u32_e64 v25, null, v25, v1, vcc_lo
	flat_store_dwordx2 v[14:15], v[16:17]
	flat_store_dwordx2 v[14:15], v[18:19] offset:128
	flat_store_dwordx2 v[24:25], v[20:21]
	flat_store_dwordx2 v[24:25], v[22:23] offset:128
	s_cbranch_execnz .LBB220_7
.LBB220_6:
	v_mul_lo_u32 v15, v13, s40
	v_mul_lo_u32 v16, v10, s41
	v_mad_u64_u32 v[13:14], null, v10, s40, 0
	s_lshl_b64 s[4:5], s[42:43], 3
	v_mad_u64_u32 v[17:18], null, v10, s46, 0
	s_add_u32 s2, s2, s4
	s_addc_u32 s3, s3, s5
	v_add3_u32 v14, v14, v16, v15
	v_add3_u32 v18, v18, v12, v11
	v_lshlrev_b64 v[13:14], 3, v[13:14]
	v_lshlrev_b64 v[10:11], 3, v[17:18]
	v_add_co_u32 v19, vcc_lo, s2, v13
	v_add_co_ci_u32_e64 v20, null, s3, v14, vcc_lo
	v_add_co_u32 v13, vcc_lo, v19, v0
	v_add_co_ci_u32_e64 v14, null, v20, v1, vcc_lo
	v_add_co_u32 v12, vcc_lo, s0, v10
	flat_load_dwordx2 v[15:16], v[13:14]
	s_waitcnt vmcnt(0) lgkmcnt(0)
	v_mul_f64 v[15:16], s[36:37], v[15:16]
	v_fma_f64 v[8:9], s[14:15], v[8:9], v[15:16]
	v_add_co_ci_u32_e64 v15, null, s1, v11, vcc_lo
	v_add_co_u32 v10, vcc_lo, v12, v0
	s_lshl_b64 s[0:1], s[40:41], 7
	v_add_co_ci_u32_e64 v11, null, v15, v1, vcc_lo
	flat_store_dwordx2 v[10:11], v[8:9]
	flat_load_dwordx2 v[8:9], v[13:14] offset:128
	s_waitcnt vmcnt(0) lgkmcnt(0)
	v_mul_f64 v[8:9], s[36:37], v[8:9]
	v_fma_f64 v[6:7], s[14:15], v[6:7], v[8:9]
	v_add_co_u32 v8, vcc_lo, v19, s0
	v_add_co_ci_u32_e64 v9, null, s1, v20, vcc_lo
	s_lshl_b64 s[0:1], s[46:47], 7
	v_add_co_u32 v8, vcc_lo, v8, v0
	v_add_co_ci_u32_e64 v9, null, v9, v1, vcc_lo
	flat_store_dwordx2 v[10:11], v[6:7] offset:128
	flat_load_dwordx2 v[6:7], v[8:9]
	s_waitcnt vmcnt(0) lgkmcnt(0)
	v_mul_f64 v[6:7], s[36:37], v[6:7]
	v_fma_f64 v[4:5], s[14:15], v[4:5], v[6:7]
	v_add_co_u32 v6, vcc_lo, v12, s0
	v_add_co_ci_u32_e64 v7, null, s1, v15, vcc_lo
	v_add_co_u32 v0, vcc_lo, v6, v0
	v_add_co_ci_u32_e64 v1, null, v7, v1, vcc_lo
	flat_store_dwordx2 v[0:1], v[4:5]
	flat_load_dwordx2 v[4:5], v[8:9] offset:128
	s_waitcnt vmcnt(0) lgkmcnt(0)
	v_mul_f64 v[4:5], s[36:37], v[4:5]
	v_fma_f64 v[2:3], s[14:15], v[2:3], v[4:5]
	flat_store_dwordx2 v[0:1], v[2:3] offset:128
.LBB220_7:
	s_endpgm
.LBB220_8:
	s_branch .LBB220_6
	.section	.rodata,"a",@progbits
	.p2align	6, 0x0
	.amdhsa_kernel _ZN12_GLOBAL__N_127rocblas_gemm_batched_kernelIdLi16ELi16ELi32ELi32ELi8ELi32ELi8ELi8ELi32ELc67ELc84EKPKdS3_KPdEEvlllT_PT11_llS8_llS6_PT12_llPT13_lli
		.amdhsa_group_segment_fixed_size 4096
		.amdhsa_private_segment_fixed_size 0
		.amdhsa_kernarg_size 140
		.amdhsa_user_sgpr_count 6
		.amdhsa_user_sgpr_private_segment_buffer 1
		.amdhsa_user_sgpr_dispatch_ptr 0
		.amdhsa_user_sgpr_queue_ptr 0
		.amdhsa_user_sgpr_kernarg_segment_ptr 1
		.amdhsa_user_sgpr_dispatch_id 0
		.amdhsa_user_sgpr_flat_scratch_init 0
		.amdhsa_user_sgpr_private_segment_size 0
		.amdhsa_wavefront_size32 1
		.amdhsa_uses_dynamic_stack 0
		.amdhsa_system_sgpr_private_segment_wavefront_offset 0
		.amdhsa_system_sgpr_workgroup_id_x 1
		.amdhsa_system_sgpr_workgroup_id_y 1
		.amdhsa_system_sgpr_workgroup_id_z 1
		.amdhsa_system_sgpr_workgroup_info 0
		.amdhsa_system_vgpr_workitem_id 1
		.amdhsa_next_free_vgpr 38
		.amdhsa_next_free_sgpr 52
		.amdhsa_reserve_vcc 1
		.amdhsa_reserve_flat_scratch 0
		.amdhsa_float_round_mode_32 0
		.amdhsa_float_round_mode_16_64 0
		.amdhsa_float_denorm_mode_32 3
		.amdhsa_float_denorm_mode_16_64 3
		.amdhsa_dx10_clamp 1
		.amdhsa_ieee_mode 1
		.amdhsa_fp16_overflow 0
		.amdhsa_workgroup_processor_mode 1
		.amdhsa_memory_ordered 1
		.amdhsa_forward_progress 1
		.amdhsa_shared_vgpr_count 0
		.amdhsa_exception_fp_ieee_invalid_op 0
		.amdhsa_exception_fp_denorm_src 0
		.amdhsa_exception_fp_ieee_div_zero 0
		.amdhsa_exception_fp_ieee_overflow 0
		.amdhsa_exception_fp_ieee_underflow 0
		.amdhsa_exception_fp_ieee_inexact 0
		.amdhsa_exception_int_div_zero 0
	.end_amdhsa_kernel
	.section	.text._ZN12_GLOBAL__N_127rocblas_gemm_batched_kernelIdLi16ELi16ELi32ELi32ELi8ELi32ELi8ELi8ELi32ELc67ELc84EKPKdS3_KPdEEvlllT_PT11_llS8_llS6_PT12_llPT13_lli,"axG",@progbits,_ZN12_GLOBAL__N_127rocblas_gemm_batched_kernelIdLi16ELi16ELi32ELi32ELi8ELi32ELi8ELi8ELi32ELc67ELc84EKPKdS3_KPdEEvlllT_PT11_llS8_llS6_PT12_llPT13_lli,comdat
.Lfunc_end220:
	.size	_ZN12_GLOBAL__N_127rocblas_gemm_batched_kernelIdLi16ELi16ELi32ELi32ELi8ELi32ELi8ELi8ELi32ELc67ELc84EKPKdS3_KPdEEvlllT_PT11_llS8_llS6_PT12_llPT13_lli, .Lfunc_end220-_ZN12_GLOBAL__N_127rocblas_gemm_batched_kernelIdLi16ELi16ELi32ELi32ELi8ELi32ELi8ELi8ELi32ELc67ELc84EKPKdS3_KPdEEvlllT_PT11_llS8_llS6_PT12_llPT13_lli
                                        ; -- End function
	.set _ZN12_GLOBAL__N_127rocblas_gemm_batched_kernelIdLi16ELi16ELi32ELi32ELi8ELi32ELi8ELi8ELi32ELc67ELc84EKPKdS3_KPdEEvlllT_PT11_llS8_llS6_PT12_llPT13_lli.num_vgpr, 38
	.set _ZN12_GLOBAL__N_127rocblas_gemm_batched_kernelIdLi16ELi16ELi32ELi32ELi8ELi32ELi8ELi8ELi32ELc67ELc84EKPKdS3_KPdEEvlllT_PT11_llS8_llS6_PT12_llPT13_lli.num_agpr, 0
	.set _ZN12_GLOBAL__N_127rocblas_gemm_batched_kernelIdLi16ELi16ELi32ELi32ELi8ELi32ELi8ELi8ELi32ELc67ELc84EKPKdS3_KPdEEvlllT_PT11_llS8_llS6_PT12_llPT13_lli.numbered_sgpr, 52
	.set _ZN12_GLOBAL__N_127rocblas_gemm_batched_kernelIdLi16ELi16ELi32ELi32ELi8ELi32ELi8ELi8ELi32ELc67ELc84EKPKdS3_KPdEEvlllT_PT11_llS8_llS6_PT12_llPT13_lli.num_named_barrier, 0
	.set _ZN12_GLOBAL__N_127rocblas_gemm_batched_kernelIdLi16ELi16ELi32ELi32ELi8ELi32ELi8ELi8ELi32ELc67ELc84EKPKdS3_KPdEEvlllT_PT11_llS8_llS6_PT12_llPT13_lli.private_seg_size, 0
	.set _ZN12_GLOBAL__N_127rocblas_gemm_batched_kernelIdLi16ELi16ELi32ELi32ELi8ELi32ELi8ELi8ELi32ELc67ELc84EKPKdS3_KPdEEvlllT_PT11_llS8_llS6_PT12_llPT13_lli.uses_vcc, 1
	.set _ZN12_GLOBAL__N_127rocblas_gemm_batched_kernelIdLi16ELi16ELi32ELi32ELi8ELi32ELi8ELi8ELi32ELc67ELc84EKPKdS3_KPdEEvlllT_PT11_llS8_llS6_PT12_llPT13_lli.uses_flat_scratch, 0
	.set _ZN12_GLOBAL__N_127rocblas_gemm_batched_kernelIdLi16ELi16ELi32ELi32ELi8ELi32ELi8ELi8ELi32ELc67ELc84EKPKdS3_KPdEEvlllT_PT11_llS8_llS6_PT12_llPT13_lli.has_dyn_sized_stack, 0
	.set _ZN12_GLOBAL__N_127rocblas_gemm_batched_kernelIdLi16ELi16ELi32ELi32ELi8ELi32ELi8ELi8ELi32ELc67ELc84EKPKdS3_KPdEEvlllT_PT11_llS8_llS6_PT12_llPT13_lli.has_recursion, 0
	.set _ZN12_GLOBAL__N_127rocblas_gemm_batched_kernelIdLi16ELi16ELi32ELi32ELi8ELi32ELi8ELi8ELi32ELc67ELc84EKPKdS3_KPdEEvlllT_PT11_llS8_llS6_PT12_llPT13_lli.has_indirect_call, 0
	.section	.AMDGPU.csdata,"",@progbits
; Kernel info:
; codeLenInByte = 1636
; TotalNumSgprs: 54
; NumVgprs: 38
; ScratchSize: 0
; MemoryBound: 0
; FloatMode: 240
; IeeeMode: 1
; LDSByteSize: 4096 bytes/workgroup (compile time only)
; SGPRBlocks: 0
; VGPRBlocks: 4
; NumSGPRsForWavesPerEU: 54
; NumVGPRsForWavesPerEU: 38
; Occupancy: 16
; WaveLimiterHint : 1
; COMPUTE_PGM_RSRC2:SCRATCH_EN: 0
; COMPUTE_PGM_RSRC2:USER_SGPR: 6
; COMPUTE_PGM_RSRC2:TRAP_HANDLER: 0
; COMPUTE_PGM_RSRC2:TGID_X_EN: 1
; COMPUTE_PGM_RSRC2:TGID_Y_EN: 1
; COMPUTE_PGM_RSRC2:TGID_Z_EN: 1
; COMPUTE_PGM_RSRC2:TIDIG_COMP_CNT: 1
	.section	.text._ZN12_GLOBAL__N_127rocblas_gemm_batched_kernelIdLi16ELi16ELi32ELi32ELi8ELi32ELi8ELi8ELi32ELc78ELc67EKPKdS3_KPdEEvlllT_PT11_llS8_llS6_PT12_llPT13_lli,"axG",@progbits,_ZN12_GLOBAL__N_127rocblas_gemm_batched_kernelIdLi16ELi16ELi32ELi32ELi8ELi32ELi8ELi8ELi32ELc78ELc67EKPKdS3_KPdEEvlllT_PT11_llS8_llS6_PT12_llPT13_lli,comdat
	.globl	_ZN12_GLOBAL__N_127rocblas_gemm_batched_kernelIdLi16ELi16ELi32ELi32ELi8ELi32ELi8ELi8ELi32ELc78ELc67EKPKdS3_KPdEEvlllT_PT11_llS8_llS6_PT12_llPT13_lli ; -- Begin function _ZN12_GLOBAL__N_127rocblas_gemm_batched_kernelIdLi16ELi16ELi32ELi32ELi8ELi32ELi8ELi8ELi32ELc78ELc67EKPKdS3_KPdEEvlllT_PT11_llS8_llS6_PT12_llPT13_lli
	.p2align	8
	.type	_ZN12_GLOBAL__N_127rocblas_gemm_batched_kernelIdLi16ELi16ELi32ELi32ELi8ELi32ELi8ELi8ELi32ELc78ELc67EKPKdS3_KPdEEvlllT_PT11_llS8_llS6_PT12_llPT13_lli,@function
_ZN12_GLOBAL__N_127rocblas_gemm_batched_kernelIdLi16ELi16ELi32ELi32ELi8ELi32ELi8ELi8ELi32ELc78ELc67EKPKdS3_KPdEEvlllT_PT11_llS8_llS6_PT12_llPT13_lli: ; @_ZN12_GLOBAL__N_127rocblas_gemm_batched_kernelIdLi16ELi16ELi32ELi32ELi8ELi32ELi8ELi8ELi32ELc78ELc67EKPKdS3_KPdEEvlllT_PT11_llS8_llS6_PT12_llPT13_lli
; %bb.0:
	s_clause 0x2
	s_load_dwordx8 s[36:43], s[4:5], 0x50
	s_load_dwordx8 s[44:51], s[4:5], 0x70
	s_load_dwordx16 s[12:27], s[4:5], 0x10
	s_mov_b32 s9, 0
	s_mov_b32 s10, s7
	s_lshl_b64 s[0:1], s[8:9], 3
	v_mov_b32_e32 v3, 0
	s_waitcnt lgkmcnt(0)
	s_add_u32 s2, s38, s0
	s_addc_u32 s3, s39, s1
	s_add_u32 s4, s44, s0
	s_addc_u32 s5, s45, s1
	s_load_dwordx2 s[2:3], s[2:3], 0x0
	s_load_dwordx2 s[4:5], s[4:5], 0x0
	v_cmp_lt_i64_e64 s8, s[12:13], 1
	s_ashr_i32 s7, s6, 31
	s_ashr_i32 s11, s10, 31
	s_lshl_b64 s[6:7], s[6:7], 5
	s_and_b32 vcc_lo, exec_lo, s8
	s_lshl_b64 s[8:9], s[10:11], 5
	s_cbranch_vccnz .LBB221_3
; %bb.1:
	v_lshl_add_u32 v5, v1, 4, v0
	v_and_b32_e32 v7, 7, v0
	s_add_u32 s10, s16, s0
	s_addc_u32 s11, s17, s1
	s_add_u32 s0, s22, s0
	v_lshrrev_b32_e32 v2, 3, v5
	v_lshrrev_b32_e32 v9, 5, v5
	v_and_b32_e32 v10, 31, v5
	s_addc_u32 s1, s23, s1
	v_lshlrev_b32_e32 v11, 3, v7
	v_mad_u64_u32 v[3:4], null, s24, v7, v[2:3]
	v_mad_u64_u32 v[5:6], null, s18, v9, s[6:7]
	s_load_dwordx2 s[0:1], s[0:1], 0x0
	s_load_dwordx2 s[16:17], s[10:11], 0x0
	v_lshlrev_b32_e32 v12, 3, v10
	s_lshl_b64 s[10:11], s[26:27], 3
	v_add_co_u32 v3, vcc_lo, v3, s8
	v_mad_u64_u32 v[7:8], null, s25, v7, v[4:5]
	v_lshl_or_b32 v8, v2, 6, v11
	v_mov_b32_e32 v2, v6
	v_lshl_or_b32 v16, v9, 8, v12
	v_lshlrev_b32_e32 v14, 3, v0
	v_lshl_add_u32 v15, v1, 6, 0x800
	v_add_nc_u32_e32 v17, 0x800, v8
	v_add_co_ci_u32_e64 v4, null, s9, v7, vcc_lo
	v_mad_u64_u32 v[6:7], null, s19, v9, v[2:3]
	v_mov_b32_e32 v8, 0
	v_lshlrev_b64 v[2:3], 3, v[3:4]
	v_add_co_u32 v4, vcc_lo, v5, v10
	s_waitcnt lgkmcnt(0)
	s_add_u32 s0, s0, s10
	s_addc_u32 s1, s1, s11
	v_add_co_ci_u32_e64 v5, null, 0, v6, vcc_lo
	v_add_co_u32 v10, vcc_lo, s0, v2
	v_add_co_ci_u32_e64 v11, null, s1, v3, vcc_lo
	v_lshlrev_b64 v[12:13], 3, v[4:5]
	s_lshl_b64 s[0:1], s[20:21], 3
	s_lshl_b64 s[10:11], s[24:25], 6
	s_add_u32 s0, s16, s0
	s_addc_u32 s1, s17, s1
	v_mov_b32_e32 v2, 0
	v_add_co_u32 v12, vcc_lo, s0, v12
	v_mov_b32_e32 v4, 0
	v_mov_b32_e32 v6, 0
	;; [unrolled: 1-line block ×6, first 2 shown]
	v_add_co_ci_u32_e64 v13, null, s1, v13, vcc_lo
	s_lshl_b64 s[16:17], s[18:19], 6
	s_mov_b64 s[18:19], 0
.LBB221_2:                              ; =>This Inner Loop Header: Depth=1
	flat_load_dwordx2 v[18:19], v[12:13]
	s_add_u32 s18, s18, 8
	s_addc_u32 s19, s19, 0
	v_add_co_u32 v12, vcc_lo, v12, s16
	v_cmp_lt_i64_e64 s0, s[18:19], s[12:13]
	v_add_co_ci_u32_e64 v13, null, s17, v13, vcc_lo
	s_and_b32 vcc_lo, exec_lo, s0
	s_waitcnt vmcnt(0) lgkmcnt(0)
	ds_write_b64 v16, v[18:19]
	flat_load_dwordx2 v[18:19], v[10:11]
	v_add_co_u32 v10, s0, v10, s10
	v_add_co_ci_u32_e64 v11, null, s11, v11, s0
	s_waitcnt vmcnt(0) lgkmcnt(0)
	ds_write_b64 v17, v[18:19]
	s_waitcnt lgkmcnt(0)
	s_barrier
	buffer_gl0_inv
	ds_read_b128 v[18:21], v15
	ds_read2_b64 v[22:25], v14 offset1:16
	ds_read_b128 v[26:29], v15 offset:1024
	ds_read_b128 v[30:33], v15 offset:16
	;; [unrolled: 1-line block ×3, first 2 shown]
	s_waitcnt lgkmcnt(3)
	v_fma_f64 v[8:9], v[22:23], v[18:19], v[8:9]
	v_fma_f64 v[6:7], v[24:25], v[18:19], v[6:7]
	s_waitcnt lgkmcnt(2)
	v_fma_f64 v[18:19], v[22:23], v[26:27], v[4:5]
	v_fma_f64 v[22:23], v[24:25], v[26:27], v[2:3]
	ds_read2_b64 v[2:5], v14 offset0:32 offset1:48
	s_waitcnt lgkmcnt(0)
	v_fma_f64 v[8:9], v[2:3], v[20:21], v[8:9]
	v_fma_f64 v[6:7], v[4:5], v[20:21], v[6:7]
	;; [unrolled: 1-line block ×4, first 2 shown]
	ds_read2_b64 v[2:5], v14 offset0:64 offset1:80
	s_waitcnt lgkmcnt(0)
	v_fma_f64 v[22:23], v[2:3], v[30:31], v[8:9]
	v_fma_f64 v[24:25], v[4:5], v[30:31], v[6:7]
	;; [unrolled: 1-line block ×4, first 2 shown]
	ds_read2_b64 v[2:5], v14 offset0:96 offset1:112
	ds_read_b128 v[6:9], v15 offset:32
	ds_read2_b64 v[18:21], v14 offset0:128 offset1:144
	s_waitcnt lgkmcnt(2)
	v_fma_f64 v[30:31], v[2:3], v[32:33], v[22:23]
	v_fma_f64 v[32:33], v[4:5], v[32:33], v[24:25]
	;; [unrolled: 1-line block ×4, first 2 shown]
	ds_read_b128 v[2:5], v15 offset:1056
	ds_read_b128 v[22:25], v15 offset:48
	;; [unrolled: 1-line block ×3, first 2 shown]
	s_waitcnt lgkmcnt(3)
	v_fma_f64 v[30:31], v[18:19], v[6:7], v[30:31]
	v_fma_f64 v[6:7], v[20:21], v[6:7], v[32:33]
	s_waitcnt lgkmcnt(2)
	v_fma_f64 v[32:33], v[18:19], v[2:3], v[34:35]
	v_fma_f64 v[2:3], v[20:21], v[2:3], v[36:37]
	ds_read2_b64 v[18:21], v14 offset0:160 offset1:176
	s_waitcnt lgkmcnt(0)
	v_fma_f64 v[30:31], v[18:19], v[8:9], v[30:31]
	v_fma_f64 v[6:7], v[20:21], v[8:9], v[6:7]
	;; [unrolled: 1-line block ×4, first 2 shown]
	ds_read2_b64 v[2:5], v14 offset0:192 offset1:208
	s_waitcnt lgkmcnt(0)
	v_fma_f64 v[30:31], v[2:3], v[22:23], v[30:31]
	v_fma_f64 v[6:7], v[4:5], v[22:23], v[6:7]
	;; [unrolled: 1-line block ×4, first 2 shown]
	ds_read2_b64 v[18:21], v14 offset0:224 offset1:240
	s_waitcnt lgkmcnt(0)
	s_barrier
	buffer_gl0_inv
	v_fma_f64 v[8:9], v[18:19], v[24:25], v[30:31]
	v_fma_f64 v[6:7], v[20:21], v[24:25], v[6:7]
	;; [unrolled: 1-line block ×4, first 2 shown]
	s_cbranch_vccnz .LBB221_2
	s_branch .LBB221_4
.LBB221_3:
	v_mov_b32_e32 v8, 0
	v_mov_b32_e32 v6, 0
	;; [unrolled: 1-line block ×8, first 2 shown]
.LBB221_4:
	v_cmp_neq_f64_e64 s10, s[36:37], 0
	v_add_co_u32 v10, s8, s8, v1
	v_add_co_ci_u32_e64 v13, null, s9, 0, s8
	v_add_co_u32 v0, s6, s6, v0
	v_add_co_ci_u32_e64 v1, null, s7, 0, s6
	v_mul_lo_u32 v11, v13, s46
	v_mul_lo_u32 v12, v10, s47
	s_lshl_b64 s[0:1], s[48:49], 3
	v_lshlrev_b64 v[0:1], 3, v[0:1]
	s_waitcnt lgkmcnt(0)
	s_add_u32 s0, s4, s0
	s_addc_u32 s1, s5, s1
	s_and_b32 vcc_lo, exec_lo, s10
	s_cbranch_vccnz .LBB221_8
; %bb.5:
	v_mad_u64_u32 v[14:15], null, v10, s46, 0
	v_mul_f64 v[16:17], s[14:15], v[8:9]
	v_mul_f64 v[18:19], s[14:15], v[6:7]
	v_mul_f64 v[20:21], s[14:15], v[4:5]
	v_mul_f64 v[22:23], s[14:15], v[2:3]
	s_lshl_b64 s[4:5], s[46:47], 7
	v_add3_u32 v15, v15, v12, v11
	v_lshlrev_b64 v[14:15], 3, v[14:15]
	v_add_co_u32 v14, vcc_lo, s0, v14
	v_add_co_ci_u32_e64 v15, null, s1, v15, vcc_lo
	v_add_co_u32 v24, vcc_lo, v14, s4
	v_add_co_ci_u32_e64 v25, null, s5, v15, vcc_lo
	;; [unrolled: 2-line block ×4, first 2 shown]
	flat_store_dwordx2 v[14:15], v[16:17]
	flat_store_dwordx2 v[14:15], v[18:19] offset:128
	flat_store_dwordx2 v[24:25], v[20:21]
	flat_store_dwordx2 v[24:25], v[22:23] offset:128
	s_cbranch_execnz .LBB221_7
.LBB221_6:
	v_mul_lo_u32 v15, v13, s40
	v_mul_lo_u32 v16, v10, s41
	v_mad_u64_u32 v[13:14], null, v10, s40, 0
	s_lshl_b64 s[4:5], s[42:43], 3
	v_mad_u64_u32 v[17:18], null, v10, s46, 0
	s_add_u32 s2, s2, s4
	s_addc_u32 s3, s3, s5
	v_add3_u32 v14, v14, v16, v15
	v_add3_u32 v18, v18, v12, v11
	v_lshlrev_b64 v[13:14], 3, v[13:14]
	v_lshlrev_b64 v[10:11], 3, v[17:18]
	v_add_co_u32 v19, vcc_lo, s2, v13
	v_add_co_ci_u32_e64 v20, null, s3, v14, vcc_lo
	v_add_co_u32 v13, vcc_lo, v19, v0
	v_add_co_ci_u32_e64 v14, null, v20, v1, vcc_lo
	v_add_co_u32 v12, vcc_lo, s0, v10
	flat_load_dwordx2 v[15:16], v[13:14]
	s_waitcnt vmcnt(0) lgkmcnt(0)
	v_mul_f64 v[15:16], s[36:37], v[15:16]
	v_fma_f64 v[8:9], s[14:15], v[8:9], v[15:16]
	v_add_co_ci_u32_e64 v15, null, s1, v11, vcc_lo
	v_add_co_u32 v10, vcc_lo, v12, v0
	s_lshl_b64 s[0:1], s[40:41], 7
	v_add_co_ci_u32_e64 v11, null, v15, v1, vcc_lo
	flat_store_dwordx2 v[10:11], v[8:9]
	flat_load_dwordx2 v[8:9], v[13:14] offset:128
	s_waitcnt vmcnt(0) lgkmcnt(0)
	v_mul_f64 v[8:9], s[36:37], v[8:9]
	v_fma_f64 v[6:7], s[14:15], v[6:7], v[8:9]
	v_add_co_u32 v8, vcc_lo, v19, s0
	v_add_co_ci_u32_e64 v9, null, s1, v20, vcc_lo
	s_lshl_b64 s[0:1], s[46:47], 7
	v_add_co_u32 v8, vcc_lo, v8, v0
	v_add_co_ci_u32_e64 v9, null, v9, v1, vcc_lo
	flat_store_dwordx2 v[10:11], v[6:7] offset:128
	flat_load_dwordx2 v[6:7], v[8:9]
	s_waitcnt vmcnt(0) lgkmcnt(0)
	v_mul_f64 v[6:7], s[36:37], v[6:7]
	v_fma_f64 v[4:5], s[14:15], v[4:5], v[6:7]
	v_add_co_u32 v6, vcc_lo, v12, s0
	v_add_co_ci_u32_e64 v7, null, s1, v15, vcc_lo
	v_add_co_u32 v0, vcc_lo, v6, v0
	v_add_co_ci_u32_e64 v1, null, v7, v1, vcc_lo
	flat_store_dwordx2 v[0:1], v[4:5]
	flat_load_dwordx2 v[4:5], v[8:9] offset:128
	s_waitcnt vmcnt(0) lgkmcnt(0)
	v_mul_f64 v[4:5], s[36:37], v[4:5]
	v_fma_f64 v[2:3], s[14:15], v[2:3], v[4:5]
	flat_store_dwordx2 v[0:1], v[2:3] offset:128
.LBB221_7:
	s_endpgm
.LBB221_8:
	s_branch .LBB221_6
	.section	.rodata,"a",@progbits
	.p2align	6, 0x0
	.amdhsa_kernel _ZN12_GLOBAL__N_127rocblas_gemm_batched_kernelIdLi16ELi16ELi32ELi32ELi8ELi32ELi8ELi8ELi32ELc78ELc67EKPKdS3_KPdEEvlllT_PT11_llS8_llS6_PT12_llPT13_lli
		.amdhsa_group_segment_fixed_size 4096
		.amdhsa_private_segment_fixed_size 0
		.amdhsa_kernarg_size 140
		.amdhsa_user_sgpr_count 6
		.amdhsa_user_sgpr_private_segment_buffer 1
		.amdhsa_user_sgpr_dispatch_ptr 0
		.amdhsa_user_sgpr_queue_ptr 0
		.amdhsa_user_sgpr_kernarg_segment_ptr 1
		.amdhsa_user_sgpr_dispatch_id 0
		.amdhsa_user_sgpr_flat_scratch_init 0
		.amdhsa_user_sgpr_private_segment_size 0
		.amdhsa_wavefront_size32 1
		.amdhsa_uses_dynamic_stack 0
		.amdhsa_system_sgpr_private_segment_wavefront_offset 0
		.amdhsa_system_sgpr_workgroup_id_x 1
		.amdhsa_system_sgpr_workgroup_id_y 1
		.amdhsa_system_sgpr_workgroup_id_z 1
		.amdhsa_system_sgpr_workgroup_info 0
		.amdhsa_system_vgpr_workitem_id 1
		.amdhsa_next_free_vgpr 38
		.amdhsa_next_free_sgpr 52
		.amdhsa_reserve_vcc 1
		.amdhsa_reserve_flat_scratch 0
		.amdhsa_float_round_mode_32 0
		.amdhsa_float_round_mode_16_64 0
		.amdhsa_float_denorm_mode_32 3
		.amdhsa_float_denorm_mode_16_64 3
		.amdhsa_dx10_clamp 1
		.amdhsa_ieee_mode 1
		.amdhsa_fp16_overflow 0
		.amdhsa_workgroup_processor_mode 1
		.amdhsa_memory_ordered 1
		.amdhsa_forward_progress 1
		.amdhsa_shared_vgpr_count 0
		.amdhsa_exception_fp_ieee_invalid_op 0
		.amdhsa_exception_fp_denorm_src 0
		.amdhsa_exception_fp_ieee_div_zero 0
		.amdhsa_exception_fp_ieee_overflow 0
		.amdhsa_exception_fp_ieee_underflow 0
		.amdhsa_exception_fp_ieee_inexact 0
		.amdhsa_exception_int_div_zero 0
	.end_amdhsa_kernel
	.section	.text._ZN12_GLOBAL__N_127rocblas_gemm_batched_kernelIdLi16ELi16ELi32ELi32ELi8ELi32ELi8ELi8ELi32ELc78ELc67EKPKdS3_KPdEEvlllT_PT11_llS8_llS6_PT12_llPT13_lli,"axG",@progbits,_ZN12_GLOBAL__N_127rocblas_gemm_batched_kernelIdLi16ELi16ELi32ELi32ELi8ELi32ELi8ELi8ELi32ELc78ELc67EKPKdS3_KPdEEvlllT_PT11_llS8_llS6_PT12_llPT13_lli,comdat
.Lfunc_end221:
	.size	_ZN12_GLOBAL__N_127rocblas_gemm_batched_kernelIdLi16ELi16ELi32ELi32ELi8ELi32ELi8ELi8ELi32ELc78ELc67EKPKdS3_KPdEEvlllT_PT11_llS8_llS6_PT12_llPT13_lli, .Lfunc_end221-_ZN12_GLOBAL__N_127rocblas_gemm_batched_kernelIdLi16ELi16ELi32ELi32ELi8ELi32ELi8ELi8ELi32ELc78ELc67EKPKdS3_KPdEEvlllT_PT11_llS8_llS6_PT12_llPT13_lli
                                        ; -- End function
	.set _ZN12_GLOBAL__N_127rocblas_gemm_batched_kernelIdLi16ELi16ELi32ELi32ELi8ELi32ELi8ELi8ELi32ELc78ELc67EKPKdS3_KPdEEvlllT_PT11_llS8_llS6_PT12_llPT13_lli.num_vgpr, 38
	.set _ZN12_GLOBAL__N_127rocblas_gemm_batched_kernelIdLi16ELi16ELi32ELi32ELi8ELi32ELi8ELi8ELi32ELc78ELc67EKPKdS3_KPdEEvlllT_PT11_llS8_llS6_PT12_llPT13_lli.num_agpr, 0
	.set _ZN12_GLOBAL__N_127rocblas_gemm_batched_kernelIdLi16ELi16ELi32ELi32ELi8ELi32ELi8ELi8ELi32ELc78ELc67EKPKdS3_KPdEEvlllT_PT11_llS8_llS6_PT12_llPT13_lli.numbered_sgpr, 52
	.set _ZN12_GLOBAL__N_127rocblas_gemm_batched_kernelIdLi16ELi16ELi32ELi32ELi8ELi32ELi8ELi8ELi32ELc78ELc67EKPKdS3_KPdEEvlllT_PT11_llS8_llS6_PT12_llPT13_lli.num_named_barrier, 0
	.set _ZN12_GLOBAL__N_127rocblas_gemm_batched_kernelIdLi16ELi16ELi32ELi32ELi8ELi32ELi8ELi8ELi32ELc78ELc67EKPKdS3_KPdEEvlllT_PT11_llS8_llS6_PT12_llPT13_lli.private_seg_size, 0
	.set _ZN12_GLOBAL__N_127rocblas_gemm_batched_kernelIdLi16ELi16ELi32ELi32ELi8ELi32ELi8ELi8ELi32ELc78ELc67EKPKdS3_KPdEEvlllT_PT11_llS8_llS6_PT12_llPT13_lli.uses_vcc, 1
	.set _ZN12_GLOBAL__N_127rocblas_gemm_batched_kernelIdLi16ELi16ELi32ELi32ELi8ELi32ELi8ELi8ELi32ELc78ELc67EKPKdS3_KPdEEvlllT_PT11_llS8_llS6_PT12_llPT13_lli.uses_flat_scratch, 0
	.set _ZN12_GLOBAL__N_127rocblas_gemm_batched_kernelIdLi16ELi16ELi32ELi32ELi8ELi32ELi8ELi8ELi32ELc78ELc67EKPKdS3_KPdEEvlllT_PT11_llS8_llS6_PT12_llPT13_lli.has_dyn_sized_stack, 0
	.set _ZN12_GLOBAL__N_127rocblas_gemm_batched_kernelIdLi16ELi16ELi32ELi32ELi8ELi32ELi8ELi8ELi32ELc78ELc67EKPKdS3_KPdEEvlllT_PT11_llS8_llS6_PT12_llPT13_lli.has_recursion, 0
	.set _ZN12_GLOBAL__N_127rocblas_gemm_batched_kernelIdLi16ELi16ELi32ELi32ELi8ELi32ELi8ELi8ELi32ELc78ELc67EKPKdS3_KPdEEvlllT_PT11_llS8_llS6_PT12_llPT13_lli.has_indirect_call, 0
	.section	.AMDGPU.csdata,"",@progbits
; Kernel info:
; codeLenInByte = 1600
; TotalNumSgprs: 54
; NumVgprs: 38
; ScratchSize: 0
; MemoryBound: 0
; FloatMode: 240
; IeeeMode: 1
; LDSByteSize: 4096 bytes/workgroup (compile time only)
; SGPRBlocks: 0
; VGPRBlocks: 4
; NumSGPRsForWavesPerEU: 54
; NumVGPRsForWavesPerEU: 38
; Occupancy: 16
; WaveLimiterHint : 1
; COMPUTE_PGM_RSRC2:SCRATCH_EN: 0
; COMPUTE_PGM_RSRC2:USER_SGPR: 6
; COMPUTE_PGM_RSRC2:TRAP_HANDLER: 0
; COMPUTE_PGM_RSRC2:TGID_X_EN: 1
; COMPUTE_PGM_RSRC2:TGID_Y_EN: 1
; COMPUTE_PGM_RSRC2:TGID_Z_EN: 1
; COMPUTE_PGM_RSRC2:TIDIG_COMP_CNT: 1
	.section	.text._ZN12_GLOBAL__N_127rocblas_gemm_batched_kernelIdLi16ELi16ELi32ELi32ELi8ELi32ELi8ELi8ELi32ELc84ELc67EKPKdS3_KPdEEvlllT_PT11_llS8_llS6_PT12_llPT13_lli,"axG",@progbits,_ZN12_GLOBAL__N_127rocblas_gemm_batched_kernelIdLi16ELi16ELi32ELi32ELi8ELi32ELi8ELi8ELi32ELc84ELc67EKPKdS3_KPdEEvlllT_PT11_llS8_llS6_PT12_llPT13_lli,comdat
	.globl	_ZN12_GLOBAL__N_127rocblas_gemm_batched_kernelIdLi16ELi16ELi32ELi32ELi8ELi32ELi8ELi8ELi32ELc84ELc67EKPKdS3_KPdEEvlllT_PT11_llS8_llS6_PT12_llPT13_lli ; -- Begin function _ZN12_GLOBAL__N_127rocblas_gemm_batched_kernelIdLi16ELi16ELi32ELi32ELi8ELi32ELi8ELi8ELi32ELc84ELc67EKPKdS3_KPdEEvlllT_PT11_llS8_llS6_PT12_llPT13_lli
	.p2align	8
	.type	_ZN12_GLOBAL__N_127rocblas_gemm_batched_kernelIdLi16ELi16ELi32ELi32ELi8ELi32ELi8ELi8ELi32ELc84ELc67EKPKdS3_KPdEEvlllT_PT11_llS8_llS6_PT12_llPT13_lli,@function
_ZN12_GLOBAL__N_127rocblas_gemm_batched_kernelIdLi16ELi16ELi32ELi32ELi8ELi32ELi8ELi8ELi32ELc84ELc67EKPKdS3_KPdEEvlllT_PT11_llS8_llS6_PT12_llPT13_lli: ; @_ZN12_GLOBAL__N_127rocblas_gemm_batched_kernelIdLi16ELi16ELi32ELi32ELi8ELi32ELi8ELi8ELi32ELc84ELc67EKPKdS3_KPdEEvlllT_PT11_llS8_llS6_PT12_llPT13_lli
; %bb.0:
	s_clause 0x2
	s_load_dwordx8 s[36:43], s[4:5], 0x50
	s_load_dwordx8 s[44:51], s[4:5], 0x70
	s_load_dwordx16 s[12:27], s[4:5], 0x10
	s_mov_b32 s9, 0
	s_mov_b32 s10, s7
	s_lshl_b64 s[0:1], s[8:9], 3
	v_mov_b32_e32 v3, 0
	s_waitcnt lgkmcnt(0)
	s_add_u32 s2, s38, s0
	s_addc_u32 s3, s39, s1
	s_add_u32 s4, s44, s0
	s_addc_u32 s5, s45, s1
	s_load_dwordx2 s[2:3], s[2:3], 0x0
	s_load_dwordx2 s[4:5], s[4:5], 0x0
	v_cmp_lt_i64_e64 s8, s[12:13], 1
	s_ashr_i32 s7, s6, 31
	s_ashr_i32 s11, s10, 31
	s_lshl_b64 s[6:7], s[6:7], 5
	s_and_b32 vcc_lo, exec_lo, s8
	s_lshl_b64 s[8:9], s[10:11], 5
	s_cbranch_vccnz .LBB222_3
; %bb.1:
	v_lshl_add_u32 v5, v1, 4, v0
	s_add_u32 s10, s16, s0
	v_and_b32_e32 v7, 7, v0
	s_addc_u32 s11, s17, s1
	s_add_u32 s0, s22, s0
	v_and_b32_e32 v8, 31, v5
	v_lshrrev_b32_e32 v2, 3, v5
	s_addc_u32 s1, s23, s1
	v_lshrrev_b32_e32 v10, 5, v5
	s_load_dwordx2 s[0:1], s[0:1], 0x0
	v_add_co_u32 v6, s16, s6, v8
	v_mad_u64_u32 v[3:4], null, s24, v7, v[2:3]
	v_add_co_ci_u32_e64 v9, null, s7, 0, s16
	v_mul_lo_u32 v12, s19, v6
	v_mad_u64_u32 v[5:6], null, s18, v6, 0
	v_lshlrev_b32_e32 v11, 3, v7
	v_mul_lo_u32 v9, s18, v9
	v_lshlrev_b32_e32 v13, 3, v8
	s_load_dwordx2 s[10:11], s[10:11], 0x0
	s_lshl_b64 s[16:17], s[26:27], 3
	v_lshl_or_b32 v2, v2, 6, v11
	v_mad_u64_u32 v[7:8], null, s25, v7, v[4:5]
	v_lshl_or_b32 v14, v10, 8, v13
	v_add3_u32 v6, v6, v9, v12
	v_add_nc_u32_e32 v15, 0x800, v2
	v_add_co_u32 v2, vcc_lo, v3, s8
	s_waitcnt lgkmcnt(0)
	s_add_u32 s16, s0, s16
	v_add_co_ci_u32_e64 v3, null, s9, v7, vcc_lo
	v_lshlrev_b64 v[4:5], 3, v[5:6]
	s_addc_u32 s17, s1, s17
	s_lshl_b64 s[0:1], s[20:21], 3
	v_lshlrev_b64 v[2:3], 3, v[2:3]
	v_lshlrev_b32_e32 v6, 3, v10
	v_mov_b32_e32 v8, 0
	v_add_co_u32 v4, vcc_lo, v4, s0
	v_add_co_ci_u32_e64 v5, null, s1, v5, vcc_lo
	v_add_co_u32 v10, vcc_lo, s16, v2
	v_add_co_ci_u32_e64 v11, null, s17, v3, vcc_lo
	;; [unrolled: 2-line block ×3, first 2 shown]
	v_mov_b32_e32 v2, 0
	v_add_co_u32 v12, vcc_lo, s10, v12
	v_mov_b32_e32 v4, 0
	v_mov_b32_e32 v6, 0
	v_lshlrev_b32_e32 v16, 3, v0
	v_lshl_add_u32 v17, v1, 6, 0x800
	v_mov_b32_e32 v3, 0
	v_mov_b32_e32 v5, 0
	;; [unrolled: 1-line block ×4, first 2 shown]
	v_add_co_ci_u32_e64 v13, null, s11, v13, vcc_lo
	s_lshl_b64 s[10:11], s[24:25], 6
	s_mov_b64 s[16:17], 0
.LBB222_2:                              ; =>This Inner Loop Header: Depth=1
	flat_load_dwordx2 v[18:19], v[12:13]
	s_add_u32 s16, s16, 8
	s_addc_u32 s17, s17, 0
	v_add_co_u32 v12, vcc_lo, v12, 64
	v_cmp_lt_i64_e64 s0, s[16:17], s[12:13]
	v_add_co_ci_u32_e64 v13, null, 0, v13, vcc_lo
	s_and_b32 vcc_lo, exec_lo, s0
	s_waitcnt vmcnt(0) lgkmcnt(0)
	ds_write_b64 v14, v[18:19]
	flat_load_dwordx2 v[18:19], v[10:11]
	v_add_co_u32 v10, s0, v10, s10
	v_add_co_ci_u32_e64 v11, null, s11, v11, s0
	s_waitcnt vmcnt(0) lgkmcnt(0)
	ds_write_b64 v15, v[18:19]
	s_waitcnt lgkmcnt(0)
	s_barrier
	buffer_gl0_inv
	ds_read_b128 v[18:21], v17
	ds_read2_b64 v[22:25], v16 offset1:16
	ds_read_b128 v[26:29], v17 offset:1024
	ds_read_b128 v[30:33], v17 offset:16
	;; [unrolled: 1-line block ×3, first 2 shown]
	s_waitcnt lgkmcnt(3)
	v_fma_f64 v[8:9], v[22:23], v[18:19], v[8:9]
	v_fma_f64 v[6:7], v[24:25], v[18:19], v[6:7]
	s_waitcnt lgkmcnt(2)
	v_fma_f64 v[18:19], v[22:23], v[26:27], v[4:5]
	v_fma_f64 v[22:23], v[24:25], v[26:27], v[2:3]
	ds_read2_b64 v[2:5], v16 offset0:32 offset1:48
	s_waitcnt lgkmcnt(0)
	v_fma_f64 v[8:9], v[2:3], v[20:21], v[8:9]
	v_fma_f64 v[6:7], v[4:5], v[20:21], v[6:7]
	;; [unrolled: 1-line block ×4, first 2 shown]
	ds_read2_b64 v[2:5], v16 offset0:64 offset1:80
	s_waitcnt lgkmcnt(0)
	v_fma_f64 v[22:23], v[2:3], v[30:31], v[8:9]
	v_fma_f64 v[24:25], v[4:5], v[30:31], v[6:7]
	;; [unrolled: 1-line block ×4, first 2 shown]
	ds_read2_b64 v[2:5], v16 offset0:96 offset1:112
	ds_read_b128 v[6:9], v17 offset:32
	ds_read2_b64 v[18:21], v16 offset0:128 offset1:144
	s_waitcnt lgkmcnt(2)
	v_fma_f64 v[30:31], v[2:3], v[32:33], v[22:23]
	v_fma_f64 v[32:33], v[4:5], v[32:33], v[24:25]
	;; [unrolled: 1-line block ×4, first 2 shown]
	ds_read_b128 v[2:5], v17 offset:1056
	ds_read_b128 v[22:25], v17 offset:48
	;; [unrolled: 1-line block ×3, first 2 shown]
	s_waitcnt lgkmcnt(3)
	v_fma_f64 v[30:31], v[18:19], v[6:7], v[30:31]
	v_fma_f64 v[6:7], v[20:21], v[6:7], v[32:33]
	s_waitcnt lgkmcnt(2)
	v_fma_f64 v[32:33], v[18:19], v[2:3], v[34:35]
	v_fma_f64 v[2:3], v[20:21], v[2:3], v[36:37]
	ds_read2_b64 v[18:21], v16 offset0:160 offset1:176
	s_waitcnt lgkmcnt(0)
	v_fma_f64 v[30:31], v[18:19], v[8:9], v[30:31]
	v_fma_f64 v[6:7], v[20:21], v[8:9], v[6:7]
	;; [unrolled: 1-line block ×4, first 2 shown]
	ds_read2_b64 v[2:5], v16 offset0:192 offset1:208
	s_waitcnt lgkmcnt(0)
	v_fma_f64 v[30:31], v[2:3], v[22:23], v[30:31]
	v_fma_f64 v[6:7], v[4:5], v[22:23], v[6:7]
	;; [unrolled: 1-line block ×4, first 2 shown]
	ds_read2_b64 v[18:21], v16 offset0:224 offset1:240
	s_waitcnt lgkmcnt(0)
	s_barrier
	buffer_gl0_inv
	v_fma_f64 v[8:9], v[18:19], v[24:25], v[30:31]
	v_fma_f64 v[6:7], v[20:21], v[24:25], v[6:7]
	;; [unrolled: 1-line block ×4, first 2 shown]
	s_cbranch_vccnz .LBB222_2
	s_branch .LBB222_4
.LBB222_3:
	v_mov_b32_e32 v8, 0
	v_mov_b32_e32 v6, 0
	;; [unrolled: 1-line block ×8, first 2 shown]
.LBB222_4:
	v_cmp_neq_f64_e64 s10, s[36:37], 0
	v_add_co_u32 v10, s8, s8, v1
	v_add_co_ci_u32_e64 v13, null, s9, 0, s8
	v_add_co_u32 v0, s6, s6, v0
	v_add_co_ci_u32_e64 v1, null, s7, 0, s6
	v_mul_lo_u32 v11, v13, s46
	v_mul_lo_u32 v12, v10, s47
	s_lshl_b64 s[0:1], s[48:49], 3
	v_lshlrev_b64 v[0:1], 3, v[0:1]
	s_waitcnt lgkmcnt(0)
	s_add_u32 s0, s4, s0
	s_addc_u32 s1, s5, s1
	s_and_b32 vcc_lo, exec_lo, s10
	s_cbranch_vccnz .LBB222_8
; %bb.5:
	v_mad_u64_u32 v[14:15], null, v10, s46, 0
	v_mul_f64 v[16:17], s[14:15], v[8:9]
	v_mul_f64 v[18:19], s[14:15], v[6:7]
	;; [unrolled: 1-line block ×4, first 2 shown]
	s_lshl_b64 s[4:5], s[46:47], 7
	v_add3_u32 v15, v15, v12, v11
	v_lshlrev_b64 v[14:15], 3, v[14:15]
	v_add_co_u32 v14, vcc_lo, s0, v14
	v_add_co_ci_u32_e64 v15, null, s1, v15, vcc_lo
	v_add_co_u32 v24, vcc_lo, v14, s4
	v_add_co_ci_u32_e64 v25, null, s5, v15, vcc_lo
	;; [unrolled: 2-line block ×4, first 2 shown]
	flat_store_dwordx2 v[14:15], v[16:17]
	flat_store_dwordx2 v[14:15], v[18:19] offset:128
	flat_store_dwordx2 v[24:25], v[20:21]
	flat_store_dwordx2 v[24:25], v[22:23] offset:128
	s_cbranch_execnz .LBB222_7
.LBB222_6:
	v_mul_lo_u32 v15, v13, s40
	v_mul_lo_u32 v16, v10, s41
	v_mad_u64_u32 v[13:14], null, v10, s40, 0
	s_lshl_b64 s[4:5], s[42:43], 3
	v_mad_u64_u32 v[17:18], null, v10, s46, 0
	s_add_u32 s2, s2, s4
	s_addc_u32 s3, s3, s5
	v_add3_u32 v14, v14, v16, v15
	v_add3_u32 v18, v18, v12, v11
	v_lshlrev_b64 v[13:14], 3, v[13:14]
	v_lshlrev_b64 v[10:11], 3, v[17:18]
	v_add_co_u32 v19, vcc_lo, s2, v13
	v_add_co_ci_u32_e64 v20, null, s3, v14, vcc_lo
	v_add_co_u32 v13, vcc_lo, v19, v0
	v_add_co_ci_u32_e64 v14, null, v20, v1, vcc_lo
	v_add_co_u32 v12, vcc_lo, s0, v10
	flat_load_dwordx2 v[15:16], v[13:14]
	s_waitcnt vmcnt(0) lgkmcnt(0)
	v_mul_f64 v[15:16], s[36:37], v[15:16]
	v_fma_f64 v[8:9], s[14:15], v[8:9], v[15:16]
	v_add_co_ci_u32_e64 v15, null, s1, v11, vcc_lo
	v_add_co_u32 v10, vcc_lo, v12, v0
	s_lshl_b64 s[0:1], s[40:41], 7
	v_add_co_ci_u32_e64 v11, null, v15, v1, vcc_lo
	flat_store_dwordx2 v[10:11], v[8:9]
	flat_load_dwordx2 v[8:9], v[13:14] offset:128
	s_waitcnt vmcnt(0) lgkmcnt(0)
	v_mul_f64 v[8:9], s[36:37], v[8:9]
	v_fma_f64 v[6:7], s[14:15], v[6:7], v[8:9]
	v_add_co_u32 v8, vcc_lo, v19, s0
	v_add_co_ci_u32_e64 v9, null, s1, v20, vcc_lo
	s_lshl_b64 s[0:1], s[46:47], 7
	v_add_co_u32 v8, vcc_lo, v8, v0
	v_add_co_ci_u32_e64 v9, null, v9, v1, vcc_lo
	flat_store_dwordx2 v[10:11], v[6:7] offset:128
	flat_load_dwordx2 v[6:7], v[8:9]
	s_waitcnt vmcnt(0) lgkmcnt(0)
	v_mul_f64 v[6:7], s[36:37], v[6:7]
	v_fma_f64 v[4:5], s[14:15], v[4:5], v[6:7]
	v_add_co_u32 v6, vcc_lo, v12, s0
	v_add_co_ci_u32_e64 v7, null, s1, v15, vcc_lo
	v_add_co_u32 v0, vcc_lo, v6, v0
	v_add_co_ci_u32_e64 v1, null, v7, v1, vcc_lo
	flat_store_dwordx2 v[0:1], v[4:5]
	flat_load_dwordx2 v[4:5], v[8:9] offset:128
	s_waitcnt vmcnt(0) lgkmcnt(0)
	v_mul_f64 v[4:5], s[36:37], v[4:5]
	v_fma_f64 v[2:3], s[14:15], v[2:3], v[4:5]
	flat_store_dwordx2 v[0:1], v[2:3] offset:128
.LBB222_7:
	s_endpgm
.LBB222_8:
	s_branch .LBB222_6
	.section	.rodata,"a",@progbits
	.p2align	6, 0x0
	.amdhsa_kernel _ZN12_GLOBAL__N_127rocblas_gemm_batched_kernelIdLi16ELi16ELi32ELi32ELi8ELi32ELi8ELi8ELi32ELc84ELc67EKPKdS3_KPdEEvlllT_PT11_llS8_llS6_PT12_llPT13_lli
		.amdhsa_group_segment_fixed_size 4096
		.amdhsa_private_segment_fixed_size 0
		.amdhsa_kernarg_size 140
		.amdhsa_user_sgpr_count 6
		.amdhsa_user_sgpr_private_segment_buffer 1
		.amdhsa_user_sgpr_dispatch_ptr 0
		.amdhsa_user_sgpr_queue_ptr 0
		.amdhsa_user_sgpr_kernarg_segment_ptr 1
		.amdhsa_user_sgpr_dispatch_id 0
		.amdhsa_user_sgpr_flat_scratch_init 0
		.amdhsa_user_sgpr_private_segment_size 0
		.amdhsa_wavefront_size32 1
		.amdhsa_uses_dynamic_stack 0
		.amdhsa_system_sgpr_private_segment_wavefront_offset 0
		.amdhsa_system_sgpr_workgroup_id_x 1
		.amdhsa_system_sgpr_workgroup_id_y 1
		.amdhsa_system_sgpr_workgroup_id_z 1
		.amdhsa_system_sgpr_workgroup_info 0
		.amdhsa_system_vgpr_workitem_id 1
		.amdhsa_next_free_vgpr 38
		.amdhsa_next_free_sgpr 52
		.amdhsa_reserve_vcc 1
		.amdhsa_reserve_flat_scratch 0
		.amdhsa_float_round_mode_32 0
		.amdhsa_float_round_mode_16_64 0
		.amdhsa_float_denorm_mode_32 3
		.amdhsa_float_denorm_mode_16_64 3
		.amdhsa_dx10_clamp 1
		.amdhsa_ieee_mode 1
		.amdhsa_fp16_overflow 0
		.amdhsa_workgroup_processor_mode 1
		.amdhsa_memory_ordered 1
		.amdhsa_forward_progress 1
		.amdhsa_shared_vgpr_count 0
		.amdhsa_exception_fp_ieee_invalid_op 0
		.amdhsa_exception_fp_denorm_src 0
		.amdhsa_exception_fp_ieee_div_zero 0
		.amdhsa_exception_fp_ieee_overflow 0
		.amdhsa_exception_fp_ieee_underflow 0
		.amdhsa_exception_fp_ieee_inexact 0
		.amdhsa_exception_int_div_zero 0
	.end_amdhsa_kernel
	.section	.text._ZN12_GLOBAL__N_127rocblas_gemm_batched_kernelIdLi16ELi16ELi32ELi32ELi8ELi32ELi8ELi8ELi32ELc84ELc67EKPKdS3_KPdEEvlllT_PT11_llS8_llS6_PT12_llPT13_lli,"axG",@progbits,_ZN12_GLOBAL__N_127rocblas_gemm_batched_kernelIdLi16ELi16ELi32ELi32ELi8ELi32ELi8ELi8ELi32ELc84ELc67EKPKdS3_KPdEEvlllT_PT11_llS8_llS6_PT12_llPT13_lli,comdat
.Lfunc_end222:
	.size	_ZN12_GLOBAL__N_127rocblas_gemm_batched_kernelIdLi16ELi16ELi32ELi32ELi8ELi32ELi8ELi8ELi32ELc84ELc67EKPKdS3_KPdEEvlllT_PT11_llS8_llS6_PT12_llPT13_lli, .Lfunc_end222-_ZN12_GLOBAL__N_127rocblas_gemm_batched_kernelIdLi16ELi16ELi32ELi32ELi8ELi32ELi8ELi8ELi32ELc84ELc67EKPKdS3_KPdEEvlllT_PT11_llS8_llS6_PT12_llPT13_lli
                                        ; -- End function
	.set _ZN12_GLOBAL__N_127rocblas_gemm_batched_kernelIdLi16ELi16ELi32ELi32ELi8ELi32ELi8ELi8ELi32ELc84ELc67EKPKdS3_KPdEEvlllT_PT11_llS8_llS6_PT12_llPT13_lli.num_vgpr, 38
	.set _ZN12_GLOBAL__N_127rocblas_gemm_batched_kernelIdLi16ELi16ELi32ELi32ELi8ELi32ELi8ELi8ELi32ELc84ELc67EKPKdS3_KPdEEvlllT_PT11_llS8_llS6_PT12_llPT13_lli.num_agpr, 0
	.set _ZN12_GLOBAL__N_127rocblas_gemm_batched_kernelIdLi16ELi16ELi32ELi32ELi8ELi32ELi8ELi8ELi32ELc84ELc67EKPKdS3_KPdEEvlllT_PT11_llS8_llS6_PT12_llPT13_lli.numbered_sgpr, 52
	.set _ZN12_GLOBAL__N_127rocblas_gemm_batched_kernelIdLi16ELi16ELi32ELi32ELi8ELi32ELi8ELi8ELi32ELc84ELc67EKPKdS3_KPdEEvlllT_PT11_llS8_llS6_PT12_llPT13_lli.num_named_barrier, 0
	.set _ZN12_GLOBAL__N_127rocblas_gemm_batched_kernelIdLi16ELi16ELi32ELi32ELi8ELi32ELi8ELi8ELi32ELc84ELc67EKPKdS3_KPdEEvlllT_PT11_llS8_llS6_PT12_llPT13_lli.private_seg_size, 0
	.set _ZN12_GLOBAL__N_127rocblas_gemm_batched_kernelIdLi16ELi16ELi32ELi32ELi8ELi32ELi8ELi8ELi32ELc84ELc67EKPKdS3_KPdEEvlllT_PT11_llS8_llS6_PT12_llPT13_lli.uses_vcc, 1
	.set _ZN12_GLOBAL__N_127rocblas_gemm_batched_kernelIdLi16ELi16ELi32ELi32ELi8ELi32ELi8ELi8ELi32ELc84ELc67EKPKdS3_KPdEEvlllT_PT11_llS8_llS6_PT12_llPT13_lli.uses_flat_scratch, 0
	.set _ZN12_GLOBAL__N_127rocblas_gemm_batched_kernelIdLi16ELi16ELi32ELi32ELi8ELi32ELi8ELi8ELi32ELc84ELc67EKPKdS3_KPdEEvlllT_PT11_llS8_llS6_PT12_llPT13_lli.has_dyn_sized_stack, 0
	.set _ZN12_GLOBAL__N_127rocblas_gemm_batched_kernelIdLi16ELi16ELi32ELi32ELi8ELi32ELi8ELi8ELi32ELc84ELc67EKPKdS3_KPdEEvlllT_PT11_llS8_llS6_PT12_llPT13_lli.has_recursion, 0
	.set _ZN12_GLOBAL__N_127rocblas_gemm_batched_kernelIdLi16ELi16ELi32ELi32ELi8ELi32ELi8ELi8ELi32ELc84ELc67EKPKdS3_KPdEEvlllT_PT11_llS8_llS6_PT12_llPT13_lli.has_indirect_call, 0
	.section	.AMDGPU.csdata,"",@progbits
; Kernel info:
; codeLenInByte = 1636
; TotalNumSgprs: 54
; NumVgprs: 38
; ScratchSize: 0
; MemoryBound: 0
; FloatMode: 240
; IeeeMode: 1
; LDSByteSize: 4096 bytes/workgroup (compile time only)
; SGPRBlocks: 0
; VGPRBlocks: 4
; NumSGPRsForWavesPerEU: 54
; NumVGPRsForWavesPerEU: 38
; Occupancy: 16
; WaveLimiterHint : 1
; COMPUTE_PGM_RSRC2:SCRATCH_EN: 0
; COMPUTE_PGM_RSRC2:USER_SGPR: 6
; COMPUTE_PGM_RSRC2:TRAP_HANDLER: 0
; COMPUTE_PGM_RSRC2:TGID_X_EN: 1
; COMPUTE_PGM_RSRC2:TGID_Y_EN: 1
; COMPUTE_PGM_RSRC2:TGID_Z_EN: 1
; COMPUTE_PGM_RSRC2:TIDIG_COMP_CNT: 1
	.section	.text._ZN12_GLOBAL__N_135rocblas_gemm_batched_general_kernelIdLi16ELi16ELi32ELi32ELi8ELi32ELi8ELi8ELi32ELc78ELc78EKPKdS3_KPdEEvlllT_PT11_llS8_llS6_PT12_llPT13_lli,"axG",@progbits,_ZN12_GLOBAL__N_135rocblas_gemm_batched_general_kernelIdLi16ELi16ELi32ELi32ELi8ELi32ELi8ELi8ELi32ELc78ELc78EKPKdS3_KPdEEvlllT_PT11_llS8_llS6_PT12_llPT13_lli,comdat
	.globl	_ZN12_GLOBAL__N_135rocblas_gemm_batched_general_kernelIdLi16ELi16ELi32ELi32ELi8ELi32ELi8ELi8ELi32ELc78ELc78EKPKdS3_KPdEEvlllT_PT11_llS8_llS6_PT12_llPT13_lli ; -- Begin function _ZN12_GLOBAL__N_135rocblas_gemm_batched_general_kernelIdLi16ELi16ELi32ELi32ELi8ELi32ELi8ELi8ELi32ELc78ELc78EKPKdS3_KPdEEvlllT_PT11_llS8_llS6_PT12_llPT13_lli
	.p2align	8
	.type	_ZN12_GLOBAL__N_135rocblas_gemm_batched_general_kernelIdLi16ELi16ELi32ELi32ELi8ELi32ELi8ELi8ELi32ELc78ELc78EKPKdS3_KPdEEvlllT_PT11_llS8_llS6_PT12_llPT13_lli,@function
_ZN12_GLOBAL__N_135rocblas_gemm_batched_general_kernelIdLi16ELi16ELi32ELi32ELi8ELi32ELi8ELi8ELi32ELc78ELc78EKPKdS3_KPdEEvlllT_PT11_llS8_llS6_PT12_llPT13_lli: ; @_ZN12_GLOBAL__N_135rocblas_gemm_batched_general_kernelIdLi16ELi16ELi32ELi32ELi8ELi32ELi8ELi8ELi32ELc78ELc78EKPKdS3_KPdEEvlllT_PT11_llS8_llS6_PT12_llPT13_lli
; %bb.0:
	s_clause 0x1
	s_load_dwordx16 s[36:51], s[4:5], 0x40
	s_load_dwordx16 s[12:27], s[4:5], 0x0
	s_mov_b32 s9, 0
	s_mov_b32 s28, s7
	s_lshl_b64 s[0:1], s[8:9], 3
	s_waitcnt lgkmcnt(0)
	s_add_u32 s2, s42, s0
	s_addc_u32 s3, s43, s1
	s_add_u32 s10, s48, s0
	s_addc_u32 s11, s49, s1
	s_load_dwordx2 s[8:9], s[2:3], 0x0
	s_load_dwordx2 s[2:3], s[10:11], 0x0
	v_cmp_lt_i64_e64 s30, s[16:17], 1
	s_ashr_i32 s7, s6, 31
	s_ashr_i32 s29, s28, 31
	s_lshl_b64 s[10:11], s[6:7], 5
	s_lshl_b64 s[28:29], s[28:29], 5
	s_and_b32 vcc_lo, exec_lo, s30
	s_cbranch_vccnz .LBB223_7
; %bb.1:
	v_lshl_add_u32 v2, v1, 4, v0
	s_add_u32 s26, s26, s0
	s_addc_u32 s27, s27, s1
	s_add_u32 s0, s20, s0
	v_mov_b32_e32 v3, s11
	v_lshrrev_b32_e32 v10, 3, v2
	v_lshrrev_b32_e32 v19, 5, v2
	v_and_b32_e32 v11, 31, v2
	v_and_b32_e32 v18, 7, v0
	s_addc_u32 s1, s21, s1
	v_add_co_u32 v4, s20, v10, s28
	v_mad_u64_u32 v[6:7], null, s22, v19, 0
	v_add_co_ci_u32_e64 v5, null, 0, s29, s20
	v_or_b32_e32 v2, s10, v11
	v_mul_lo_u32 v12, s37, v4
	v_mad_u64_u32 v[8:9], null, s36, v4, 0
	v_mul_lo_u32 v13, s36, v5
	s_load_dwordx2 s[20:21], s[0:1], 0x0
	v_cmp_gt_i64_e64 s0, s[12:13], v[2:3]
	v_mov_b32_e32 v2, v7
	v_lshlrev_b32_e32 v14, 3, v18
	s_load_dwordx2 s[26:27], s[26:27], 0x0
	v_cmp_gt_i64_e64 s1, s[14:15], v[4:5]
	s_lshl_b64 s[30:31], s[38:39], 3
	v_mad_u64_u32 v[2:3], null, s23, v19, v[2:3]
	v_add3_u32 v9, v9, v13, v12
	v_lshl_or_b32 v7, v10, 6, v14
	s_lshl_b64 s[6:7], s[6:7], 8
	s_lshl_b64 s[24:25], s[24:25], 3
	v_lshlrev_b32_e32 v15, 3, v11
	v_lshlrev_b64 v[3:4], 3, v[8:9]
	v_add_nc_u32_e32 v21, 0x800, v7
	v_mov_b32_e32 v7, v2
	s_add_u32 s6, s24, s6
	s_addc_u32 s7, s25, s7
	v_mov_b32_e32 v8, 0
	v_add_co_u32 v5, vcc_lo, v3, s30
	v_lshlrev_b64 v[2:3], 3, v[6:7]
	v_add_co_ci_u32_e64 v4, null, s31, v4, vcc_lo
	v_add_co_u32 v5, vcc_lo, v5, v14
	v_mov_b32_e32 v6, 0
	v_add_co_ci_u32_e64 v4, null, 0, v4, vcc_lo
	v_add_co_u32 v2, vcc_lo, s6, v2
	v_add_co_ci_u32_e64 v3, null, s7, v3, vcc_lo
	s_waitcnt lgkmcnt(0)
	v_add_co_u32 v10, vcc_lo, s26, v5
	v_add_co_ci_u32_e64 v11, null, s27, v4, vcc_lo
	v_add_co_u32 v12, vcc_lo, v2, v15
	v_add_co_ci_u32_e64 v13, null, 0, v3, vcc_lo
	v_mov_b32_e32 v2, 0
	v_add_co_u32 v12, vcc_lo, s20, v12
	v_mov_b32_e32 v4, 0
	v_lshl_or_b32 v20, v19, 8, v15
	v_lshlrev_b32_e32 v22, 3, v0
	v_lshl_add_u32 v23, v1, 6, 0x800
	v_mov_b32_e32 v3, 0
	v_mov_b32_e32 v5, 0
	;; [unrolled: 1-line block ×4, first 2 shown]
	v_add_co_ci_u32_e64 v13, null, s21, v13, vcc_lo
	s_lshl_b64 s[6:7], s[22:23], 6
	s_mov_b64 s[20:21], 0
	s_branch .LBB223_3
.LBB223_2:                              ;   in Loop: Header=BB223_3 Depth=1
	s_or_b32 exec_lo, exec_lo, s22
	s_waitcnt vmcnt(0) lgkmcnt(0)
	ds_write_b64 v21, v[16:17]
	s_waitcnt lgkmcnt(0)
	s_barrier
	buffer_gl0_inv
	ds_read_b128 v[14:17], v23
	ds_read2_b64 v[24:27], v22 offset1:16
	ds_read_b128 v[28:31], v23 offset:1024
	ds_read_b128 v[32:35], v23 offset:16
	ds_read2_b64 v[36:39], v22 offset0:32 offset1:48
	ds_read_b128 v[40:43], v23 offset:1040
	s_add_u32 s20, s20, 8
	s_addc_u32 s21, s21, 0
	v_add_co_u32 v10, vcc_lo, v10, 64
	v_cmp_lt_i64_e64 s22, s[20:21], s[16:17]
	v_add_co_ci_u32_e64 v11, null, 0, v11, vcc_lo
	v_add_co_u32 v12, vcc_lo, v12, s6
	v_add_co_ci_u32_e64 v13, null, s7, v13, vcc_lo
	s_and_b32 vcc_lo, exec_lo, s22
	s_waitcnt lgkmcnt(4)
	v_fma_f64 v[8:9], v[24:25], v[14:15], v[8:9]
	v_fma_f64 v[6:7], v[26:27], v[14:15], v[6:7]
	s_waitcnt lgkmcnt(3)
	v_fma_f64 v[14:15], v[24:25], v[28:29], v[4:5]
	v_fma_f64 v[24:25], v[26:27], v[28:29], v[2:3]
	ds_read2_b64 v[2:5], v22 offset0:64 offset1:80
	s_waitcnt lgkmcnt(2)
	v_fma_f64 v[26:27], v[36:37], v[16:17], v[8:9]
	v_fma_f64 v[16:17], v[38:39], v[16:17], v[6:7]
	;; [unrolled: 1-line block ×4, first 2 shown]
	ds_read2_b64 v[6:9], v22 offset0:96 offset1:112
	s_waitcnt lgkmcnt(1)
	v_fma_f64 v[26:27], v[2:3], v[32:33], v[26:27]
	v_fma_f64 v[28:29], v[4:5], v[32:33], v[16:17]
	;; [unrolled: 1-line block ×4, first 2 shown]
	ds_read_b128 v[2:5], v23 offset:32
	ds_read2_b64 v[14:17], v22 offset0:128 offset1:144
	s_waitcnt lgkmcnt(2)
	v_fma_f64 v[36:37], v[6:7], v[34:35], v[26:27]
	v_fma_f64 v[38:39], v[8:9], v[34:35], v[28:29]
	;; [unrolled: 1-line block ×4, first 2 shown]
	ds_read_b128 v[6:9], v23 offset:1056
	ds_read_b128 v[24:27], v23 offset:48
	ds_read2_b64 v[28:31], v22 offset0:160 offset1:176
	ds_read_b128 v[32:35], v23 offset:1072
	s_waitcnt lgkmcnt(4)
	v_fma_f64 v[36:37], v[14:15], v[2:3], v[36:37]
	v_fma_f64 v[2:3], v[16:17], v[2:3], v[38:39]
	s_waitcnt lgkmcnt(3)
	v_fma_f64 v[38:39], v[14:15], v[6:7], v[40:41]
	v_fma_f64 v[6:7], v[16:17], v[6:7], v[42:43]
	ds_read2_b64 v[14:17], v22 offset0:192 offset1:208
	s_waitcnt lgkmcnt(2)
	v_fma_f64 v[36:37], v[28:29], v[4:5], v[36:37]
	v_fma_f64 v[2:3], v[30:31], v[4:5], v[2:3]
	;; [unrolled: 1-line block ×4, first 2 shown]
	ds_read2_b64 v[28:31], v22 offset0:224 offset1:240
	s_waitcnt lgkmcnt(0)
	s_barrier
	buffer_gl0_inv
	v_fma_f64 v[8:9], v[14:15], v[24:25], v[36:37]
	v_fma_f64 v[2:3], v[16:17], v[24:25], v[2:3]
	;; [unrolled: 1-line block ×8, first 2 shown]
	s_cbranch_vccz .LBB223_8
.LBB223_3:                              ; =>This Inner Loop Header: Depth=1
	v_add_co_u32 v14, s22, v19, s20
	v_add_co_ci_u32_e64 v15, null, 0, s21, s22
	v_cmp_gt_i64_e32 vcc_lo, s[16:17], v[14:15]
	v_mov_b32_e32 v14, 0
	v_mov_b32_e32 v15, 0
	s_and_b32 s23, s0, vcc_lo
	s_and_saveexec_b32 s22, s23
	s_cbranch_execz .LBB223_5
; %bb.4:                                ;   in Loop: Header=BB223_3 Depth=1
	flat_load_dwordx2 v[14:15], v[12:13]
.LBB223_5:                              ;   in Loop: Header=BB223_3 Depth=1
	s_or_b32 exec_lo, exec_lo, s22
	v_add_co_u32 v16, s22, v18, s20
	v_add_co_ci_u32_e64 v17, null, 0, s21, s22
	s_waitcnt vmcnt(0) lgkmcnt(0)
	ds_write_b64 v20, v[14:15]
	v_cmp_gt_i64_e32 vcc_lo, s[16:17], v[16:17]
	v_mov_b32_e32 v16, 0
	v_mov_b32_e32 v17, 0
	s_and_b32 s23, vcc_lo, s1
	s_and_saveexec_b32 s22, s23
	s_cbranch_execz .LBB223_2
; %bb.6:                                ;   in Loop: Header=BB223_3 Depth=1
	flat_load_dwordx2 v[16:17], v[10:11]
	s_branch .LBB223_2
.LBB223_7:
	v_mov_b32_e32 v8, 0
	v_mov_b32_e32 v6, 0
	;; [unrolled: 1-line block ×8, first 2 shown]
.LBB223_8:
	s_load_dwordx2 s[0:1], s[4:5], 0x80
	v_cmp_neq_f64_e64 s6, s[40:41], 0
	v_add_co_u32 v10, s4, s28, v1
	v_add_co_ci_u32_e64 v11, null, s29, 0, s4
	s_waitcnt lgkmcnt(0)
	s_lshl_b64 s[4:5], s[0:1], 3
	v_cmp_gt_i64_e64 s0, s[14:15], v[10:11]
	s_add_u32 s4, s2, s4
	s_addc_u32 s3, s3, s5
	s_and_b32 vcc_lo, exec_lo, s6
	s_cbranch_vccnz .LBB223_21
; %bb.9:
	s_and_saveexec_b32 s5, s0
	s_cbranch_execz .LBB223_19
; %bb.10:
	v_mul_lo_u32 v1, v11, s50
	v_mul_lo_u32 v14, v10, s51
	v_mad_u64_u32 v[12:13], null, v10, s50, 0
	v_add3_u32 v13, v13, v14, v1
	v_add_co_u32 v14, s1, s10, v0
	v_add_co_ci_u32_e64 v15, null, s11, 0, s1
	v_lshlrev_b64 v[16:17], 3, v[12:13]
	v_cmp_gt_i64_e32 vcc_lo, s[12:13], v[14:15]
	v_lshlrev_b64 v[12:13], 3, v[14:15]
	v_add_co_u32 v1, s1, s4, v16
	v_add_co_ci_u32_e64 v16, null, s3, v17, s1
	s_and_saveexec_b32 s2, vcc_lo
	s_cbranch_execz .LBB223_12
; %bb.11:
	v_mul_f64 v[17:18], s[18:19], v[8:9]
	v_add_co_u32 v19, s1, v1, v12
	v_add_co_ci_u32_e64 v20, null, v16, v13, s1
	flat_store_dwordx2 v[19:20], v[17:18]
.LBB223_12:
	s_or_b32 exec_lo, exec_lo, s2
	v_add_co_u32 v14, s1, v14, 16
	v_add_co_ci_u32_e64 v15, null, 0, v15, s1
	v_cmp_gt_i64_e64 s1, s[12:13], v[14:15]
	s_and_saveexec_b32 s6, s1
	s_cbranch_execz .LBB223_14
; %bb.13:
	v_mul_f64 v[14:15], s[18:19], v[6:7]
	v_add_co_u32 v17, s2, v1, v12
	v_add_co_ci_u32_e64 v18, null, v16, v13, s2
	flat_store_dwordx2 v[17:18], v[14:15] offset:128
.LBB223_14:
	s_or_b32 exec_lo, exec_lo, s6
	v_add_co_u32 v14, s2, v10, 16
	v_add_co_ci_u32_e64 v15, null, 0, v11, s2
	v_cmp_gt_i64_e64 s2, s[14:15], v[14:15]
	s_and_b32 exec_lo, exec_lo, s2
	s_cbranch_execz .LBB223_19
; %bb.15:
	s_lshl_b64 s[6:7], s[50:51], 7
	v_add_co_u32 v1, s2, v1, s6
	v_add_co_ci_u32_e64 v14, null, s7, v16, s2
	v_add_co_u32 v12, s2, v1, v12
	v_add_co_ci_u32_e64 v13, null, v14, v13, s2
	s_and_saveexec_b32 s2, vcc_lo
	s_cbranch_execz .LBB223_17
; %bb.16:
	v_mul_f64 v[14:15], s[18:19], v[4:5]
	flat_store_dwordx2 v[12:13], v[14:15]
.LBB223_17:
	s_or_b32 exec_lo, exec_lo, s2
	s_and_b32 exec_lo, exec_lo, s1
	s_cbranch_execz .LBB223_19
; %bb.18:
	v_mul_f64 v[14:15], s[18:19], v[2:3]
	flat_store_dwordx2 v[12:13], v[14:15] offset:128
.LBB223_19:
	s_or_b32 exec_lo, exec_lo, s5
	s_cbranch_execz .LBB223_22
.LBB223_20:
	s_endpgm
.LBB223_21:
.LBB223_22:
	s_and_saveexec_b32 s1, s0
	s_cbranch_execz .LBB223_20
; %bb.23:
	v_mul_lo_u32 v1, v11, s44
	v_mul_lo_u32 v12, v10, s45
	v_mad_u64_u32 v[14:15], null, v10, s44, 0
	v_mul_lo_u32 v18, v11, s50
	v_mul_lo_u32 v19, v10, s51
	v_mad_u64_u32 v[16:17], null, v10, s50, 0
	s_lshl_b64 s[0:1], s[46:47], 3
	v_add3_u32 v15, v15, v12, v1
	v_add_co_u32 v12, s2, s10, v0
	v_add_co_ci_u32_e64 v13, null, s11, 0, s2
	v_add3_u32 v17, v17, v19, v18
	v_lshlrev_b64 v[0:1], 3, v[14:15]
	s_add_u32 s0, s8, s0
	s_addc_u32 s1, s9, s1
	v_cmp_gt_i64_e32 vcc_lo, s[12:13], v[12:13]
	v_lshlrev_b64 v[16:17], 3, v[16:17]
	v_add_co_u32 v14, s0, s0, v0
	v_add_co_ci_u32_e64 v15, null, s1, v1, s0
	v_add_co_u32 v16, s0, s4, v16
	v_lshlrev_b64 v[0:1], 3, v[12:13]
	v_add_co_ci_u32_e64 v17, null, s3, v17, s0
	s_and_saveexec_b32 s1, vcc_lo
	s_cbranch_execz .LBB223_25
; %bb.24:
	v_add_co_u32 v18, s0, v14, v0
	v_add_co_ci_u32_e64 v19, null, v15, v1, s0
	flat_load_dwordx2 v[18:19], v[18:19]
	s_waitcnt vmcnt(0) lgkmcnt(0)
	v_mul_f64 v[18:19], s[40:41], v[18:19]
	v_fma_f64 v[8:9], s[18:19], v[8:9], v[18:19]
	v_add_co_u32 v18, s0, v16, v0
	v_add_co_ci_u32_e64 v19, null, v17, v1, s0
	flat_store_dwordx2 v[18:19], v[8:9]
.LBB223_25:
	s_or_b32 exec_lo, exec_lo, s1
	v_add_co_u32 v8, s0, v12, 16
	v_add_co_ci_u32_e64 v9, null, 0, v13, s0
	v_cmp_gt_i64_e64 s0, s[12:13], v[8:9]
	s_and_saveexec_b32 s2, s0
	s_cbranch_execz .LBB223_27
; %bb.26:
	v_add_co_u32 v8, s1, v14, v0
	v_add_co_ci_u32_e64 v9, null, v15, v1, s1
	flat_load_dwordx2 v[8:9], v[8:9] offset:128
	s_waitcnt vmcnt(0) lgkmcnt(0)
	v_mul_f64 v[8:9], s[40:41], v[8:9]
	v_fma_f64 v[6:7], s[18:19], v[6:7], v[8:9]
	v_add_co_u32 v8, s1, v16, v0
	v_add_co_ci_u32_e64 v9, null, v17, v1, s1
	flat_store_dwordx2 v[8:9], v[6:7] offset:128
.LBB223_27:
	s_or_b32 exec_lo, exec_lo, s2
	v_add_co_u32 v6, s1, v10, 16
	v_add_co_ci_u32_e64 v7, null, 0, v11, s1
	v_cmp_gt_i64_e64 s1, s[14:15], v[6:7]
	s_and_b32 exec_lo, exec_lo, s1
	s_cbranch_execz .LBB223_20
; %bb.28:
	s_lshl_b64 s[2:3], s[44:45], 7
	v_add_co_u32 v6, s1, v14, s2
	v_add_co_ci_u32_e64 v7, null, s3, v15, s1
	s_lshl_b64 s[2:3], s[50:51], 7
	v_add_co_u32 v8, s1, v16, s2
	v_add_co_ci_u32_e64 v9, null, s3, v17, s1
	v_add_co_u32 v6, s1, v6, v0
	v_add_co_ci_u32_e64 v7, null, v7, v1, s1
	;; [unrolled: 2-line block ×3, first 2 shown]
	s_and_saveexec_b32 s1, vcc_lo
	s_cbranch_execz .LBB223_30
; %bb.29:
	flat_load_dwordx2 v[8:9], v[6:7]
	s_waitcnt vmcnt(0) lgkmcnt(0)
	v_mul_f64 v[8:9], s[40:41], v[8:9]
	v_fma_f64 v[4:5], s[18:19], v[4:5], v[8:9]
	flat_store_dwordx2 v[0:1], v[4:5]
.LBB223_30:
	s_or_b32 exec_lo, exec_lo, s1
	s_and_b32 exec_lo, exec_lo, s0
	s_cbranch_execz .LBB223_20
; %bb.31:
	flat_load_dwordx2 v[4:5], v[6:7] offset:128
	s_waitcnt vmcnt(0) lgkmcnt(0)
	v_mul_f64 v[4:5], s[40:41], v[4:5]
	v_fma_f64 v[2:3], s[18:19], v[2:3], v[4:5]
	flat_store_dwordx2 v[0:1], v[2:3] offset:128
	s_endpgm
	.section	.rodata,"a",@progbits
	.p2align	6, 0x0
	.amdhsa_kernel _ZN12_GLOBAL__N_135rocblas_gemm_batched_general_kernelIdLi16ELi16ELi32ELi32ELi8ELi32ELi8ELi8ELi32ELc78ELc78EKPKdS3_KPdEEvlllT_PT11_llS8_llS6_PT12_llPT13_lli
		.amdhsa_group_segment_fixed_size 4096
		.amdhsa_private_segment_fixed_size 0
		.amdhsa_kernarg_size 140
		.amdhsa_user_sgpr_count 6
		.amdhsa_user_sgpr_private_segment_buffer 1
		.amdhsa_user_sgpr_dispatch_ptr 0
		.amdhsa_user_sgpr_queue_ptr 0
		.amdhsa_user_sgpr_kernarg_segment_ptr 1
		.amdhsa_user_sgpr_dispatch_id 0
		.amdhsa_user_sgpr_flat_scratch_init 0
		.amdhsa_user_sgpr_private_segment_size 0
		.amdhsa_wavefront_size32 1
		.amdhsa_uses_dynamic_stack 0
		.amdhsa_system_sgpr_private_segment_wavefront_offset 0
		.amdhsa_system_sgpr_workgroup_id_x 1
		.amdhsa_system_sgpr_workgroup_id_y 1
		.amdhsa_system_sgpr_workgroup_id_z 1
		.amdhsa_system_sgpr_workgroup_info 0
		.amdhsa_system_vgpr_workitem_id 1
		.amdhsa_next_free_vgpr 44
		.amdhsa_next_free_sgpr 52
		.amdhsa_reserve_vcc 1
		.amdhsa_reserve_flat_scratch 0
		.amdhsa_float_round_mode_32 0
		.amdhsa_float_round_mode_16_64 0
		.amdhsa_float_denorm_mode_32 3
		.amdhsa_float_denorm_mode_16_64 3
		.amdhsa_dx10_clamp 1
		.amdhsa_ieee_mode 1
		.amdhsa_fp16_overflow 0
		.amdhsa_workgroup_processor_mode 1
		.amdhsa_memory_ordered 1
		.amdhsa_forward_progress 1
		.amdhsa_shared_vgpr_count 0
		.amdhsa_exception_fp_ieee_invalid_op 0
		.amdhsa_exception_fp_denorm_src 0
		.amdhsa_exception_fp_ieee_div_zero 0
		.amdhsa_exception_fp_ieee_overflow 0
		.amdhsa_exception_fp_ieee_underflow 0
		.amdhsa_exception_fp_ieee_inexact 0
		.amdhsa_exception_int_div_zero 0
	.end_amdhsa_kernel
	.section	.text._ZN12_GLOBAL__N_135rocblas_gemm_batched_general_kernelIdLi16ELi16ELi32ELi32ELi8ELi32ELi8ELi8ELi32ELc78ELc78EKPKdS3_KPdEEvlllT_PT11_llS8_llS6_PT12_llPT13_lli,"axG",@progbits,_ZN12_GLOBAL__N_135rocblas_gemm_batched_general_kernelIdLi16ELi16ELi32ELi32ELi8ELi32ELi8ELi8ELi32ELc78ELc78EKPKdS3_KPdEEvlllT_PT11_llS8_llS6_PT12_llPT13_lli,comdat
.Lfunc_end223:
	.size	_ZN12_GLOBAL__N_135rocblas_gemm_batched_general_kernelIdLi16ELi16ELi32ELi32ELi8ELi32ELi8ELi8ELi32ELc78ELc78EKPKdS3_KPdEEvlllT_PT11_llS8_llS6_PT12_llPT13_lli, .Lfunc_end223-_ZN12_GLOBAL__N_135rocblas_gemm_batched_general_kernelIdLi16ELi16ELi32ELi32ELi8ELi32ELi8ELi8ELi32ELc78ELc78EKPKdS3_KPdEEvlllT_PT11_llS8_llS6_PT12_llPT13_lli
                                        ; -- End function
	.set _ZN12_GLOBAL__N_135rocblas_gemm_batched_general_kernelIdLi16ELi16ELi32ELi32ELi8ELi32ELi8ELi8ELi32ELc78ELc78EKPKdS3_KPdEEvlllT_PT11_llS8_llS6_PT12_llPT13_lli.num_vgpr, 44
	.set _ZN12_GLOBAL__N_135rocblas_gemm_batched_general_kernelIdLi16ELi16ELi32ELi32ELi8ELi32ELi8ELi8ELi32ELc78ELc78EKPKdS3_KPdEEvlllT_PT11_llS8_llS6_PT12_llPT13_lli.num_agpr, 0
	.set _ZN12_GLOBAL__N_135rocblas_gemm_batched_general_kernelIdLi16ELi16ELi32ELi32ELi8ELi32ELi8ELi8ELi32ELc78ELc78EKPKdS3_KPdEEvlllT_PT11_llS8_llS6_PT12_llPT13_lli.numbered_sgpr, 52
	.set _ZN12_GLOBAL__N_135rocblas_gemm_batched_general_kernelIdLi16ELi16ELi32ELi32ELi8ELi32ELi8ELi8ELi32ELc78ELc78EKPKdS3_KPdEEvlllT_PT11_llS8_llS6_PT12_llPT13_lli.num_named_barrier, 0
	.set _ZN12_GLOBAL__N_135rocblas_gemm_batched_general_kernelIdLi16ELi16ELi32ELi32ELi8ELi32ELi8ELi8ELi32ELc78ELc78EKPKdS3_KPdEEvlllT_PT11_llS8_llS6_PT12_llPT13_lli.private_seg_size, 0
	.set _ZN12_GLOBAL__N_135rocblas_gemm_batched_general_kernelIdLi16ELi16ELi32ELi32ELi8ELi32ELi8ELi8ELi32ELc78ELc78EKPKdS3_KPdEEvlllT_PT11_llS8_llS6_PT12_llPT13_lli.uses_vcc, 1
	.set _ZN12_GLOBAL__N_135rocblas_gemm_batched_general_kernelIdLi16ELi16ELi32ELi32ELi8ELi32ELi8ELi8ELi32ELc78ELc78EKPKdS3_KPdEEvlllT_PT11_llS8_llS6_PT12_llPT13_lli.uses_flat_scratch, 0
	.set _ZN12_GLOBAL__N_135rocblas_gemm_batched_general_kernelIdLi16ELi16ELi32ELi32ELi8ELi32ELi8ELi8ELi32ELc78ELc78EKPKdS3_KPdEEvlllT_PT11_llS8_llS6_PT12_llPT13_lli.has_dyn_sized_stack, 0
	.set _ZN12_GLOBAL__N_135rocblas_gemm_batched_general_kernelIdLi16ELi16ELi32ELi32ELi8ELi32ELi8ELi8ELi32ELc78ELc78EKPKdS3_KPdEEvlllT_PT11_llS8_llS6_PT12_llPT13_lli.has_recursion, 0
	.set _ZN12_GLOBAL__N_135rocblas_gemm_batched_general_kernelIdLi16ELi16ELi32ELi32ELi8ELi32ELi8ELi8ELi32ELc78ELc78EKPKdS3_KPdEEvlllT_PT11_llS8_llS6_PT12_llPT13_lli.has_indirect_call, 0
	.section	.AMDGPU.csdata,"",@progbits
; Kernel info:
; codeLenInByte = 2092
; TotalNumSgprs: 54
; NumVgprs: 44
; ScratchSize: 0
; MemoryBound: 0
; FloatMode: 240
; IeeeMode: 1
; LDSByteSize: 4096 bytes/workgroup (compile time only)
; SGPRBlocks: 0
; VGPRBlocks: 5
; NumSGPRsForWavesPerEU: 54
; NumVGPRsForWavesPerEU: 44
; Occupancy: 16
; WaveLimiterHint : 1
; COMPUTE_PGM_RSRC2:SCRATCH_EN: 0
; COMPUTE_PGM_RSRC2:USER_SGPR: 6
; COMPUTE_PGM_RSRC2:TRAP_HANDLER: 0
; COMPUTE_PGM_RSRC2:TGID_X_EN: 1
; COMPUTE_PGM_RSRC2:TGID_Y_EN: 1
; COMPUTE_PGM_RSRC2:TGID_Z_EN: 1
; COMPUTE_PGM_RSRC2:TIDIG_COMP_CNT: 1
	.section	.text._ZN12_GLOBAL__N_135rocblas_gemm_batched_general_kernelIdLi16ELi16ELi32ELi32ELi8ELi32ELi8ELi8ELi32ELc84ELc78EKPKdS3_KPdEEvlllT_PT11_llS8_llS6_PT12_llPT13_lli,"axG",@progbits,_ZN12_GLOBAL__N_135rocblas_gemm_batched_general_kernelIdLi16ELi16ELi32ELi32ELi8ELi32ELi8ELi8ELi32ELc84ELc78EKPKdS3_KPdEEvlllT_PT11_llS8_llS6_PT12_llPT13_lli,comdat
	.globl	_ZN12_GLOBAL__N_135rocblas_gemm_batched_general_kernelIdLi16ELi16ELi32ELi32ELi8ELi32ELi8ELi8ELi32ELc84ELc78EKPKdS3_KPdEEvlllT_PT11_llS8_llS6_PT12_llPT13_lli ; -- Begin function _ZN12_GLOBAL__N_135rocblas_gemm_batched_general_kernelIdLi16ELi16ELi32ELi32ELi8ELi32ELi8ELi8ELi32ELc84ELc78EKPKdS3_KPdEEvlllT_PT11_llS8_llS6_PT12_llPT13_lli
	.p2align	8
	.type	_ZN12_GLOBAL__N_135rocblas_gemm_batched_general_kernelIdLi16ELi16ELi32ELi32ELi8ELi32ELi8ELi8ELi32ELc84ELc78EKPKdS3_KPdEEvlllT_PT11_llS8_llS6_PT12_llPT13_lli,@function
_ZN12_GLOBAL__N_135rocblas_gemm_batched_general_kernelIdLi16ELi16ELi32ELi32ELi8ELi32ELi8ELi8ELi32ELc84ELc78EKPKdS3_KPdEEvlllT_PT11_llS8_llS6_PT12_llPT13_lli: ; @_ZN12_GLOBAL__N_135rocblas_gemm_batched_general_kernelIdLi16ELi16ELi32ELi32ELi8ELi32ELi8ELi8ELi32ELc84ELc78EKPKdS3_KPdEEvlllT_PT11_llS8_llS6_PT12_llPT13_lli
; %bb.0:
	s_clause 0x1
	s_load_dwordx16 s[36:51], s[4:5], 0x40
	s_load_dwordx16 s[12:27], s[4:5], 0x0
	s_mov_b32 s9, 0
	s_mov_b32 s10, s7
	s_lshl_b64 s[0:1], s[8:9], 3
	s_waitcnt lgkmcnt(0)
	s_add_u32 s2, s42, s0
	s_addc_u32 s3, s43, s1
	s_add_u32 s28, s48, s0
	s_addc_u32 s29, s49, s1
	s_load_dwordx2 s[8:9], s[2:3], 0x0
	s_load_dwordx2 s[2:3], s[28:29], 0x0
	v_cmp_lt_i64_e64 s28, s[16:17], 1
	s_ashr_i32 s7, s6, 31
	s_ashr_i32 s11, s10, 31
	s_lshl_b64 s[6:7], s[6:7], 5
	s_lshl_b64 s[10:11], s[10:11], 5
	s_and_b32 vcc_lo, exec_lo, s28
	s_cbranch_vccnz .LBB224_7
; %bb.1:
	v_lshl_add_u32 v2, v1, 4, v0
	s_add_u32 s26, s26, s0
	s_addc_u32 s27, s27, s1
	s_add_u32 s0, s20, s0
	v_mov_b32_e32 v3, s7
	v_lshrrev_b32_e32 v7, 3, v2
	v_and_b32_e32 v6, 31, v2
	v_lshrrev_b32_e32 v19, 5, v2
	v_and_b32_e32 v18, 7, v0
	s_addc_u32 s1, s21, s1
	v_add_co_u32 v4, s20, v7, s10
	v_or_b32_e32 v2, s6, v6
	v_add_co_ci_u32_e64 v5, null, 0, s11, s20
	s_load_dwordx2 s[20:21], s[26:27], 0x0
	s_load_dwordx2 s[26:27], s[0:1], 0x0
	v_mul_lo_u32 v8, s37, v4
	v_cmp_gt_i64_e64 s0, s[12:13], v[2:3]
	v_mul_lo_u32 v9, s36, v5
	v_mad_u64_u32 v[2:3], null, s36, v4, 0
	v_add_co_u32 v11, s1, s6, v6
	v_lshlrev_b32_e32 v10, 3, v18
	v_add_co_ci_u32_e64 v12, null, s7, 0, s1
	v_lshlrev_b32_e32 v13, 3, v6
	v_add3_u32 v3, v3, v9, v8
	v_lshl_or_b32 v14, v7, 6, v10
	v_mul_lo_u32 v8, s23, v11
	v_mul_lo_u32 v9, s22, v12
	v_mad_u64_u32 v[6:7], null, s22, v11, 0
	v_lshlrev_b64 v[2:3], 3, v[2:3]
	s_lshl_b64 s[22:23], s[38:39], 3
	v_cmp_gt_i64_e64 s1, s[14:15], v[4:5]
	v_lshl_or_b32 v20, v19, 8, v13
	v_add_nc_u32_e32 v21, 0x800, v14
	v_lshlrev_b32_e32 v22, 3, v0
	v_add3_u32 v7, v7, v9, v8
	v_add_co_u32 v4, vcc_lo, v2, s22
	v_add_co_ci_u32_e64 v5, null, s23, v3, vcc_lo
	v_lshlrev_b64 v[2:3], 3, v[6:7]
	v_add_co_u32 v4, vcc_lo, v4, v10
	s_lshl_b64 s[22:23], s[24:25], 3
	v_add_co_ci_u32_e64 v5, null, 0, v5, vcc_lo
	v_add_co_u32 v2, vcc_lo, v2, s22
	v_lshlrev_b32_e32 v6, 3, v19
	v_add_co_ci_u32_e64 v3, null, s23, v3, vcc_lo
	s_waitcnt lgkmcnt(0)
	v_add_co_u32 v10, vcc_lo, s20, v4
	v_add_co_ci_u32_e64 v11, null, s21, v5, vcc_lo
	v_add_co_u32 v12, vcc_lo, v2, v6
	v_add_co_ci_u32_e64 v13, null, 0, v3, vcc_lo
	v_mov_b32_e32 v2, 0
	v_add_co_u32 v12, vcc_lo, s26, v12
	v_mov_b32_e32 v4, 0
	v_mov_b32_e32 v6, 0
	;; [unrolled: 1-line block ×3, first 2 shown]
	v_lshl_add_u32 v23, v1, 6, 0x800
	v_mov_b32_e32 v3, 0
	v_mov_b32_e32 v5, 0
	;; [unrolled: 1-line block ×4, first 2 shown]
	v_add_co_ci_u32_e64 v13, null, s27, v13, vcc_lo
	s_mov_b64 s[20:21], 0
	s_branch .LBB224_3
.LBB224_2:                              ;   in Loop: Header=BB224_3 Depth=1
	s_or_b32 exec_lo, exec_lo, s22
	s_waitcnt vmcnt(0) lgkmcnt(0)
	ds_write_b64 v21, v[16:17]
	s_waitcnt lgkmcnt(0)
	s_barrier
	buffer_gl0_inv
	ds_read_b128 v[14:17], v23
	ds_read2_b64 v[24:27], v22 offset1:16
	ds_read_b128 v[28:31], v23 offset:1024
	ds_read_b128 v[32:35], v23 offset:16
	ds_read2_b64 v[36:39], v22 offset0:32 offset1:48
	ds_read_b128 v[40:43], v23 offset:1040
	s_add_u32 s20, s20, 8
	s_addc_u32 s21, s21, 0
	v_add_co_u32 v10, vcc_lo, v10, 64
	v_cmp_lt_i64_e64 s22, s[20:21], s[16:17]
	v_add_co_ci_u32_e64 v11, null, 0, v11, vcc_lo
	v_add_co_u32 v12, vcc_lo, v12, 64
	v_add_co_ci_u32_e64 v13, null, 0, v13, vcc_lo
	s_and_b32 vcc_lo, exec_lo, s22
	s_waitcnt lgkmcnt(4)
	v_fma_f64 v[8:9], v[24:25], v[14:15], v[8:9]
	v_fma_f64 v[6:7], v[26:27], v[14:15], v[6:7]
	s_waitcnt lgkmcnt(3)
	v_fma_f64 v[14:15], v[24:25], v[28:29], v[4:5]
	v_fma_f64 v[24:25], v[26:27], v[28:29], v[2:3]
	ds_read2_b64 v[2:5], v22 offset0:64 offset1:80
	s_waitcnt lgkmcnt(2)
	v_fma_f64 v[26:27], v[36:37], v[16:17], v[8:9]
	v_fma_f64 v[16:17], v[38:39], v[16:17], v[6:7]
	;; [unrolled: 1-line block ×4, first 2 shown]
	ds_read2_b64 v[6:9], v22 offset0:96 offset1:112
	s_waitcnt lgkmcnt(1)
	v_fma_f64 v[26:27], v[2:3], v[32:33], v[26:27]
	v_fma_f64 v[28:29], v[4:5], v[32:33], v[16:17]
	;; [unrolled: 1-line block ×4, first 2 shown]
	ds_read_b128 v[2:5], v23 offset:32
	ds_read2_b64 v[14:17], v22 offset0:128 offset1:144
	s_waitcnt lgkmcnt(2)
	v_fma_f64 v[36:37], v[6:7], v[34:35], v[26:27]
	v_fma_f64 v[38:39], v[8:9], v[34:35], v[28:29]
	v_fma_f64 v[40:41], v[6:7], v[42:43], v[30:31]
	v_fma_f64 v[42:43], v[8:9], v[42:43], v[24:25]
	ds_read_b128 v[6:9], v23 offset:1056
	ds_read_b128 v[24:27], v23 offset:48
	ds_read2_b64 v[28:31], v22 offset0:160 offset1:176
	ds_read_b128 v[32:35], v23 offset:1072
	s_waitcnt lgkmcnt(4)
	v_fma_f64 v[36:37], v[14:15], v[2:3], v[36:37]
	v_fma_f64 v[2:3], v[16:17], v[2:3], v[38:39]
	s_waitcnt lgkmcnt(3)
	v_fma_f64 v[38:39], v[14:15], v[6:7], v[40:41]
	v_fma_f64 v[6:7], v[16:17], v[6:7], v[42:43]
	ds_read2_b64 v[14:17], v22 offset0:192 offset1:208
	s_waitcnt lgkmcnt(2)
	v_fma_f64 v[36:37], v[28:29], v[4:5], v[36:37]
	v_fma_f64 v[2:3], v[30:31], v[4:5], v[2:3]
	;; [unrolled: 1-line block ×4, first 2 shown]
	ds_read2_b64 v[28:31], v22 offset0:224 offset1:240
	s_waitcnt lgkmcnt(0)
	s_barrier
	buffer_gl0_inv
	v_fma_f64 v[8:9], v[14:15], v[24:25], v[36:37]
	v_fma_f64 v[2:3], v[16:17], v[24:25], v[2:3]
	;; [unrolled: 1-line block ×8, first 2 shown]
	s_cbranch_vccz .LBB224_8
.LBB224_3:                              ; =>This Inner Loop Header: Depth=1
	v_add_co_u32 v14, s22, v19, s20
	v_add_co_ci_u32_e64 v15, null, 0, s21, s22
	v_cmp_gt_i64_e32 vcc_lo, s[16:17], v[14:15]
	v_mov_b32_e32 v14, 0
	v_mov_b32_e32 v15, 0
	s_and_b32 s23, s0, vcc_lo
	s_and_saveexec_b32 s22, s23
	s_cbranch_execz .LBB224_5
; %bb.4:                                ;   in Loop: Header=BB224_3 Depth=1
	flat_load_dwordx2 v[14:15], v[12:13]
.LBB224_5:                              ;   in Loop: Header=BB224_3 Depth=1
	s_or_b32 exec_lo, exec_lo, s22
	v_add_co_u32 v16, s22, v18, s20
	v_add_co_ci_u32_e64 v17, null, 0, s21, s22
	s_waitcnt vmcnt(0) lgkmcnt(0)
	ds_write_b64 v20, v[14:15]
	v_cmp_gt_i64_e32 vcc_lo, s[16:17], v[16:17]
	v_mov_b32_e32 v16, 0
	v_mov_b32_e32 v17, 0
	s_and_b32 s23, vcc_lo, s1
	s_and_saveexec_b32 s22, s23
	s_cbranch_execz .LBB224_2
; %bb.6:                                ;   in Loop: Header=BB224_3 Depth=1
	flat_load_dwordx2 v[16:17], v[10:11]
	s_branch .LBB224_2
.LBB224_7:
	v_mov_b32_e32 v8, 0
	v_mov_b32_e32 v6, 0
	;; [unrolled: 1-line block ×8, first 2 shown]
.LBB224_8:
	s_load_dwordx2 s[0:1], s[4:5], 0x80
	v_cmp_neq_f64_e64 s16, s[40:41], 0
	v_add_co_u32 v10, s4, s10, v1
	v_add_co_ci_u32_e64 v11, null, s11, 0, s4
	s_waitcnt lgkmcnt(0)
	s_lshl_b64 s[4:5], s[0:1], 3
	v_cmp_gt_i64_e64 s0, s[14:15], v[10:11]
	s_add_u32 s4, s2, s4
	s_addc_u32 s3, s3, s5
	s_and_b32 vcc_lo, exec_lo, s16
	s_cbranch_vccnz .LBB224_21
; %bb.9:
	s_and_saveexec_b32 s5, s0
	s_cbranch_execz .LBB224_19
; %bb.10:
	v_mul_lo_u32 v1, v11, s50
	v_mul_lo_u32 v14, v10, s51
	v_mad_u64_u32 v[12:13], null, v10, s50, 0
	v_add3_u32 v13, v13, v14, v1
	v_add_co_u32 v14, s1, s6, v0
	v_add_co_ci_u32_e64 v15, null, s7, 0, s1
	v_lshlrev_b64 v[16:17], 3, v[12:13]
	v_cmp_gt_i64_e32 vcc_lo, s[12:13], v[14:15]
	v_lshlrev_b64 v[12:13], 3, v[14:15]
	v_add_co_u32 v1, s1, s4, v16
	v_add_co_ci_u32_e64 v16, null, s3, v17, s1
	s_and_saveexec_b32 s2, vcc_lo
	s_cbranch_execz .LBB224_12
; %bb.11:
	v_mul_f64 v[17:18], s[18:19], v[8:9]
	v_add_co_u32 v19, s1, v1, v12
	v_add_co_ci_u32_e64 v20, null, v16, v13, s1
	flat_store_dwordx2 v[19:20], v[17:18]
.LBB224_12:
	s_or_b32 exec_lo, exec_lo, s2
	v_add_co_u32 v14, s1, v14, 16
	v_add_co_ci_u32_e64 v15, null, 0, v15, s1
	v_cmp_gt_i64_e64 s1, s[12:13], v[14:15]
	s_and_saveexec_b32 s10, s1
	s_cbranch_execz .LBB224_14
; %bb.13:
	v_mul_f64 v[14:15], s[18:19], v[6:7]
	v_add_co_u32 v17, s2, v1, v12
	v_add_co_ci_u32_e64 v18, null, v16, v13, s2
	flat_store_dwordx2 v[17:18], v[14:15] offset:128
.LBB224_14:
	s_or_b32 exec_lo, exec_lo, s10
	v_add_co_u32 v14, s2, v10, 16
	v_add_co_ci_u32_e64 v15, null, 0, v11, s2
	v_cmp_gt_i64_e64 s2, s[14:15], v[14:15]
	s_and_b32 exec_lo, exec_lo, s2
	s_cbranch_execz .LBB224_19
; %bb.15:
	s_lshl_b64 s[10:11], s[50:51], 7
	v_add_co_u32 v1, s2, v1, s10
	v_add_co_ci_u32_e64 v14, null, s11, v16, s2
	v_add_co_u32 v12, s2, v1, v12
	v_add_co_ci_u32_e64 v13, null, v14, v13, s2
	s_and_saveexec_b32 s2, vcc_lo
	s_cbranch_execz .LBB224_17
; %bb.16:
	v_mul_f64 v[14:15], s[18:19], v[4:5]
	flat_store_dwordx2 v[12:13], v[14:15]
.LBB224_17:
	s_or_b32 exec_lo, exec_lo, s2
	s_and_b32 exec_lo, exec_lo, s1
	s_cbranch_execz .LBB224_19
; %bb.18:
	v_mul_f64 v[14:15], s[18:19], v[2:3]
	flat_store_dwordx2 v[12:13], v[14:15] offset:128
.LBB224_19:
	s_or_b32 exec_lo, exec_lo, s5
	s_cbranch_execz .LBB224_22
.LBB224_20:
	s_endpgm
.LBB224_21:
.LBB224_22:
	s_and_saveexec_b32 s1, s0
	s_cbranch_execz .LBB224_20
; %bb.23:
	v_mul_lo_u32 v1, v11, s44
	v_mul_lo_u32 v12, v10, s45
	v_mad_u64_u32 v[14:15], null, v10, s44, 0
	v_mul_lo_u32 v18, v11, s50
	v_mul_lo_u32 v19, v10, s51
	v_mad_u64_u32 v[16:17], null, v10, s50, 0
	s_lshl_b64 s[0:1], s[46:47], 3
	v_add3_u32 v15, v15, v12, v1
	v_add_co_u32 v12, s2, s6, v0
	v_add_co_ci_u32_e64 v13, null, s7, 0, s2
	v_add3_u32 v17, v17, v19, v18
	v_lshlrev_b64 v[0:1], 3, v[14:15]
	s_add_u32 s0, s8, s0
	s_addc_u32 s1, s9, s1
	v_cmp_gt_i64_e32 vcc_lo, s[12:13], v[12:13]
	v_lshlrev_b64 v[16:17], 3, v[16:17]
	v_add_co_u32 v14, s0, s0, v0
	v_add_co_ci_u32_e64 v15, null, s1, v1, s0
	v_add_co_u32 v16, s0, s4, v16
	v_lshlrev_b64 v[0:1], 3, v[12:13]
	v_add_co_ci_u32_e64 v17, null, s3, v17, s0
	s_and_saveexec_b32 s1, vcc_lo
	s_cbranch_execz .LBB224_25
; %bb.24:
	v_add_co_u32 v18, s0, v14, v0
	v_add_co_ci_u32_e64 v19, null, v15, v1, s0
	flat_load_dwordx2 v[18:19], v[18:19]
	s_waitcnt vmcnt(0) lgkmcnt(0)
	v_mul_f64 v[18:19], s[40:41], v[18:19]
	v_fma_f64 v[8:9], s[18:19], v[8:9], v[18:19]
	v_add_co_u32 v18, s0, v16, v0
	v_add_co_ci_u32_e64 v19, null, v17, v1, s0
	flat_store_dwordx2 v[18:19], v[8:9]
.LBB224_25:
	s_or_b32 exec_lo, exec_lo, s1
	v_add_co_u32 v8, s0, v12, 16
	v_add_co_ci_u32_e64 v9, null, 0, v13, s0
	v_cmp_gt_i64_e64 s0, s[12:13], v[8:9]
	s_and_saveexec_b32 s2, s0
	s_cbranch_execz .LBB224_27
; %bb.26:
	v_add_co_u32 v8, s1, v14, v0
	v_add_co_ci_u32_e64 v9, null, v15, v1, s1
	flat_load_dwordx2 v[8:9], v[8:9] offset:128
	s_waitcnt vmcnt(0) lgkmcnt(0)
	v_mul_f64 v[8:9], s[40:41], v[8:9]
	v_fma_f64 v[6:7], s[18:19], v[6:7], v[8:9]
	v_add_co_u32 v8, s1, v16, v0
	v_add_co_ci_u32_e64 v9, null, v17, v1, s1
	flat_store_dwordx2 v[8:9], v[6:7] offset:128
.LBB224_27:
	s_or_b32 exec_lo, exec_lo, s2
	v_add_co_u32 v6, s1, v10, 16
	v_add_co_ci_u32_e64 v7, null, 0, v11, s1
	v_cmp_gt_i64_e64 s1, s[14:15], v[6:7]
	s_and_b32 exec_lo, exec_lo, s1
	s_cbranch_execz .LBB224_20
; %bb.28:
	s_lshl_b64 s[2:3], s[44:45], 7
	v_add_co_u32 v6, s1, v14, s2
	v_add_co_ci_u32_e64 v7, null, s3, v15, s1
	s_lshl_b64 s[2:3], s[50:51], 7
	v_add_co_u32 v8, s1, v16, s2
	v_add_co_ci_u32_e64 v9, null, s3, v17, s1
	v_add_co_u32 v6, s1, v6, v0
	v_add_co_ci_u32_e64 v7, null, v7, v1, s1
	;; [unrolled: 2-line block ×3, first 2 shown]
	s_and_saveexec_b32 s1, vcc_lo
	s_cbranch_execz .LBB224_30
; %bb.29:
	flat_load_dwordx2 v[8:9], v[6:7]
	s_waitcnt vmcnt(0) lgkmcnt(0)
	v_mul_f64 v[8:9], s[40:41], v[8:9]
	v_fma_f64 v[4:5], s[18:19], v[4:5], v[8:9]
	flat_store_dwordx2 v[0:1], v[4:5]
.LBB224_30:
	s_or_b32 exec_lo, exec_lo, s1
	s_and_b32 exec_lo, exec_lo, s0
	s_cbranch_execz .LBB224_20
; %bb.31:
	flat_load_dwordx2 v[4:5], v[6:7] offset:128
	s_waitcnt vmcnt(0) lgkmcnt(0)
	v_mul_f64 v[4:5], s[40:41], v[4:5]
	v_fma_f64 v[2:3], s[18:19], v[2:3], v[4:5]
	flat_store_dwordx2 v[0:1], v[2:3] offset:128
	s_endpgm
	.section	.rodata,"a",@progbits
	.p2align	6, 0x0
	.amdhsa_kernel _ZN12_GLOBAL__N_135rocblas_gemm_batched_general_kernelIdLi16ELi16ELi32ELi32ELi8ELi32ELi8ELi8ELi32ELc84ELc78EKPKdS3_KPdEEvlllT_PT11_llS8_llS6_PT12_llPT13_lli
		.amdhsa_group_segment_fixed_size 4096
		.amdhsa_private_segment_fixed_size 0
		.amdhsa_kernarg_size 140
		.amdhsa_user_sgpr_count 6
		.amdhsa_user_sgpr_private_segment_buffer 1
		.amdhsa_user_sgpr_dispatch_ptr 0
		.amdhsa_user_sgpr_queue_ptr 0
		.amdhsa_user_sgpr_kernarg_segment_ptr 1
		.amdhsa_user_sgpr_dispatch_id 0
		.amdhsa_user_sgpr_flat_scratch_init 0
		.amdhsa_user_sgpr_private_segment_size 0
		.amdhsa_wavefront_size32 1
		.amdhsa_uses_dynamic_stack 0
		.amdhsa_system_sgpr_private_segment_wavefront_offset 0
		.amdhsa_system_sgpr_workgroup_id_x 1
		.amdhsa_system_sgpr_workgroup_id_y 1
		.amdhsa_system_sgpr_workgroup_id_z 1
		.amdhsa_system_sgpr_workgroup_info 0
		.amdhsa_system_vgpr_workitem_id 1
		.amdhsa_next_free_vgpr 44
		.amdhsa_next_free_sgpr 52
		.amdhsa_reserve_vcc 1
		.amdhsa_reserve_flat_scratch 0
		.amdhsa_float_round_mode_32 0
		.amdhsa_float_round_mode_16_64 0
		.amdhsa_float_denorm_mode_32 3
		.amdhsa_float_denorm_mode_16_64 3
		.amdhsa_dx10_clamp 1
		.amdhsa_ieee_mode 1
		.amdhsa_fp16_overflow 0
		.amdhsa_workgroup_processor_mode 1
		.amdhsa_memory_ordered 1
		.amdhsa_forward_progress 1
		.amdhsa_shared_vgpr_count 0
		.amdhsa_exception_fp_ieee_invalid_op 0
		.amdhsa_exception_fp_denorm_src 0
		.amdhsa_exception_fp_ieee_div_zero 0
		.amdhsa_exception_fp_ieee_overflow 0
		.amdhsa_exception_fp_ieee_underflow 0
		.amdhsa_exception_fp_ieee_inexact 0
		.amdhsa_exception_int_div_zero 0
	.end_amdhsa_kernel
	.section	.text._ZN12_GLOBAL__N_135rocblas_gemm_batched_general_kernelIdLi16ELi16ELi32ELi32ELi8ELi32ELi8ELi8ELi32ELc84ELc78EKPKdS3_KPdEEvlllT_PT11_llS8_llS6_PT12_llPT13_lli,"axG",@progbits,_ZN12_GLOBAL__N_135rocblas_gemm_batched_general_kernelIdLi16ELi16ELi32ELi32ELi8ELi32ELi8ELi8ELi32ELc84ELc78EKPKdS3_KPdEEvlllT_PT11_llS8_llS6_PT12_llPT13_lli,comdat
.Lfunc_end224:
	.size	_ZN12_GLOBAL__N_135rocblas_gemm_batched_general_kernelIdLi16ELi16ELi32ELi32ELi8ELi32ELi8ELi8ELi32ELc84ELc78EKPKdS3_KPdEEvlllT_PT11_llS8_llS6_PT12_llPT13_lli, .Lfunc_end224-_ZN12_GLOBAL__N_135rocblas_gemm_batched_general_kernelIdLi16ELi16ELi32ELi32ELi8ELi32ELi8ELi8ELi32ELc84ELc78EKPKdS3_KPdEEvlllT_PT11_llS8_llS6_PT12_llPT13_lli
                                        ; -- End function
	.set _ZN12_GLOBAL__N_135rocblas_gemm_batched_general_kernelIdLi16ELi16ELi32ELi32ELi8ELi32ELi8ELi8ELi32ELc84ELc78EKPKdS3_KPdEEvlllT_PT11_llS8_llS6_PT12_llPT13_lli.num_vgpr, 44
	.set _ZN12_GLOBAL__N_135rocblas_gemm_batched_general_kernelIdLi16ELi16ELi32ELi32ELi8ELi32ELi8ELi8ELi32ELc84ELc78EKPKdS3_KPdEEvlllT_PT11_llS8_llS6_PT12_llPT13_lli.num_agpr, 0
	.set _ZN12_GLOBAL__N_135rocblas_gemm_batched_general_kernelIdLi16ELi16ELi32ELi32ELi8ELi32ELi8ELi8ELi32ELc84ELc78EKPKdS3_KPdEEvlllT_PT11_llS8_llS6_PT12_llPT13_lli.numbered_sgpr, 52
	.set _ZN12_GLOBAL__N_135rocblas_gemm_batched_general_kernelIdLi16ELi16ELi32ELi32ELi8ELi32ELi8ELi8ELi32ELc84ELc78EKPKdS3_KPdEEvlllT_PT11_llS8_llS6_PT12_llPT13_lli.num_named_barrier, 0
	.set _ZN12_GLOBAL__N_135rocblas_gemm_batched_general_kernelIdLi16ELi16ELi32ELi32ELi8ELi32ELi8ELi8ELi32ELc84ELc78EKPKdS3_KPdEEvlllT_PT11_llS8_llS6_PT12_llPT13_lli.private_seg_size, 0
	.set _ZN12_GLOBAL__N_135rocblas_gemm_batched_general_kernelIdLi16ELi16ELi32ELi32ELi8ELi32ELi8ELi8ELi32ELc84ELc78EKPKdS3_KPdEEvlllT_PT11_llS8_llS6_PT12_llPT13_lli.uses_vcc, 1
	.set _ZN12_GLOBAL__N_135rocblas_gemm_batched_general_kernelIdLi16ELi16ELi32ELi32ELi8ELi32ELi8ELi8ELi32ELc84ELc78EKPKdS3_KPdEEvlllT_PT11_llS8_llS6_PT12_llPT13_lli.uses_flat_scratch, 0
	.set _ZN12_GLOBAL__N_135rocblas_gemm_batched_general_kernelIdLi16ELi16ELi32ELi32ELi8ELi32ELi8ELi8ELi32ELc84ELc78EKPKdS3_KPdEEvlllT_PT11_llS8_llS6_PT12_llPT13_lli.has_dyn_sized_stack, 0
	.set _ZN12_GLOBAL__N_135rocblas_gemm_batched_general_kernelIdLi16ELi16ELi32ELi32ELi8ELi32ELi8ELi8ELi32ELc84ELc78EKPKdS3_KPdEEvlllT_PT11_llS8_llS6_PT12_llPT13_lli.has_recursion, 0
	.set _ZN12_GLOBAL__N_135rocblas_gemm_batched_general_kernelIdLi16ELi16ELi32ELi32ELi8ELi32ELi8ELi8ELi32ELc84ELc78EKPKdS3_KPdEEvlllT_PT11_llS8_llS6_PT12_llPT13_lli.has_indirect_call, 0
	.section	.AMDGPU.csdata,"",@progbits
; Kernel info:
; codeLenInByte = 2104
; TotalNumSgprs: 54
; NumVgprs: 44
; ScratchSize: 0
; MemoryBound: 0
; FloatMode: 240
; IeeeMode: 1
; LDSByteSize: 4096 bytes/workgroup (compile time only)
; SGPRBlocks: 0
; VGPRBlocks: 5
; NumSGPRsForWavesPerEU: 54
; NumVGPRsForWavesPerEU: 44
; Occupancy: 16
; WaveLimiterHint : 1
; COMPUTE_PGM_RSRC2:SCRATCH_EN: 0
; COMPUTE_PGM_RSRC2:USER_SGPR: 6
; COMPUTE_PGM_RSRC2:TRAP_HANDLER: 0
; COMPUTE_PGM_RSRC2:TGID_X_EN: 1
; COMPUTE_PGM_RSRC2:TGID_Y_EN: 1
; COMPUTE_PGM_RSRC2:TGID_Z_EN: 1
; COMPUTE_PGM_RSRC2:TIDIG_COMP_CNT: 1
	.section	.text._ZN12_GLOBAL__N_135rocblas_gemm_batched_general_kernelIdLi16ELi16ELi32ELi32ELi8ELi32ELi8ELi8ELi32ELc78ELc84EKPKdS3_KPdEEvlllT_PT11_llS8_llS6_PT12_llPT13_lli,"axG",@progbits,_ZN12_GLOBAL__N_135rocblas_gemm_batched_general_kernelIdLi16ELi16ELi32ELi32ELi8ELi32ELi8ELi8ELi32ELc78ELc84EKPKdS3_KPdEEvlllT_PT11_llS8_llS6_PT12_llPT13_lli,comdat
	.globl	_ZN12_GLOBAL__N_135rocblas_gemm_batched_general_kernelIdLi16ELi16ELi32ELi32ELi8ELi32ELi8ELi8ELi32ELc78ELc84EKPKdS3_KPdEEvlllT_PT11_llS8_llS6_PT12_llPT13_lli ; -- Begin function _ZN12_GLOBAL__N_135rocblas_gemm_batched_general_kernelIdLi16ELi16ELi32ELi32ELi8ELi32ELi8ELi8ELi32ELc78ELc84EKPKdS3_KPdEEvlllT_PT11_llS8_llS6_PT12_llPT13_lli
	.p2align	8
	.type	_ZN12_GLOBAL__N_135rocblas_gemm_batched_general_kernelIdLi16ELi16ELi32ELi32ELi8ELi32ELi8ELi8ELi32ELc78ELc84EKPKdS3_KPdEEvlllT_PT11_llS8_llS6_PT12_llPT13_lli,@function
_ZN12_GLOBAL__N_135rocblas_gemm_batched_general_kernelIdLi16ELi16ELi32ELi32ELi8ELi32ELi8ELi8ELi32ELc78ELc84EKPKdS3_KPdEEvlllT_PT11_llS8_llS6_PT12_llPT13_lli: ; @_ZN12_GLOBAL__N_135rocblas_gemm_batched_general_kernelIdLi16ELi16ELi32ELi32ELi8ELi32ELi8ELi8ELi32ELc78ELc84EKPKdS3_KPdEEvlllT_PT11_llS8_llS6_PT12_llPT13_lli
; %bb.0:
	s_clause 0x1
	s_load_dwordx16 s[36:51], s[4:5], 0x40
	s_load_dwordx16 s[12:27], s[4:5], 0x0
	s_mov_b32 s9, 0
	s_mov_b32 s30, s7
	s_lshl_b64 s[0:1], s[8:9], 3
	s_waitcnt lgkmcnt(0)
	s_add_u32 s2, s42, s0
	s_addc_u32 s3, s43, s1
	s_add_u32 s10, s48, s0
	s_addc_u32 s11, s49, s1
	s_load_dwordx2 s[8:9], s[2:3], 0x0
	s_load_dwordx2 s[2:3], s[10:11], 0x0
	v_cmp_lt_i64_e64 s28, s[16:17], 1
	s_ashr_i32 s7, s6, 31
	s_ashr_i32 s31, s30, 31
	s_lshl_b64 s[10:11], s[6:7], 5
	s_and_b32 vcc_lo, exec_lo, s28
	s_lshl_b64 s[28:29], s[30:31], 5
	s_cbranch_vccnz .LBB225_7
; %bb.1:
	v_lshl_add_u32 v11, v1, 4, v0
	v_and_b32_e32 v18, 7, v0
	s_add_u32 s26, s26, s0
	s_addc_u32 s27, s27, s1
	s_add_u32 s0, s20, s0
	v_lshrrev_b32_e32 v10, 3, v11
	v_mad_u64_u32 v[2:3], null, s36, v18, 0
	s_addc_u32 s1, s21, s1
	s_load_dwordx2 s[20:21], s[26:27], 0x0
	s_load_dwordx2 s[26:27], s[0:1], 0x0
	v_add_co_u32 v4, s0, v10, s28
	v_lshrrev_b32_e32 v19, 5, v11
	v_lshlrev_b32_e32 v13, 3, v18
	v_add_co_ci_u32_e64 v5, null, 0, s29, s0
	v_mad_u64_u32 v[8:9], null, s37, v18, v[3:4]
	v_lshl_or_b32 v13, v10, 6, v13
	v_mad_u64_u32 v[9:10], null, s22, v19, 0
	v_cmp_gt_i64_e64 s1, s[14:15], v[4:5]
	s_lshl_b64 s[30:31], s[30:31], 8
	s_lshl_b64 s[34:35], s[38:39], 3
	v_mov_b32_e32 v3, v8
	s_add_u32 s30, s34, s30
	s_addc_u32 s31, s35, s31
	v_mov_b32_e32 v4, v10
	v_and_b32_e32 v12, 31, v11
	v_lshlrev_b64 v[2:3], 3, v[2:3]
	s_lshl_b64 s[24:25], s[24:25], 3
	v_mov_b32_e32 v7, s11
	v_mad_u64_u32 v[4:5], null, s23, v19, v[4:5]
	v_and_b32_e32 v5, 0x1ff8, v11
	v_add_co_u32 v2, vcc_lo, s30, v2
	v_add_co_ci_u32_e64 v3, null, s31, v3, vcc_lo
	s_lshl_b64 s[30:31], s[6:7], 8
	v_mov_b32_e32 v10, v4
	v_add_co_u32 v4, vcc_lo, v2, v5
	v_add_co_ci_u32_e64 v5, null, 0, v3, vcc_lo
	v_lshlrev_b64 v[2:3], 3, v[9:10]
	s_lshl_b64 s[6:7], s[36:37], 6
	s_add_u32 s24, s24, s30
	v_or_b32_e32 v6, s10, v12
	v_lshlrev_b32_e32 v12, 3, v12
	s_addc_u32 s25, s25, s31
	v_add_co_u32 v2, vcc_lo, s24, v2
	v_add_co_ci_u32_e64 v3, null, s25, v3, vcc_lo
	s_waitcnt lgkmcnt(0)
	v_add_co_u32 v10, vcc_lo, s20, v4
	v_lshl_or_b32 v20, v19, 8, v12
	v_add_co_ci_u32_e64 v11, null, s21, v5, vcc_lo
	v_add_co_u32 v12, vcc_lo, v2, v12
	v_add_nc_u32_e32 v21, 0x800, v13
	v_add_co_ci_u32_e64 v13, null, 0, v3, vcc_lo
	v_add_co_u32 v12, vcc_lo, s26, v12
	v_cmp_gt_i64_e64 s0, s[12:13], v[6:7]
	v_mov_b32_e32 v2, 0
	v_mov_b32_e32 v4, 0
	;; [unrolled: 1-line block ×4, first 2 shown]
	v_lshlrev_b32_e32 v22, 3, v0
	v_lshl_add_u32 v23, v1, 6, 0x800
	v_mov_b32_e32 v3, 0
	v_mov_b32_e32 v5, 0
	;; [unrolled: 1-line block ×4, first 2 shown]
	v_add_co_ci_u32_e64 v13, null, s27, v13, vcc_lo
	s_lshl_b64 s[20:21], s[22:23], 6
	s_mov_b64 s[22:23], 0
	s_branch .LBB225_3
.LBB225_2:                              ;   in Loop: Header=BB225_3 Depth=1
	s_or_b32 exec_lo, exec_lo, s24
	s_waitcnt vmcnt(0) lgkmcnt(0)
	ds_write_b64 v21, v[16:17]
	s_waitcnt lgkmcnt(0)
	s_barrier
	buffer_gl0_inv
	ds_read_b128 v[14:17], v23
	ds_read2_b64 v[24:27], v22 offset1:16
	ds_read_b128 v[28:31], v23 offset:1024
	ds_read_b128 v[32:35], v23 offset:16
	ds_read2_b64 v[36:39], v22 offset0:32 offset1:48
	ds_read_b128 v[40:43], v23 offset:1040
	s_add_u32 s22, s22, 8
	s_addc_u32 s23, s23, 0
	v_add_co_u32 v10, vcc_lo, v10, s6
	v_cmp_lt_i64_e64 s24, s[22:23], s[16:17]
	v_add_co_ci_u32_e64 v11, null, s7, v11, vcc_lo
	v_add_co_u32 v12, vcc_lo, v12, s20
	v_add_co_ci_u32_e64 v13, null, s21, v13, vcc_lo
	s_and_b32 vcc_lo, exec_lo, s24
	s_waitcnt lgkmcnt(4)
	v_fma_f64 v[8:9], v[24:25], v[14:15], v[8:9]
	v_fma_f64 v[6:7], v[26:27], v[14:15], v[6:7]
	s_waitcnt lgkmcnt(3)
	v_fma_f64 v[14:15], v[24:25], v[28:29], v[4:5]
	v_fma_f64 v[24:25], v[26:27], v[28:29], v[2:3]
	ds_read2_b64 v[2:5], v22 offset0:64 offset1:80
	s_waitcnt lgkmcnt(2)
	v_fma_f64 v[26:27], v[36:37], v[16:17], v[8:9]
	v_fma_f64 v[16:17], v[38:39], v[16:17], v[6:7]
	;; [unrolled: 1-line block ×4, first 2 shown]
	ds_read2_b64 v[6:9], v22 offset0:96 offset1:112
	s_waitcnt lgkmcnt(1)
	v_fma_f64 v[26:27], v[2:3], v[32:33], v[26:27]
	v_fma_f64 v[28:29], v[4:5], v[32:33], v[16:17]
	;; [unrolled: 1-line block ×4, first 2 shown]
	ds_read_b128 v[2:5], v23 offset:32
	ds_read2_b64 v[14:17], v22 offset0:128 offset1:144
	s_waitcnt lgkmcnt(2)
	v_fma_f64 v[36:37], v[6:7], v[34:35], v[26:27]
	v_fma_f64 v[38:39], v[8:9], v[34:35], v[28:29]
	;; [unrolled: 1-line block ×4, first 2 shown]
	ds_read_b128 v[6:9], v23 offset:1056
	ds_read_b128 v[24:27], v23 offset:48
	ds_read2_b64 v[28:31], v22 offset0:160 offset1:176
	ds_read_b128 v[32:35], v23 offset:1072
	s_waitcnt lgkmcnt(4)
	v_fma_f64 v[36:37], v[14:15], v[2:3], v[36:37]
	v_fma_f64 v[2:3], v[16:17], v[2:3], v[38:39]
	s_waitcnt lgkmcnt(3)
	v_fma_f64 v[38:39], v[14:15], v[6:7], v[40:41]
	v_fma_f64 v[6:7], v[16:17], v[6:7], v[42:43]
	ds_read2_b64 v[14:17], v22 offset0:192 offset1:208
	s_waitcnt lgkmcnt(2)
	v_fma_f64 v[36:37], v[28:29], v[4:5], v[36:37]
	v_fma_f64 v[2:3], v[30:31], v[4:5], v[2:3]
	;; [unrolled: 1-line block ×4, first 2 shown]
	ds_read2_b64 v[28:31], v22 offset0:224 offset1:240
	s_waitcnt lgkmcnt(0)
	s_barrier
	buffer_gl0_inv
	v_fma_f64 v[8:9], v[14:15], v[24:25], v[36:37]
	v_fma_f64 v[2:3], v[16:17], v[24:25], v[2:3]
	;; [unrolled: 1-line block ×8, first 2 shown]
	s_cbranch_vccz .LBB225_8
.LBB225_3:                              ; =>This Inner Loop Header: Depth=1
	v_add_co_u32 v14, s24, v19, s22
	v_add_co_ci_u32_e64 v15, null, 0, s23, s24
	v_cmp_gt_i64_e32 vcc_lo, s[16:17], v[14:15]
	v_mov_b32_e32 v14, 0
	v_mov_b32_e32 v15, 0
	s_and_b32 s25, s0, vcc_lo
	s_and_saveexec_b32 s24, s25
	s_cbranch_execz .LBB225_5
; %bb.4:                                ;   in Loop: Header=BB225_3 Depth=1
	flat_load_dwordx2 v[14:15], v[12:13]
.LBB225_5:                              ;   in Loop: Header=BB225_3 Depth=1
	s_or_b32 exec_lo, exec_lo, s24
	v_add_co_u32 v16, s24, v18, s22
	v_add_co_ci_u32_e64 v17, null, 0, s23, s24
	s_waitcnt vmcnt(0) lgkmcnt(0)
	ds_write_b64 v20, v[14:15]
	v_cmp_gt_i64_e32 vcc_lo, s[16:17], v[16:17]
	v_mov_b32_e32 v16, 0
	v_mov_b32_e32 v17, 0
	s_and_b32 s25, vcc_lo, s1
	s_and_saveexec_b32 s24, s25
	s_cbranch_execz .LBB225_2
; %bb.6:                                ;   in Loop: Header=BB225_3 Depth=1
	flat_load_dwordx2 v[16:17], v[10:11]
	s_branch .LBB225_2
.LBB225_7:
	v_mov_b32_e32 v8, 0
	v_mov_b32_e32 v6, 0
	v_mov_b32_e32 v4, 0
	v_mov_b32_e32 v2, 0
	v_mov_b32_e32 v9, 0
	v_mov_b32_e32 v7, 0
	v_mov_b32_e32 v5, 0
	v_mov_b32_e32 v3, 0
.LBB225_8:
	s_load_dwordx2 s[0:1], s[4:5], 0x80
	v_cmp_neq_f64_e64 s6, s[40:41], 0
	v_add_co_u32 v10, s4, s28, v1
	v_add_co_ci_u32_e64 v11, null, s29, 0, s4
	s_waitcnt lgkmcnt(0)
	s_lshl_b64 s[4:5], s[0:1], 3
	v_cmp_gt_i64_e64 s0, s[14:15], v[10:11]
	s_add_u32 s4, s2, s4
	s_addc_u32 s3, s3, s5
	s_and_b32 vcc_lo, exec_lo, s6
	s_cbranch_vccnz .LBB225_21
; %bb.9:
	s_and_saveexec_b32 s5, s0
	s_cbranch_execz .LBB225_19
; %bb.10:
	v_mul_lo_u32 v1, v11, s50
	v_mul_lo_u32 v14, v10, s51
	v_mad_u64_u32 v[12:13], null, v10, s50, 0
	v_add3_u32 v13, v13, v14, v1
	v_add_co_u32 v14, s1, s10, v0
	v_add_co_ci_u32_e64 v15, null, s11, 0, s1
	v_lshlrev_b64 v[16:17], 3, v[12:13]
	v_cmp_gt_i64_e32 vcc_lo, s[12:13], v[14:15]
	v_lshlrev_b64 v[12:13], 3, v[14:15]
	v_add_co_u32 v1, s1, s4, v16
	v_add_co_ci_u32_e64 v16, null, s3, v17, s1
	s_and_saveexec_b32 s2, vcc_lo
	s_cbranch_execz .LBB225_12
; %bb.11:
	v_mul_f64 v[17:18], s[18:19], v[8:9]
	v_add_co_u32 v19, s1, v1, v12
	v_add_co_ci_u32_e64 v20, null, v16, v13, s1
	flat_store_dwordx2 v[19:20], v[17:18]
.LBB225_12:
	s_or_b32 exec_lo, exec_lo, s2
	v_add_co_u32 v14, s1, v14, 16
	v_add_co_ci_u32_e64 v15, null, 0, v15, s1
	v_cmp_gt_i64_e64 s1, s[12:13], v[14:15]
	s_and_saveexec_b32 s6, s1
	s_cbranch_execz .LBB225_14
; %bb.13:
	v_mul_f64 v[14:15], s[18:19], v[6:7]
	v_add_co_u32 v17, s2, v1, v12
	v_add_co_ci_u32_e64 v18, null, v16, v13, s2
	flat_store_dwordx2 v[17:18], v[14:15] offset:128
.LBB225_14:
	s_or_b32 exec_lo, exec_lo, s6
	v_add_co_u32 v14, s2, v10, 16
	v_add_co_ci_u32_e64 v15, null, 0, v11, s2
	v_cmp_gt_i64_e64 s2, s[14:15], v[14:15]
	s_and_b32 exec_lo, exec_lo, s2
	s_cbranch_execz .LBB225_19
; %bb.15:
	s_lshl_b64 s[6:7], s[50:51], 7
	v_add_co_u32 v1, s2, v1, s6
	v_add_co_ci_u32_e64 v14, null, s7, v16, s2
	v_add_co_u32 v12, s2, v1, v12
	v_add_co_ci_u32_e64 v13, null, v14, v13, s2
	s_and_saveexec_b32 s2, vcc_lo
	s_cbranch_execz .LBB225_17
; %bb.16:
	v_mul_f64 v[14:15], s[18:19], v[4:5]
	flat_store_dwordx2 v[12:13], v[14:15]
.LBB225_17:
	s_or_b32 exec_lo, exec_lo, s2
	s_and_b32 exec_lo, exec_lo, s1
	s_cbranch_execz .LBB225_19
; %bb.18:
	v_mul_f64 v[14:15], s[18:19], v[2:3]
	flat_store_dwordx2 v[12:13], v[14:15] offset:128
.LBB225_19:
	s_or_b32 exec_lo, exec_lo, s5
	s_cbranch_execz .LBB225_22
.LBB225_20:
	s_endpgm
.LBB225_21:
.LBB225_22:
	s_and_saveexec_b32 s1, s0
	s_cbranch_execz .LBB225_20
; %bb.23:
	v_mul_lo_u32 v1, v11, s44
	v_mul_lo_u32 v12, v10, s45
	v_mad_u64_u32 v[14:15], null, v10, s44, 0
	v_mul_lo_u32 v18, v11, s50
	v_mul_lo_u32 v19, v10, s51
	v_mad_u64_u32 v[16:17], null, v10, s50, 0
	s_lshl_b64 s[0:1], s[46:47], 3
	v_add3_u32 v15, v15, v12, v1
	v_add_co_u32 v12, s2, s10, v0
	v_add_co_ci_u32_e64 v13, null, s11, 0, s2
	v_add3_u32 v17, v17, v19, v18
	v_lshlrev_b64 v[0:1], 3, v[14:15]
	s_add_u32 s0, s8, s0
	s_addc_u32 s1, s9, s1
	v_cmp_gt_i64_e32 vcc_lo, s[12:13], v[12:13]
	v_lshlrev_b64 v[16:17], 3, v[16:17]
	v_add_co_u32 v14, s0, s0, v0
	v_add_co_ci_u32_e64 v15, null, s1, v1, s0
	v_add_co_u32 v16, s0, s4, v16
	v_lshlrev_b64 v[0:1], 3, v[12:13]
	v_add_co_ci_u32_e64 v17, null, s3, v17, s0
	s_and_saveexec_b32 s1, vcc_lo
	s_cbranch_execz .LBB225_25
; %bb.24:
	v_add_co_u32 v18, s0, v14, v0
	v_add_co_ci_u32_e64 v19, null, v15, v1, s0
	flat_load_dwordx2 v[18:19], v[18:19]
	s_waitcnt vmcnt(0) lgkmcnt(0)
	v_mul_f64 v[18:19], s[40:41], v[18:19]
	v_fma_f64 v[8:9], s[18:19], v[8:9], v[18:19]
	v_add_co_u32 v18, s0, v16, v0
	v_add_co_ci_u32_e64 v19, null, v17, v1, s0
	flat_store_dwordx2 v[18:19], v[8:9]
.LBB225_25:
	s_or_b32 exec_lo, exec_lo, s1
	v_add_co_u32 v8, s0, v12, 16
	v_add_co_ci_u32_e64 v9, null, 0, v13, s0
	v_cmp_gt_i64_e64 s0, s[12:13], v[8:9]
	s_and_saveexec_b32 s2, s0
	s_cbranch_execz .LBB225_27
; %bb.26:
	v_add_co_u32 v8, s1, v14, v0
	v_add_co_ci_u32_e64 v9, null, v15, v1, s1
	flat_load_dwordx2 v[8:9], v[8:9] offset:128
	s_waitcnt vmcnt(0) lgkmcnt(0)
	v_mul_f64 v[8:9], s[40:41], v[8:9]
	v_fma_f64 v[6:7], s[18:19], v[6:7], v[8:9]
	v_add_co_u32 v8, s1, v16, v0
	v_add_co_ci_u32_e64 v9, null, v17, v1, s1
	flat_store_dwordx2 v[8:9], v[6:7] offset:128
.LBB225_27:
	s_or_b32 exec_lo, exec_lo, s2
	v_add_co_u32 v6, s1, v10, 16
	v_add_co_ci_u32_e64 v7, null, 0, v11, s1
	v_cmp_gt_i64_e64 s1, s[14:15], v[6:7]
	s_and_b32 exec_lo, exec_lo, s1
	s_cbranch_execz .LBB225_20
; %bb.28:
	s_lshl_b64 s[2:3], s[44:45], 7
	v_add_co_u32 v6, s1, v14, s2
	v_add_co_ci_u32_e64 v7, null, s3, v15, s1
	s_lshl_b64 s[2:3], s[50:51], 7
	v_add_co_u32 v8, s1, v16, s2
	v_add_co_ci_u32_e64 v9, null, s3, v17, s1
	v_add_co_u32 v6, s1, v6, v0
	v_add_co_ci_u32_e64 v7, null, v7, v1, s1
	;; [unrolled: 2-line block ×3, first 2 shown]
	s_and_saveexec_b32 s1, vcc_lo
	s_cbranch_execz .LBB225_30
; %bb.29:
	flat_load_dwordx2 v[8:9], v[6:7]
	s_waitcnt vmcnt(0) lgkmcnt(0)
	v_mul_f64 v[8:9], s[40:41], v[8:9]
	v_fma_f64 v[4:5], s[18:19], v[4:5], v[8:9]
	flat_store_dwordx2 v[0:1], v[4:5]
.LBB225_30:
	s_or_b32 exec_lo, exec_lo, s1
	s_and_b32 exec_lo, exec_lo, s0
	s_cbranch_execz .LBB225_20
; %bb.31:
	flat_load_dwordx2 v[4:5], v[6:7] offset:128
	s_waitcnt vmcnt(0) lgkmcnt(0)
	v_mul_f64 v[4:5], s[40:41], v[4:5]
	v_fma_f64 v[2:3], s[18:19], v[2:3], v[4:5]
	flat_store_dwordx2 v[0:1], v[2:3] offset:128
	s_endpgm
	.section	.rodata,"a",@progbits
	.p2align	6, 0x0
	.amdhsa_kernel _ZN12_GLOBAL__N_135rocblas_gemm_batched_general_kernelIdLi16ELi16ELi32ELi32ELi8ELi32ELi8ELi8ELi32ELc78ELc84EKPKdS3_KPdEEvlllT_PT11_llS8_llS6_PT12_llPT13_lli
		.amdhsa_group_segment_fixed_size 4096
		.amdhsa_private_segment_fixed_size 0
		.amdhsa_kernarg_size 140
		.amdhsa_user_sgpr_count 6
		.amdhsa_user_sgpr_private_segment_buffer 1
		.amdhsa_user_sgpr_dispatch_ptr 0
		.amdhsa_user_sgpr_queue_ptr 0
		.amdhsa_user_sgpr_kernarg_segment_ptr 1
		.amdhsa_user_sgpr_dispatch_id 0
		.amdhsa_user_sgpr_flat_scratch_init 0
		.amdhsa_user_sgpr_private_segment_size 0
		.amdhsa_wavefront_size32 1
		.amdhsa_uses_dynamic_stack 0
		.amdhsa_system_sgpr_private_segment_wavefront_offset 0
		.amdhsa_system_sgpr_workgroup_id_x 1
		.amdhsa_system_sgpr_workgroup_id_y 1
		.amdhsa_system_sgpr_workgroup_id_z 1
		.amdhsa_system_sgpr_workgroup_info 0
		.amdhsa_system_vgpr_workitem_id 1
		.amdhsa_next_free_vgpr 44
		.amdhsa_next_free_sgpr 52
		.amdhsa_reserve_vcc 1
		.amdhsa_reserve_flat_scratch 0
		.amdhsa_float_round_mode_32 0
		.amdhsa_float_round_mode_16_64 0
		.amdhsa_float_denorm_mode_32 3
		.amdhsa_float_denorm_mode_16_64 3
		.amdhsa_dx10_clamp 1
		.amdhsa_ieee_mode 1
		.amdhsa_fp16_overflow 0
		.amdhsa_workgroup_processor_mode 1
		.amdhsa_memory_ordered 1
		.amdhsa_forward_progress 1
		.amdhsa_shared_vgpr_count 0
		.amdhsa_exception_fp_ieee_invalid_op 0
		.amdhsa_exception_fp_denorm_src 0
		.amdhsa_exception_fp_ieee_div_zero 0
		.amdhsa_exception_fp_ieee_overflow 0
		.amdhsa_exception_fp_ieee_underflow 0
		.amdhsa_exception_fp_ieee_inexact 0
		.amdhsa_exception_int_div_zero 0
	.end_amdhsa_kernel
	.section	.text._ZN12_GLOBAL__N_135rocblas_gemm_batched_general_kernelIdLi16ELi16ELi32ELi32ELi8ELi32ELi8ELi8ELi32ELc78ELc84EKPKdS3_KPdEEvlllT_PT11_llS8_llS6_PT12_llPT13_lli,"axG",@progbits,_ZN12_GLOBAL__N_135rocblas_gemm_batched_general_kernelIdLi16ELi16ELi32ELi32ELi8ELi32ELi8ELi8ELi32ELc78ELc84EKPKdS3_KPdEEvlllT_PT11_llS8_llS6_PT12_llPT13_lli,comdat
.Lfunc_end225:
	.size	_ZN12_GLOBAL__N_135rocblas_gemm_batched_general_kernelIdLi16ELi16ELi32ELi32ELi8ELi32ELi8ELi8ELi32ELc78ELc84EKPKdS3_KPdEEvlllT_PT11_llS8_llS6_PT12_llPT13_lli, .Lfunc_end225-_ZN12_GLOBAL__N_135rocblas_gemm_batched_general_kernelIdLi16ELi16ELi32ELi32ELi8ELi32ELi8ELi8ELi32ELc78ELc84EKPKdS3_KPdEEvlllT_PT11_llS8_llS6_PT12_llPT13_lli
                                        ; -- End function
	.set _ZN12_GLOBAL__N_135rocblas_gemm_batched_general_kernelIdLi16ELi16ELi32ELi32ELi8ELi32ELi8ELi8ELi32ELc78ELc84EKPKdS3_KPdEEvlllT_PT11_llS8_llS6_PT12_llPT13_lli.num_vgpr, 44
	.set _ZN12_GLOBAL__N_135rocblas_gemm_batched_general_kernelIdLi16ELi16ELi32ELi32ELi8ELi32ELi8ELi8ELi32ELc78ELc84EKPKdS3_KPdEEvlllT_PT11_llS8_llS6_PT12_llPT13_lli.num_agpr, 0
	.set _ZN12_GLOBAL__N_135rocblas_gemm_batched_general_kernelIdLi16ELi16ELi32ELi32ELi8ELi32ELi8ELi8ELi32ELc78ELc84EKPKdS3_KPdEEvlllT_PT11_llS8_llS6_PT12_llPT13_lli.numbered_sgpr, 52
	.set _ZN12_GLOBAL__N_135rocblas_gemm_batched_general_kernelIdLi16ELi16ELi32ELi32ELi8ELi32ELi8ELi8ELi32ELc78ELc84EKPKdS3_KPdEEvlllT_PT11_llS8_llS6_PT12_llPT13_lli.num_named_barrier, 0
	.set _ZN12_GLOBAL__N_135rocblas_gemm_batched_general_kernelIdLi16ELi16ELi32ELi32ELi8ELi32ELi8ELi8ELi32ELc78ELc84EKPKdS3_KPdEEvlllT_PT11_llS8_llS6_PT12_llPT13_lli.private_seg_size, 0
	.set _ZN12_GLOBAL__N_135rocblas_gemm_batched_general_kernelIdLi16ELi16ELi32ELi32ELi8ELi32ELi8ELi8ELi32ELc78ELc84EKPKdS3_KPdEEvlllT_PT11_llS8_llS6_PT12_llPT13_lli.uses_vcc, 1
	.set _ZN12_GLOBAL__N_135rocblas_gemm_batched_general_kernelIdLi16ELi16ELi32ELi32ELi8ELi32ELi8ELi8ELi32ELc78ELc84EKPKdS3_KPdEEvlllT_PT11_llS8_llS6_PT12_llPT13_lli.uses_flat_scratch, 0
	.set _ZN12_GLOBAL__N_135rocblas_gemm_batched_general_kernelIdLi16ELi16ELi32ELi32ELi8ELi32ELi8ELi8ELi32ELc78ELc84EKPKdS3_KPdEEvlllT_PT11_llS8_llS6_PT12_llPT13_lli.has_dyn_sized_stack, 0
	.set _ZN12_GLOBAL__N_135rocblas_gemm_batched_general_kernelIdLi16ELi16ELi32ELi32ELi8ELi32ELi8ELi8ELi32ELc78ELc84EKPKdS3_KPdEEvlllT_PT11_llS8_llS6_PT12_llPT13_lli.has_recursion, 0
	.set _ZN12_GLOBAL__N_135rocblas_gemm_batched_general_kernelIdLi16ELi16ELi32ELi32ELi8ELi32ELi8ELi8ELi32ELc78ELc84EKPKdS3_KPdEEvlllT_PT11_llS8_llS6_PT12_llPT13_lli.has_indirect_call, 0
	.section	.AMDGPU.csdata,"",@progbits
; Kernel info:
; codeLenInByte = 2104
; TotalNumSgprs: 54
; NumVgprs: 44
; ScratchSize: 0
; MemoryBound: 0
; FloatMode: 240
; IeeeMode: 1
; LDSByteSize: 4096 bytes/workgroup (compile time only)
; SGPRBlocks: 0
; VGPRBlocks: 5
; NumSGPRsForWavesPerEU: 54
; NumVGPRsForWavesPerEU: 44
; Occupancy: 16
; WaveLimiterHint : 1
; COMPUTE_PGM_RSRC2:SCRATCH_EN: 0
; COMPUTE_PGM_RSRC2:USER_SGPR: 6
; COMPUTE_PGM_RSRC2:TRAP_HANDLER: 0
; COMPUTE_PGM_RSRC2:TGID_X_EN: 1
; COMPUTE_PGM_RSRC2:TGID_Y_EN: 1
; COMPUTE_PGM_RSRC2:TGID_Z_EN: 1
; COMPUTE_PGM_RSRC2:TIDIG_COMP_CNT: 1
	.section	.text._ZN12_GLOBAL__N_135rocblas_gemm_batched_general_kernelIdLi16ELi16ELi32ELi32ELi8ELi32ELi8ELi8ELi32ELc84ELc84EKPKdS3_KPdEEvlllT_PT11_llS8_llS6_PT12_llPT13_lli,"axG",@progbits,_ZN12_GLOBAL__N_135rocblas_gemm_batched_general_kernelIdLi16ELi16ELi32ELi32ELi8ELi32ELi8ELi8ELi32ELc84ELc84EKPKdS3_KPdEEvlllT_PT11_llS8_llS6_PT12_llPT13_lli,comdat
	.globl	_ZN12_GLOBAL__N_135rocblas_gemm_batched_general_kernelIdLi16ELi16ELi32ELi32ELi8ELi32ELi8ELi8ELi32ELc84ELc84EKPKdS3_KPdEEvlllT_PT11_llS8_llS6_PT12_llPT13_lli ; -- Begin function _ZN12_GLOBAL__N_135rocblas_gemm_batched_general_kernelIdLi16ELi16ELi32ELi32ELi8ELi32ELi8ELi8ELi32ELc84ELc84EKPKdS3_KPdEEvlllT_PT11_llS8_llS6_PT12_llPT13_lli
	.p2align	8
	.type	_ZN12_GLOBAL__N_135rocblas_gemm_batched_general_kernelIdLi16ELi16ELi32ELi32ELi8ELi32ELi8ELi8ELi32ELc84ELc84EKPKdS3_KPdEEvlllT_PT11_llS8_llS6_PT12_llPT13_lli,@function
_ZN12_GLOBAL__N_135rocblas_gemm_batched_general_kernelIdLi16ELi16ELi32ELi32ELi8ELi32ELi8ELi8ELi32ELc84ELc84EKPKdS3_KPdEEvlllT_PT11_llS8_llS6_PT12_llPT13_lli: ; @_ZN12_GLOBAL__N_135rocblas_gemm_batched_general_kernelIdLi16ELi16ELi32ELi32ELi8ELi32ELi8ELi8ELi32ELc84ELc84EKPKdS3_KPdEEvlllT_PT11_llS8_llS6_PT12_llPT13_lli
; %bb.0:
	s_clause 0x1
	s_load_dwordx16 s[36:51], s[4:5], 0x40
	s_load_dwordx16 s[12:27], s[4:5], 0x0
	s_mov_b32 s9, 0
	s_mov_b32 s28, s7
	s_lshl_b64 s[0:1], s[8:9], 3
	s_waitcnt lgkmcnt(0)
	s_add_u32 s2, s42, s0
	s_addc_u32 s3, s43, s1
	s_add_u32 s10, s48, s0
	s_addc_u32 s11, s49, s1
	s_load_dwordx2 s[8:9], s[2:3], 0x0
	s_load_dwordx2 s[2:3], s[10:11], 0x0
	v_cmp_lt_i64_e64 s10, s[16:17], 1
	s_ashr_i32 s7, s6, 31
	s_ashr_i32 s29, s28, 31
	s_lshl_b64 s[6:7], s[6:7], 5
	s_and_b32 vcc_lo, exec_lo, s10
	s_lshl_b64 s[10:11], s[28:29], 5
	s_cbranch_vccnz .LBB226_7
; %bb.1:
	v_lshl_add_u32 v8, v1, 4, v0
	v_and_b32_e32 v18, 7, v0
	s_add_u32 s26, s26, s0
	s_addc_u32 s27, s27, s1
	v_mov_b32_e32 v3, s7
	v_and_b32_e32 v9, 31, v8
	v_mad_u64_u32 v[4:5], null, s36, v18, 0
	v_lshrrev_b32_e32 v10, 3, v8
	s_add_u32 s0, s20, s0
	v_or_b32_e32 v2, s6, v9
	s_addc_u32 s1, s21, s1
	s_load_dwordx2 s[20:21], s[26:27], 0x0
	s_load_dwordx2 s[26:27], s[0:1], 0x0
	v_add_co_u32 v6, s0, v10, s10
	v_add_co_ci_u32_e64 v7, null, 0, s11, s0
	v_cmp_gt_i64_e64 s0, s[12:13], v[2:3]
	v_mov_b32_e32 v2, v5
	v_lshlrev_b32_e32 v5, 3, v18
	v_cmp_gt_i64_e64 s1, s[14:15], v[6:7]
	v_add_co_u32 v6, s30, s6, v9
	v_mad_u64_u32 v[2:3], null, s37, v18, v[2:3]
	v_lshl_or_b32 v3, v10, 6, v5
	v_add_co_ci_u32_e64 v7, null, s7, 0, s30
	v_lshlrev_b32_e32 v11, 3, v9
	v_mul_lo_u32 v9, s23, v6
	v_add_nc_u32_e32 v21, 0x800, v3
	v_mov_b32_e32 v5, v2
	v_mul_lo_u32 v7, s22, v7
	v_mad_u64_u32 v[2:3], null, s22, v6, 0
	s_lshl_b64 s[22:23], s[28:29], 8
	v_lshlrev_b64 v[4:5], 3, v[4:5]
	s_lshl_b64 s[28:29], s[38:39], 3
	v_and_b32_e32 v6, 0x1ff8, v8
	s_add_u32 s22, s28, s22
	s_addc_u32 s23, s29, s23
	v_add3_u32 v3, v3, v7, v9
	v_add_co_u32 v4, vcc_lo, s22, v4
	v_lshrrev_b32_e32 v19, 5, v8
	v_add_co_ci_u32_e64 v5, null, s23, v5, vcc_lo
	v_lshlrev_b64 v[2:3], 3, v[2:3]
	v_add_co_u32 v4, vcc_lo, v4, v6
	s_lshl_b64 s[22:23], s[24:25], 3
	v_add_co_ci_u32_e64 v5, null, 0, v5, vcc_lo
	v_add_co_u32 v2, vcc_lo, v2, s22
	v_lshlrev_b32_e32 v6, 3, v19
	v_add_co_ci_u32_e64 v3, null, s23, v3, vcc_lo
	s_waitcnt lgkmcnt(0)
	v_add_co_u32 v10, vcc_lo, s20, v4
	v_lshl_or_b32 v20, v19, 8, v11
	v_add_co_ci_u32_e64 v11, null, s21, v5, vcc_lo
	v_add_co_u32 v12, vcc_lo, v2, v6
	v_add_co_ci_u32_e64 v13, null, 0, v3, vcc_lo
	v_mov_b32_e32 v2, 0
	v_add_co_u32 v12, vcc_lo, s26, v12
	v_mov_b32_e32 v4, 0
	v_mov_b32_e32 v6, 0
	;; [unrolled: 1-line block ×3, first 2 shown]
	v_lshlrev_b32_e32 v22, 3, v0
	v_lshl_add_u32 v23, v1, 6, 0x800
	v_mov_b32_e32 v3, 0
	v_mov_b32_e32 v5, 0
	;; [unrolled: 1-line block ×4, first 2 shown]
	v_add_co_ci_u32_e64 v13, null, s27, v13, vcc_lo
	s_lshl_b64 s[20:21], s[36:37], 6
	s_mov_b64 s[22:23], 0
	s_branch .LBB226_3
.LBB226_2:                              ;   in Loop: Header=BB226_3 Depth=1
	s_or_b32 exec_lo, exec_lo, s24
	s_waitcnt vmcnt(0) lgkmcnt(0)
	ds_write_b64 v21, v[16:17]
	s_waitcnt lgkmcnt(0)
	s_barrier
	buffer_gl0_inv
	ds_read_b128 v[14:17], v23
	ds_read2_b64 v[24:27], v22 offset1:16
	ds_read_b128 v[28:31], v23 offset:1024
	ds_read_b128 v[32:35], v23 offset:16
	ds_read2_b64 v[36:39], v22 offset0:32 offset1:48
	ds_read_b128 v[40:43], v23 offset:1040
	s_add_u32 s22, s22, 8
	s_addc_u32 s23, s23, 0
	v_add_co_u32 v10, vcc_lo, v10, s20
	v_cmp_lt_i64_e64 s24, s[22:23], s[16:17]
	v_add_co_ci_u32_e64 v11, null, s21, v11, vcc_lo
	v_add_co_u32 v12, vcc_lo, v12, 64
	v_add_co_ci_u32_e64 v13, null, 0, v13, vcc_lo
	s_and_b32 vcc_lo, exec_lo, s24
	s_waitcnt lgkmcnt(4)
	v_fma_f64 v[8:9], v[24:25], v[14:15], v[8:9]
	v_fma_f64 v[6:7], v[26:27], v[14:15], v[6:7]
	s_waitcnt lgkmcnt(3)
	v_fma_f64 v[14:15], v[24:25], v[28:29], v[4:5]
	v_fma_f64 v[24:25], v[26:27], v[28:29], v[2:3]
	ds_read2_b64 v[2:5], v22 offset0:64 offset1:80
	s_waitcnt lgkmcnt(2)
	v_fma_f64 v[26:27], v[36:37], v[16:17], v[8:9]
	v_fma_f64 v[16:17], v[38:39], v[16:17], v[6:7]
	v_fma_f64 v[14:15], v[36:37], v[30:31], v[14:15]
	v_fma_f64 v[24:25], v[38:39], v[30:31], v[24:25]
	ds_read2_b64 v[6:9], v22 offset0:96 offset1:112
	s_waitcnt lgkmcnt(1)
	v_fma_f64 v[26:27], v[2:3], v[32:33], v[26:27]
	v_fma_f64 v[28:29], v[4:5], v[32:33], v[16:17]
	;; [unrolled: 1-line block ×4, first 2 shown]
	ds_read_b128 v[2:5], v23 offset:32
	ds_read2_b64 v[14:17], v22 offset0:128 offset1:144
	s_waitcnt lgkmcnt(2)
	v_fma_f64 v[36:37], v[6:7], v[34:35], v[26:27]
	v_fma_f64 v[38:39], v[8:9], v[34:35], v[28:29]
	v_fma_f64 v[40:41], v[6:7], v[42:43], v[30:31]
	v_fma_f64 v[42:43], v[8:9], v[42:43], v[24:25]
	ds_read_b128 v[6:9], v23 offset:1056
	ds_read_b128 v[24:27], v23 offset:48
	ds_read2_b64 v[28:31], v22 offset0:160 offset1:176
	ds_read_b128 v[32:35], v23 offset:1072
	s_waitcnt lgkmcnt(4)
	v_fma_f64 v[36:37], v[14:15], v[2:3], v[36:37]
	v_fma_f64 v[2:3], v[16:17], v[2:3], v[38:39]
	s_waitcnt lgkmcnt(3)
	v_fma_f64 v[38:39], v[14:15], v[6:7], v[40:41]
	v_fma_f64 v[6:7], v[16:17], v[6:7], v[42:43]
	ds_read2_b64 v[14:17], v22 offset0:192 offset1:208
	s_waitcnt lgkmcnt(2)
	v_fma_f64 v[36:37], v[28:29], v[4:5], v[36:37]
	v_fma_f64 v[2:3], v[30:31], v[4:5], v[2:3]
	;; [unrolled: 1-line block ×4, first 2 shown]
	ds_read2_b64 v[28:31], v22 offset0:224 offset1:240
	s_waitcnt lgkmcnt(0)
	s_barrier
	buffer_gl0_inv
	v_fma_f64 v[8:9], v[14:15], v[24:25], v[36:37]
	v_fma_f64 v[2:3], v[16:17], v[24:25], v[2:3]
	;; [unrolled: 1-line block ×8, first 2 shown]
	s_cbranch_vccz .LBB226_8
.LBB226_3:                              ; =>This Inner Loop Header: Depth=1
	v_add_co_u32 v14, s24, v19, s22
	v_add_co_ci_u32_e64 v15, null, 0, s23, s24
	v_cmp_gt_i64_e32 vcc_lo, s[16:17], v[14:15]
	v_mov_b32_e32 v14, 0
	v_mov_b32_e32 v15, 0
	s_and_b32 s25, s0, vcc_lo
	s_and_saveexec_b32 s24, s25
	s_cbranch_execz .LBB226_5
; %bb.4:                                ;   in Loop: Header=BB226_3 Depth=1
	flat_load_dwordx2 v[14:15], v[12:13]
.LBB226_5:                              ;   in Loop: Header=BB226_3 Depth=1
	s_or_b32 exec_lo, exec_lo, s24
	v_add_co_u32 v16, s24, v18, s22
	v_add_co_ci_u32_e64 v17, null, 0, s23, s24
	s_waitcnt vmcnt(0) lgkmcnt(0)
	ds_write_b64 v20, v[14:15]
	v_cmp_gt_i64_e32 vcc_lo, s[16:17], v[16:17]
	v_mov_b32_e32 v16, 0
	v_mov_b32_e32 v17, 0
	s_and_b32 s25, vcc_lo, s1
	s_and_saveexec_b32 s24, s25
	s_cbranch_execz .LBB226_2
; %bb.6:                                ;   in Loop: Header=BB226_3 Depth=1
	flat_load_dwordx2 v[16:17], v[10:11]
	s_branch .LBB226_2
.LBB226_7:
	v_mov_b32_e32 v8, 0
	v_mov_b32_e32 v6, 0
	;; [unrolled: 1-line block ×8, first 2 shown]
.LBB226_8:
	s_load_dwordx2 s[0:1], s[4:5], 0x80
	v_cmp_neq_f64_e64 s16, s[40:41], 0
	v_add_co_u32 v10, s4, s10, v1
	v_add_co_ci_u32_e64 v11, null, s11, 0, s4
	s_waitcnt lgkmcnt(0)
	s_lshl_b64 s[4:5], s[0:1], 3
	v_cmp_gt_i64_e64 s0, s[14:15], v[10:11]
	s_add_u32 s4, s2, s4
	s_addc_u32 s3, s3, s5
	s_and_b32 vcc_lo, exec_lo, s16
	s_cbranch_vccnz .LBB226_21
; %bb.9:
	s_and_saveexec_b32 s5, s0
	s_cbranch_execz .LBB226_19
; %bb.10:
	v_mul_lo_u32 v1, v11, s50
	v_mul_lo_u32 v14, v10, s51
	v_mad_u64_u32 v[12:13], null, v10, s50, 0
	v_add3_u32 v13, v13, v14, v1
	v_add_co_u32 v14, s1, s6, v0
	v_add_co_ci_u32_e64 v15, null, s7, 0, s1
	v_lshlrev_b64 v[16:17], 3, v[12:13]
	v_cmp_gt_i64_e32 vcc_lo, s[12:13], v[14:15]
	v_lshlrev_b64 v[12:13], 3, v[14:15]
	v_add_co_u32 v1, s1, s4, v16
	v_add_co_ci_u32_e64 v16, null, s3, v17, s1
	s_and_saveexec_b32 s2, vcc_lo
	s_cbranch_execz .LBB226_12
; %bb.11:
	v_mul_f64 v[17:18], s[18:19], v[8:9]
	v_add_co_u32 v19, s1, v1, v12
	v_add_co_ci_u32_e64 v20, null, v16, v13, s1
	flat_store_dwordx2 v[19:20], v[17:18]
.LBB226_12:
	s_or_b32 exec_lo, exec_lo, s2
	v_add_co_u32 v14, s1, v14, 16
	v_add_co_ci_u32_e64 v15, null, 0, v15, s1
	v_cmp_gt_i64_e64 s1, s[12:13], v[14:15]
	s_and_saveexec_b32 s10, s1
	s_cbranch_execz .LBB226_14
; %bb.13:
	v_mul_f64 v[14:15], s[18:19], v[6:7]
	v_add_co_u32 v17, s2, v1, v12
	v_add_co_ci_u32_e64 v18, null, v16, v13, s2
	flat_store_dwordx2 v[17:18], v[14:15] offset:128
.LBB226_14:
	s_or_b32 exec_lo, exec_lo, s10
	v_add_co_u32 v14, s2, v10, 16
	v_add_co_ci_u32_e64 v15, null, 0, v11, s2
	v_cmp_gt_i64_e64 s2, s[14:15], v[14:15]
	s_and_b32 exec_lo, exec_lo, s2
	s_cbranch_execz .LBB226_19
; %bb.15:
	s_lshl_b64 s[10:11], s[50:51], 7
	v_add_co_u32 v1, s2, v1, s10
	v_add_co_ci_u32_e64 v14, null, s11, v16, s2
	v_add_co_u32 v12, s2, v1, v12
	v_add_co_ci_u32_e64 v13, null, v14, v13, s2
	s_and_saveexec_b32 s2, vcc_lo
	s_cbranch_execz .LBB226_17
; %bb.16:
	v_mul_f64 v[14:15], s[18:19], v[4:5]
	flat_store_dwordx2 v[12:13], v[14:15]
.LBB226_17:
	s_or_b32 exec_lo, exec_lo, s2
	s_and_b32 exec_lo, exec_lo, s1
	s_cbranch_execz .LBB226_19
; %bb.18:
	v_mul_f64 v[14:15], s[18:19], v[2:3]
	flat_store_dwordx2 v[12:13], v[14:15] offset:128
.LBB226_19:
	s_or_b32 exec_lo, exec_lo, s5
	s_cbranch_execz .LBB226_22
.LBB226_20:
	s_endpgm
.LBB226_21:
.LBB226_22:
	s_and_saveexec_b32 s1, s0
	s_cbranch_execz .LBB226_20
; %bb.23:
	v_mul_lo_u32 v1, v11, s44
	v_mul_lo_u32 v12, v10, s45
	v_mad_u64_u32 v[14:15], null, v10, s44, 0
	v_mul_lo_u32 v18, v11, s50
	v_mul_lo_u32 v19, v10, s51
	v_mad_u64_u32 v[16:17], null, v10, s50, 0
	s_lshl_b64 s[0:1], s[46:47], 3
	v_add3_u32 v15, v15, v12, v1
	v_add_co_u32 v12, s2, s6, v0
	v_add_co_ci_u32_e64 v13, null, s7, 0, s2
	v_add3_u32 v17, v17, v19, v18
	v_lshlrev_b64 v[0:1], 3, v[14:15]
	s_add_u32 s0, s8, s0
	s_addc_u32 s1, s9, s1
	v_cmp_gt_i64_e32 vcc_lo, s[12:13], v[12:13]
	v_lshlrev_b64 v[16:17], 3, v[16:17]
	v_add_co_u32 v14, s0, s0, v0
	v_add_co_ci_u32_e64 v15, null, s1, v1, s0
	v_add_co_u32 v16, s0, s4, v16
	v_lshlrev_b64 v[0:1], 3, v[12:13]
	v_add_co_ci_u32_e64 v17, null, s3, v17, s0
	s_and_saveexec_b32 s1, vcc_lo
	s_cbranch_execz .LBB226_25
; %bb.24:
	v_add_co_u32 v18, s0, v14, v0
	v_add_co_ci_u32_e64 v19, null, v15, v1, s0
	flat_load_dwordx2 v[18:19], v[18:19]
	s_waitcnt vmcnt(0) lgkmcnt(0)
	v_mul_f64 v[18:19], s[40:41], v[18:19]
	v_fma_f64 v[8:9], s[18:19], v[8:9], v[18:19]
	v_add_co_u32 v18, s0, v16, v0
	v_add_co_ci_u32_e64 v19, null, v17, v1, s0
	flat_store_dwordx2 v[18:19], v[8:9]
.LBB226_25:
	s_or_b32 exec_lo, exec_lo, s1
	v_add_co_u32 v8, s0, v12, 16
	v_add_co_ci_u32_e64 v9, null, 0, v13, s0
	v_cmp_gt_i64_e64 s0, s[12:13], v[8:9]
	s_and_saveexec_b32 s2, s0
	s_cbranch_execz .LBB226_27
; %bb.26:
	v_add_co_u32 v8, s1, v14, v0
	v_add_co_ci_u32_e64 v9, null, v15, v1, s1
	flat_load_dwordx2 v[8:9], v[8:9] offset:128
	s_waitcnt vmcnt(0) lgkmcnt(0)
	v_mul_f64 v[8:9], s[40:41], v[8:9]
	v_fma_f64 v[6:7], s[18:19], v[6:7], v[8:9]
	v_add_co_u32 v8, s1, v16, v0
	v_add_co_ci_u32_e64 v9, null, v17, v1, s1
	flat_store_dwordx2 v[8:9], v[6:7] offset:128
.LBB226_27:
	s_or_b32 exec_lo, exec_lo, s2
	v_add_co_u32 v6, s1, v10, 16
	v_add_co_ci_u32_e64 v7, null, 0, v11, s1
	v_cmp_gt_i64_e64 s1, s[14:15], v[6:7]
	s_and_b32 exec_lo, exec_lo, s1
	s_cbranch_execz .LBB226_20
; %bb.28:
	s_lshl_b64 s[2:3], s[44:45], 7
	v_add_co_u32 v6, s1, v14, s2
	v_add_co_ci_u32_e64 v7, null, s3, v15, s1
	s_lshl_b64 s[2:3], s[50:51], 7
	v_add_co_u32 v8, s1, v16, s2
	v_add_co_ci_u32_e64 v9, null, s3, v17, s1
	v_add_co_u32 v6, s1, v6, v0
	v_add_co_ci_u32_e64 v7, null, v7, v1, s1
	;; [unrolled: 2-line block ×3, first 2 shown]
	s_and_saveexec_b32 s1, vcc_lo
	s_cbranch_execz .LBB226_30
; %bb.29:
	flat_load_dwordx2 v[8:9], v[6:7]
	s_waitcnt vmcnt(0) lgkmcnt(0)
	v_mul_f64 v[8:9], s[40:41], v[8:9]
	v_fma_f64 v[4:5], s[18:19], v[4:5], v[8:9]
	flat_store_dwordx2 v[0:1], v[4:5]
.LBB226_30:
	s_or_b32 exec_lo, exec_lo, s1
	s_and_b32 exec_lo, exec_lo, s0
	s_cbranch_execz .LBB226_20
; %bb.31:
	flat_load_dwordx2 v[4:5], v[6:7] offset:128
	s_waitcnt vmcnt(0) lgkmcnt(0)
	v_mul_f64 v[4:5], s[40:41], v[4:5]
	v_fma_f64 v[2:3], s[18:19], v[2:3], v[4:5]
	flat_store_dwordx2 v[0:1], v[2:3] offset:128
	s_endpgm
	.section	.rodata,"a",@progbits
	.p2align	6, 0x0
	.amdhsa_kernel _ZN12_GLOBAL__N_135rocblas_gemm_batched_general_kernelIdLi16ELi16ELi32ELi32ELi8ELi32ELi8ELi8ELi32ELc84ELc84EKPKdS3_KPdEEvlllT_PT11_llS8_llS6_PT12_llPT13_lli
		.amdhsa_group_segment_fixed_size 4096
		.amdhsa_private_segment_fixed_size 0
		.amdhsa_kernarg_size 140
		.amdhsa_user_sgpr_count 6
		.amdhsa_user_sgpr_private_segment_buffer 1
		.amdhsa_user_sgpr_dispatch_ptr 0
		.amdhsa_user_sgpr_queue_ptr 0
		.amdhsa_user_sgpr_kernarg_segment_ptr 1
		.amdhsa_user_sgpr_dispatch_id 0
		.amdhsa_user_sgpr_flat_scratch_init 0
		.amdhsa_user_sgpr_private_segment_size 0
		.amdhsa_wavefront_size32 1
		.amdhsa_uses_dynamic_stack 0
		.amdhsa_system_sgpr_private_segment_wavefront_offset 0
		.amdhsa_system_sgpr_workgroup_id_x 1
		.amdhsa_system_sgpr_workgroup_id_y 1
		.amdhsa_system_sgpr_workgroup_id_z 1
		.amdhsa_system_sgpr_workgroup_info 0
		.amdhsa_system_vgpr_workitem_id 1
		.amdhsa_next_free_vgpr 44
		.amdhsa_next_free_sgpr 52
		.amdhsa_reserve_vcc 1
		.amdhsa_reserve_flat_scratch 0
		.amdhsa_float_round_mode_32 0
		.amdhsa_float_round_mode_16_64 0
		.amdhsa_float_denorm_mode_32 3
		.amdhsa_float_denorm_mode_16_64 3
		.amdhsa_dx10_clamp 1
		.amdhsa_ieee_mode 1
		.amdhsa_fp16_overflow 0
		.amdhsa_workgroup_processor_mode 1
		.amdhsa_memory_ordered 1
		.amdhsa_forward_progress 1
		.amdhsa_shared_vgpr_count 0
		.amdhsa_exception_fp_ieee_invalid_op 0
		.amdhsa_exception_fp_denorm_src 0
		.amdhsa_exception_fp_ieee_div_zero 0
		.amdhsa_exception_fp_ieee_overflow 0
		.amdhsa_exception_fp_ieee_underflow 0
		.amdhsa_exception_fp_ieee_inexact 0
		.amdhsa_exception_int_div_zero 0
	.end_amdhsa_kernel
	.section	.text._ZN12_GLOBAL__N_135rocblas_gemm_batched_general_kernelIdLi16ELi16ELi32ELi32ELi8ELi32ELi8ELi8ELi32ELc84ELc84EKPKdS3_KPdEEvlllT_PT11_llS8_llS6_PT12_llPT13_lli,"axG",@progbits,_ZN12_GLOBAL__N_135rocblas_gemm_batched_general_kernelIdLi16ELi16ELi32ELi32ELi8ELi32ELi8ELi8ELi32ELc84ELc84EKPKdS3_KPdEEvlllT_PT11_llS8_llS6_PT12_llPT13_lli,comdat
.Lfunc_end226:
	.size	_ZN12_GLOBAL__N_135rocblas_gemm_batched_general_kernelIdLi16ELi16ELi32ELi32ELi8ELi32ELi8ELi8ELi32ELc84ELc84EKPKdS3_KPdEEvlllT_PT11_llS8_llS6_PT12_llPT13_lli, .Lfunc_end226-_ZN12_GLOBAL__N_135rocblas_gemm_batched_general_kernelIdLi16ELi16ELi32ELi32ELi8ELi32ELi8ELi8ELi32ELc84ELc84EKPKdS3_KPdEEvlllT_PT11_llS8_llS6_PT12_llPT13_lli
                                        ; -- End function
	.set _ZN12_GLOBAL__N_135rocblas_gemm_batched_general_kernelIdLi16ELi16ELi32ELi32ELi8ELi32ELi8ELi8ELi32ELc84ELc84EKPKdS3_KPdEEvlllT_PT11_llS8_llS6_PT12_llPT13_lli.num_vgpr, 44
	.set _ZN12_GLOBAL__N_135rocblas_gemm_batched_general_kernelIdLi16ELi16ELi32ELi32ELi8ELi32ELi8ELi8ELi32ELc84ELc84EKPKdS3_KPdEEvlllT_PT11_llS8_llS6_PT12_llPT13_lli.num_agpr, 0
	.set _ZN12_GLOBAL__N_135rocblas_gemm_batched_general_kernelIdLi16ELi16ELi32ELi32ELi8ELi32ELi8ELi8ELi32ELc84ELc84EKPKdS3_KPdEEvlllT_PT11_llS8_llS6_PT12_llPT13_lli.numbered_sgpr, 52
	.set _ZN12_GLOBAL__N_135rocblas_gemm_batched_general_kernelIdLi16ELi16ELi32ELi32ELi8ELi32ELi8ELi8ELi32ELc84ELc84EKPKdS3_KPdEEvlllT_PT11_llS8_llS6_PT12_llPT13_lli.num_named_barrier, 0
	.set _ZN12_GLOBAL__N_135rocblas_gemm_batched_general_kernelIdLi16ELi16ELi32ELi32ELi8ELi32ELi8ELi8ELi32ELc84ELc84EKPKdS3_KPdEEvlllT_PT11_llS8_llS6_PT12_llPT13_lli.private_seg_size, 0
	.set _ZN12_GLOBAL__N_135rocblas_gemm_batched_general_kernelIdLi16ELi16ELi32ELi32ELi8ELi32ELi8ELi8ELi32ELc84ELc84EKPKdS3_KPdEEvlllT_PT11_llS8_llS6_PT12_llPT13_lli.uses_vcc, 1
	.set _ZN12_GLOBAL__N_135rocblas_gemm_batched_general_kernelIdLi16ELi16ELi32ELi32ELi8ELi32ELi8ELi8ELi32ELc84ELc84EKPKdS3_KPdEEvlllT_PT11_llS8_llS6_PT12_llPT13_lli.uses_flat_scratch, 0
	.set _ZN12_GLOBAL__N_135rocblas_gemm_batched_general_kernelIdLi16ELi16ELi32ELi32ELi8ELi32ELi8ELi8ELi32ELc84ELc84EKPKdS3_KPdEEvlllT_PT11_llS8_llS6_PT12_llPT13_lli.has_dyn_sized_stack, 0
	.set _ZN12_GLOBAL__N_135rocblas_gemm_batched_general_kernelIdLi16ELi16ELi32ELi32ELi8ELi32ELi8ELi8ELi32ELc84ELc84EKPKdS3_KPdEEvlllT_PT11_llS8_llS6_PT12_llPT13_lli.has_recursion, 0
	.set _ZN12_GLOBAL__N_135rocblas_gemm_batched_general_kernelIdLi16ELi16ELi32ELi32ELi8ELi32ELi8ELi8ELi32ELc84ELc84EKPKdS3_KPdEEvlllT_PT11_llS8_llS6_PT12_llPT13_lli.has_indirect_call, 0
	.section	.AMDGPU.csdata,"",@progbits
; Kernel info:
; codeLenInByte = 2120
; TotalNumSgprs: 54
; NumVgprs: 44
; ScratchSize: 0
; MemoryBound: 0
; FloatMode: 240
; IeeeMode: 1
; LDSByteSize: 4096 bytes/workgroup (compile time only)
; SGPRBlocks: 0
; VGPRBlocks: 5
; NumSGPRsForWavesPerEU: 54
; NumVGPRsForWavesPerEU: 44
; Occupancy: 16
; WaveLimiterHint : 1
; COMPUTE_PGM_RSRC2:SCRATCH_EN: 0
; COMPUTE_PGM_RSRC2:USER_SGPR: 6
; COMPUTE_PGM_RSRC2:TRAP_HANDLER: 0
; COMPUTE_PGM_RSRC2:TGID_X_EN: 1
; COMPUTE_PGM_RSRC2:TGID_Y_EN: 1
; COMPUTE_PGM_RSRC2:TGID_Z_EN: 1
; COMPUTE_PGM_RSRC2:TIDIG_COMP_CNT: 1
	.section	.text._ZN12_GLOBAL__N_135rocblas_gemm_batched_general_kernelIdLi16ELi16ELi32ELi32ELi8ELi32ELi8ELi8ELi32ELc67ELc67EKPKdS3_KPdEEvlllT_PT11_llS8_llS6_PT12_llPT13_lli,"axG",@progbits,_ZN12_GLOBAL__N_135rocblas_gemm_batched_general_kernelIdLi16ELi16ELi32ELi32ELi8ELi32ELi8ELi8ELi32ELc67ELc67EKPKdS3_KPdEEvlllT_PT11_llS8_llS6_PT12_llPT13_lli,comdat
	.globl	_ZN12_GLOBAL__N_135rocblas_gemm_batched_general_kernelIdLi16ELi16ELi32ELi32ELi8ELi32ELi8ELi8ELi32ELc67ELc67EKPKdS3_KPdEEvlllT_PT11_llS8_llS6_PT12_llPT13_lli ; -- Begin function _ZN12_GLOBAL__N_135rocblas_gemm_batched_general_kernelIdLi16ELi16ELi32ELi32ELi8ELi32ELi8ELi8ELi32ELc67ELc67EKPKdS3_KPdEEvlllT_PT11_llS8_llS6_PT12_llPT13_lli
	.p2align	8
	.type	_ZN12_GLOBAL__N_135rocblas_gemm_batched_general_kernelIdLi16ELi16ELi32ELi32ELi8ELi32ELi8ELi8ELi32ELc67ELc67EKPKdS3_KPdEEvlllT_PT11_llS8_llS6_PT12_llPT13_lli,@function
_ZN12_GLOBAL__N_135rocblas_gemm_batched_general_kernelIdLi16ELi16ELi32ELi32ELi8ELi32ELi8ELi8ELi32ELc67ELc67EKPKdS3_KPdEEvlllT_PT11_llS8_llS6_PT12_llPT13_lli: ; @_ZN12_GLOBAL__N_135rocblas_gemm_batched_general_kernelIdLi16ELi16ELi32ELi32ELi8ELi32ELi8ELi8ELi32ELc67ELc67EKPKdS3_KPdEEvlllT_PT11_llS8_llS6_PT12_llPT13_lli
; %bb.0:
	s_clause 0x1
	s_load_dwordx16 s[36:51], s[4:5], 0x40
	s_load_dwordx16 s[12:27], s[4:5], 0x0
	s_mov_b32 s9, 0
	s_mov_b32 s28, s7
	s_lshl_b64 s[0:1], s[8:9], 3
	s_waitcnt lgkmcnt(0)
	s_add_u32 s2, s42, s0
	s_addc_u32 s3, s43, s1
	s_add_u32 s10, s48, s0
	s_addc_u32 s11, s49, s1
	s_load_dwordx2 s[8:9], s[2:3], 0x0
	s_load_dwordx2 s[2:3], s[10:11], 0x0
	v_cmp_lt_i64_e64 s10, s[16:17], 1
	s_ashr_i32 s7, s6, 31
	s_ashr_i32 s29, s28, 31
	s_lshl_b64 s[6:7], s[6:7], 5
	s_and_b32 vcc_lo, exec_lo, s10
	s_lshl_b64 s[10:11], s[28:29], 5
	s_cbranch_vccnz .LBB227_7
; %bb.1:
	v_lshl_add_u32 v8, v1, 4, v0
	v_and_b32_e32 v18, 7, v0
	s_add_u32 s26, s26, s0
	s_addc_u32 s27, s27, s1
	v_mov_b32_e32 v3, s7
	v_and_b32_e32 v9, 31, v8
	v_mad_u64_u32 v[4:5], null, s36, v18, 0
	v_lshrrev_b32_e32 v10, 3, v8
	s_add_u32 s0, s20, s0
	v_or_b32_e32 v2, s6, v9
	s_addc_u32 s1, s21, s1
	s_load_dwordx2 s[20:21], s[26:27], 0x0
	s_load_dwordx2 s[26:27], s[0:1], 0x0
	v_add_co_u32 v6, s0, v10, s10
	v_add_co_ci_u32_e64 v7, null, 0, s11, s0
	v_cmp_gt_i64_e64 s0, s[12:13], v[2:3]
	v_mov_b32_e32 v2, v5
	v_lshlrev_b32_e32 v5, 3, v18
	v_cmp_gt_i64_e64 s1, s[14:15], v[6:7]
	v_add_co_u32 v6, s30, s6, v9
	v_mad_u64_u32 v[2:3], null, s37, v18, v[2:3]
	v_lshl_or_b32 v3, v10, 6, v5
	v_add_co_ci_u32_e64 v7, null, s7, 0, s30
	v_lshlrev_b32_e32 v11, 3, v9
	v_mul_lo_u32 v9, s23, v6
	v_add_nc_u32_e32 v21, 0x800, v3
	v_mov_b32_e32 v5, v2
	v_mul_lo_u32 v7, s22, v7
	v_mad_u64_u32 v[2:3], null, s22, v6, 0
	s_lshl_b64 s[22:23], s[28:29], 8
	v_lshlrev_b64 v[4:5], 3, v[4:5]
	s_lshl_b64 s[28:29], s[38:39], 3
	v_and_b32_e32 v6, 0x1ff8, v8
	s_add_u32 s22, s28, s22
	s_addc_u32 s23, s29, s23
	v_add3_u32 v3, v3, v7, v9
	v_add_co_u32 v4, vcc_lo, s22, v4
	v_lshrrev_b32_e32 v19, 5, v8
	v_add_co_ci_u32_e64 v5, null, s23, v5, vcc_lo
	v_lshlrev_b64 v[2:3], 3, v[2:3]
	v_add_co_u32 v4, vcc_lo, v4, v6
	s_lshl_b64 s[22:23], s[24:25], 3
	v_add_co_ci_u32_e64 v5, null, 0, v5, vcc_lo
	v_add_co_u32 v2, vcc_lo, v2, s22
	v_lshlrev_b32_e32 v6, 3, v19
	v_add_co_ci_u32_e64 v3, null, s23, v3, vcc_lo
	s_waitcnt lgkmcnt(0)
	v_add_co_u32 v10, vcc_lo, s20, v4
	v_lshl_or_b32 v20, v19, 8, v11
	v_add_co_ci_u32_e64 v11, null, s21, v5, vcc_lo
	v_add_co_u32 v12, vcc_lo, v2, v6
	v_add_co_ci_u32_e64 v13, null, 0, v3, vcc_lo
	v_mov_b32_e32 v2, 0
	v_add_co_u32 v12, vcc_lo, s26, v12
	v_mov_b32_e32 v4, 0
	v_mov_b32_e32 v6, 0
	;; [unrolled: 1-line block ×3, first 2 shown]
	v_lshlrev_b32_e32 v22, 3, v0
	v_lshl_add_u32 v23, v1, 6, 0x800
	v_mov_b32_e32 v3, 0
	v_mov_b32_e32 v5, 0
	;; [unrolled: 1-line block ×4, first 2 shown]
	v_add_co_ci_u32_e64 v13, null, s27, v13, vcc_lo
	s_lshl_b64 s[20:21], s[36:37], 6
	s_mov_b64 s[22:23], 0
	s_branch .LBB227_3
.LBB227_2:                              ;   in Loop: Header=BB227_3 Depth=1
	s_or_b32 exec_lo, exec_lo, s24
	s_waitcnt vmcnt(0) lgkmcnt(0)
	ds_write_b64 v21, v[16:17]
	s_waitcnt lgkmcnt(0)
	s_barrier
	buffer_gl0_inv
	ds_read_b128 v[14:17], v23
	ds_read2_b64 v[24:27], v22 offset1:16
	ds_read_b128 v[28:31], v23 offset:1024
	ds_read_b128 v[32:35], v23 offset:16
	ds_read2_b64 v[36:39], v22 offset0:32 offset1:48
	ds_read_b128 v[40:43], v23 offset:1040
	s_add_u32 s22, s22, 8
	s_addc_u32 s23, s23, 0
	v_add_co_u32 v10, vcc_lo, v10, s20
	v_cmp_lt_i64_e64 s24, s[22:23], s[16:17]
	v_add_co_ci_u32_e64 v11, null, s21, v11, vcc_lo
	v_add_co_u32 v12, vcc_lo, v12, 64
	v_add_co_ci_u32_e64 v13, null, 0, v13, vcc_lo
	s_and_b32 vcc_lo, exec_lo, s24
	s_waitcnt lgkmcnt(4)
	v_fma_f64 v[8:9], v[24:25], v[14:15], v[8:9]
	v_fma_f64 v[6:7], v[26:27], v[14:15], v[6:7]
	s_waitcnt lgkmcnt(3)
	v_fma_f64 v[14:15], v[24:25], v[28:29], v[4:5]
	v_fma_f64 v[24:25], v[26:27], v[28:29], v[2:3]
	ds_read2_b64 v[2:5], v22 offset0:64 offset1:80
	s_waitcnt lgkmcnt(2)
	v_fma_f64 v[26:27], v[36:37], v[16:17], v[8:9]
	v_fma_f64 v[16:17], v[38:39], v[16:17], v[6:7]
	;; [unrolled: 1-line block ×4, first 2 shown]
	ds_read2_b64 v[6:9], v22 offset0:96 offset1:112
	s_waitcnt lgkmcnt(1)
	v_fma_f64 v[26:27], v[2:3], v[32:33], v[26:27]
	v_fma_f64 v[28:29], v[4:5], v[32:33], v[16:17]
	;; [unrolled: 1-line block ×4, first 2 shown]
	ds_read_b128 v[2:5], v23 offset:32
	ds_read2_b64 v[14:17], v22 offset0:128 offset1:144
	s_waitcnt lgkmcnt(2)
	v_fma_f64 v[36:37], v[6:7], v[34:35], v[26:27]
	v_fma_f64 v[38:39], v[8:9], v[34:35], v[28:29]
	;; [unrolled: 1-line block ×4, first 2 shown]
	ds_read_b128 v[6:9], v23 offset:1056
	ds_read_b128 v[24:27], v23 offset:48
	ds_read2_b64 v[28:31], v22 offset0:160 offset1:176
	ds_read_b128 v[32:35], v23 offset:1072
	s_waitcnt lgkmcnt(4)
	v_fma_f64 v[36:37], v[14:15], v[2:3], v[36:37]
	v_fma_f64 v[2:3], v[16:17], v[2:3], v[38:39]
	s_waitcnt lgkmcnt(3)
	v_fma_f64 v[38:39], v[14:15], v[6:7], v[40:41]
	v_fma_f64 v[6:7], v[16:17], v[6:7], v[42:43]
	ds_read2_b64 v[14:17], v22 offset0:192 offset1:208
	s_waitcnt lgkmcnt(2)
	v_fma_f64 v[36:37], v[28:29], v[4:5], v[36:37]
	v_fma_f64 v[2:3], v[30:31], v[4:5], v[2:3]
	;; [unrolled: 1-line block ×4, first 2 shown]
	ds_read2_b64 v[28:31], v22 offset0:224 offset1:240
	s_waitcnt lgkmcnt(0)
	s_barrier
	buffer_gl0_inv
	v_fma_f64 v[8:9], v[14:15], v[24:25], v[36:37]
	v_fma_f64 v[2:3], v[16:17], v[24:25], v[2:3]
	v_fma_f64 v[4:5], v[14:15], v[32:33], v[4:5]
	v_fma_f64 v[14:15], v[16:17], v[32:33], v[6:7]
	v_fma_f64 v[8:9], v[28:29], v[26:27], v[8:9]
	v_fma_f64 v[6:7], v[30:31], v[26:27], v[2:3]
	v_fma_f64 v[4:5], v[28:29], v[34:35], v[4:5]
	v_fma_f64 v[2:3], v[30:31], v[34:35], v[14:15]
	s_cbranch_vccz .LBB227_8
.LBB227_3:                              ; =>This Inner Loop Header: Depth=1
	v_add_co_u32 v14, s24, v19, s22
	v_add_co_ci_u32_e64 v15, null, 0, s23, s24
	v_cmp_gt_i64_e32 vcc_lo, s[16:17], v[14:15]
	v_mov_b32_e32 v14, 0
	v_mov_b32_e32 v15, 0
	s_and_b32 s25, s0, vcc_lo
	s_and_saveexec_b32 s24, s25
	s_cbranch_execz .LBB227_5
; %bb.4:                                ;   in Loop: Header=BB227_3 Depth=1
	flat_load_dwordx2 v[14:15], v[12:13]
.LBB227_5:                              ;   in Loop: Header=BB227_3 Depth=1
	s_or_b32 exec_lo, exec_lo, s24
	v_add_co_u32 v16, s24, v18, s22
	v_add_co_ci_u32_e64 v17, null, 0, s23, s24
	s_waitcnt vmcnt(0) lgkmcnt(0)
	ds_write_b64 v20, v[14:15]
	v_cmp_gt_i64_e32 vcc_lo, s[16:17], v[16:17]
	v_mov_b32_e32 v16, 0
	v_mov_b32_e32 v17, 0
	s_and_b32 s25, vcc_lo, s1
	s_and_saveexec_b32 s24, s25
	s_cbranch_execz .LBB227_2
; %bb.6:                                ;   in Loop: Header=BB227_3 Depth=1
	flat_load_dwordx2 v[16:17], v[10:11]
	s_branch .LBB227_2
.LBB227_7:
	v_mov_b32_e32 v8, 0
	v_mov_b32_e32 v6, 0
	;; [unrolled: 1-line block ×8, first 2 shown]
.LBB227_8:
	s_load_dwordx2 s[0:1], s[4:5], 0x80
	v_cmp_neq_f64_e64 s16, s[40:41], 0
	v_add_co_u32 v10, s4, s10, v1
	v_add_co_ci_u32_e64 v11, null, s11, 0, s4
	s_waitcnt lgkmcnt(0)
	s_lshl_b64 s[4:5], s[0:1], 3
	v_cmp_gt_i64_e64 s0, s[14:15], v[10:11]
	s_add_u32 s4, s2, s4
	s_addc_u32 s3, s3, s5
	s_and_b32 vcc_lo, exec_lo, s16
	s_cbranch_vccnz .LBB227_21
; %bb.9:
	s_and_saveexec_b32 s5, s0
	s_cbranch_execz .LBB227_19
; %bb.10:
	v_mul_lo_u32 v1, v11, s50
	v_mul_lo_u32 v14, v10, s51
	v_mad_u64_u32 v[12:13], null, v10, s50, 0
	v_add3_u32 v13, v13, v14, v1
	v_add_co_u32 v14, s1, s6, v0
	v_add_co_ci_u32_e64 v15, null, s7, 0, s1
	v_lshlrev_b64 v[16:17], 3, v[12:13]
	v_cmp_gt_i64_e32 vcc_lo, s[12:13], v[14:15]
	v_lshlrev_b64 v[12:13], 3, v[14:15]
	v_add_co_u32 v1, s1, s4, v16
	v_add_co_ci_u32_e64 v16, null, s3, v17, s1
	s_and_saveexec_b32 s2, vcc_lo
	s_cbranch_execz .LBB227_12
; %bb.11:
	v_mul_f64 v[17:18], s[18:19], v[8:9]
	v_add_co_u32 v19, s1, v1, v12
	v_add_co_ci_u32_e64 v20, null, v16, v13, s1
	flat_store_dwordx2 v[19:20], v[17:18]
.LBB227_12:
	s_or_b32 exec_lo, exec_lo, s2
	v_add_co_u32 v14, s1, v14, 16
	v_add_co_ci_u32_e64 v15, null, 0, v15, s1
	v_cmp_gt_i64_e64 s1, s[12:13], v[14:15]
	s_and_saveexec_b32 s10, s1
	s_cbranch_execz .LBB227_14
; %bb.13:
	v_mul_f64 v[14:15], s[18:19], v[6:7]
	v_add_co_u32 v17, s2, v1, v12
	v_add_co_ci_u32_e64 v18, null, v16, v13, s2
	flat_store_dwordx2 v[17:18], v[14:15] offset:128
.LBB227_14:
	s_or_b32 exec_lo, exec_lo, s10
	v_add_co_u32 v14, s2, v10, 16
	v_add_co_ci_u32_e64 v15, null, 0, v11, s2
	v_cmp_gt_i64_e64 s2, s[14:15], v[14:15]
	s_and_b32 exec_lo, exec_lo, s2
	s_cbranch_execz .LBB227_19
; %bb.15:
	s_lshl_b64 s[10:11], s[50:51], 7
	v_add_co_u32 v1, s2, v1, s10
	v_add_co_ci_u32_e64 v14, null, s11, v16, s2
	v_add_co_u32 v12, s2, v1, v12
	v_add_co_ci_u32_e64 v13, null, v14, v13, s2
	s_and_saveexec_b32 s2, vcc_lo
	s_cbranch_execz .LBB227_17
; %bb.16:
	v_mul_f64 v[14:15], s[18:19], v[4:5]
	flat_store_dwordx2 v[12:13], v[14:15]
.LBB227_17:
	s_or_b32 exec_lo, exec_lo, s2
	s_and_b32 exec_lo, exec_lo, s1
	s_cbranch_execz .LBB227_19
; %bb.18:
	v_mul_f64 v[14:15], s[18:19], v[2:3]
	flat_store_dwordx2 v[12:13], v[14:15] offset:128
.LBB227_19:
	s_or_b32 exec_lo, exec_lo, s5
	s_cbranch_execz .LBB227_22
.LBB227_20:
	s_endpgm
.LBB227_21:
.LBB227_22:
	s_and_saveexec_b32 s1, s0
	s_cbranch_execz .LBB227_20
; %bb.23:
	v_mul_lo_u32 v1, v11, s44
	v_mul_lo_u32 v12, v10, s45
	v_mad_u64_u32 v[14:15], null, v10, s44, 0
	v_mul_lo_u32 v18, v11, s50
	v_mul_lo_u32 v19, v10, s51
	v_mad_u64_u32 v[16:17], null, v10, s50, 0
	s_lshl_b64 s[0:1], s[46:47], 3
	v_add3_u32 v15, v15, v12, v1
	v_add_co_u32 v12, s2, s6, v0
	v_add_co_ci_u32_e64 v13, null, s7, 0, s2
	v_add3_u32 v17, v17, v19, v18
	v_lshlrev_b64 v[0:1], 3, v[14:15]
	s_add_u32 s0, s8, s0
	s_addc_u32 s1, s9, s1
	v_cmp_gt_i64_e32 vcc_lo, s[12:13], v[12:13]
	v_lshlrev_b64 v[16:17], 3, v[16:17]
	v_add_co_u32 v14, s0, s0, v0
	v_add_co_ci_u32_e64 v15, null, s1, v1, s0
	v_add_co_u32 v16, s0, s4, v16
	v_lshlrev_b64 v[0:1], 3, v[12:13]
	v_add_co_ci_u32_e64 v17, null, s3, v17, s0
	s_and_saveexec_b32 s1, vcc_lo
	s_cbranch_execz .LBB227_25
; %bb.24:
	v_add_co_u32 v18, s0, v14, v0
	v_add_co_ci_u32_e64 v19, null, v15, v1, s0
	flat_load_dwordx2 v[18:19], v[18:19]
	s_waitcnt vmcnt(0) lgkmcnt(0)
	v_mul_f64 v[18:19], s[40:41], v[18:19]
	v_fma_f64 v[8:9], s[18:19], v[8:9], v[18:19]
	v_add_co_u32 v18, s0, v16, v0
	v_add_co_ci_u32_e64 v19, null, v17, v1, s0
	flat_store_dwordx2 v[18:19], v[8:9]
.LBB227_25:
	s_or_b32 exec_lo, exec_lo, s1
	v_add_co_u32 v8, s0, v12, 16
	v_add_co_ci_u32_e64 v9, null, 0, v13, s0
	v_cmp_gt_i64_e64 s0, s[12:13], v[8:9]
	s_and_saveexec_b32 s2, s0
	s_cbranch_execz .LBB227_27
; %bb.26:
	v_add_co_u32 v8, s1, v14, v0
	v_add_co_ci_u32_e64 v9, null, v15, v1, s1
	flat_load_dwordx2 v[8:9], v[8:9] offset:128
	s_waitcnt vmcnt(0) lgkmcnt(0)
	v_mul_f64 v[8:9], s[40:41], v[8:9]
	v_fma_f64 v[6:7], s[18:19], v[6:7], v[8:9]
	v_add_co_u32 v8, s1, v16, v0
	v_add_co_ci_u32_e64 v9, null, v17, v1, s1
	flat_store_dwordx2 v[8:9], v[6:7] offset:128
.LBB227_27:
	s_or_b32 exec_lo, exec_lo, s2
	v_add_co_u32 v6, s1, v10, 16
	v_add_co_ci_u32_e64 v7, null, 0, v11, s1
	v_cmp_gt_i64_e64 s1, s[14:15], v[6:7]
	s_and_b32 exec_lo, exec_lo, s1
	s_cbranch_execz .LBB227_20
; %bb.28:
	s_lshl_b64 s[2:3], s[44:45], 7
	v_add_co_u32 v6, s1, v14, s2
	v_add_co_ci_u32_e64 v7, null, s3, v15, s1
	s_lshl_b64 s[2:3], s[50:51], 7
	v_add_co_u32 v8, s1, v16, s2
	v_add_co_ci_u32_e64 v9, null, s3, v17, s1
	v_add_co_u32 v6, s1, v6, v0
	v_add_co_ci_u32_e64 v7, null, v7, v1, s1
	;; [unrolled: 2-line block ×3, first 2 shown]
	s_and_saveexec_b32 s1, vcc_lo
	s_cbranch_execz .LBB227_30
; %bb.29:
	flat_load_dwordx2 v[8:9], v[6:7]
	s_waitcnt vmcnt(0) lgkmcnt(0)
	v_mul_f64 v[8:9], s[40:41], v[8:9]
	v_fma_f64 v[4:5], s[18:19], v[4:5], v[8:9]
	flat_store_dwordx2 v[0:1], v[4:5]
.LBB227_30:
	s_or_b32 exec_lo, exec_lo, s1
	s_and_b32 exec_lo, exec_lo, s0
	s_cbranch_execz .LBB227_20
; %bb.31:
	flat_load_dwordx2 v[4:5], v[6:7] offset:128
	s_waitcnt vmcnt(0) lgkmcnt(0)
	v_mul_f64 v[4:5], s[40:41], v[4:5]
	v_fma_f64 v[2:3], s[18:19], v[2:3], v[4:5]
	flat_store_dwordx2 v[0:1], v[2:3] offset:128
	s_endpgm
	.section	.rodata,"a",@progbits
	.p2align	6, 0x0
	.amdhsa_kernel _ZN12_GLOBAL__N_135rocblas_gemm_batched_general_kernelIdLi16ELi16ELi32ELi32ELi8ELi32ELi8ELi8ELi32ELc67ELc67EKPKdS3_KPdEEvlllT_PT11_llS8_llS6_PT12_llPT13_lli
		.amdhsa_group_segment_fixed_size 4096
		.amdhsa_private_segment_fixed_size 0
		.amdhsa_kernarg_size 140
		.amdhsa_user_sgpr_count 6
		.amdhsa_user_sgpr_private_segment_buffer 1
		.amdhsa_user_sgpr_dispatch_ptr 0
		.amdhsa_user_sgpr_queue_ptr 0
		.amdhsa_user_sgpr_kernarg_segment_ptr 1
		.amdhsa_user_sgpr_dispatch_id 0
		.amdhsa_user_sgpr_flat_scratch_init 0
		.amdhsa_user_sgpr_private_segment_size 0
		.amdhsa_wavefront_size32 1
		.amdhsa_uses_dynamic_stack 0
		.amdhsa_system_sgpr_private_segment_wavefront_offset 0
		.amdhsa_system_sgpr_workgroup_id_x 1
		.amdhsa_system_sgpr_workgroup_id_y 1
		.amdhsa_system_sgpr_workgroup_id_z 1
		.amdhsa_system_sgpr_workgroup_info 0
		.amdhsa_system_vgpr_workitem_id 1
		.amdhsa_next_free_vgpr 44
		.amdhsa_next_free_sgpr 52
		.amdhsa_reserve_vcc 1
		.amdhsa_reserve_flat_scratch 0
		.amdhsa_float_round_mode_32 0
		.amdhsa_float_round_mode_16_64 0
		.amdhsa_float_denorm_mode_32 3
		.amdhsa_float_denorm_mode_16_64 3
		.amdhsa_dx10_clamp 1
		.amdhsa_ieee_mode 1
		.amdhsa_fp16_overflow 0
		.amdhsa_workgroup_processor_mode 1
		.amdhsa_memory_ordered 1
		.amdhsa_forward_progress 1
		.amdhsa_shared_vgpr_count 0
		.amdhsa_exception_fp_ieee_invalid_op 0
		.amdhsa_exception_fp_denorm_src 0
		.amdhsa_exception_fp_ieee_div_zero 0
		.amdhsa_exception_fp_ieee_overflow 0
		.amdhsa_exception_fp_ieee_underflow 0
		.amdhsa_exception_fp_ieee_inexact 0
		.amdhsa_exception_int_div_zero 0
	.end_amdhsa_kernel
	.section	.text._ZN12_GLOBAL__N_135rocblas_gemm_batched_general_kernelIdLi16ELi16ELi32ELi32ELi8ELi32ELi8ELi8ELi32ELc67ELc67EKPKdS3_KPdEEvlllT_PT11_llS8_llS6_PT12_llPT13_lli,"axG",@progbits,_ZN12_GLOBAL__N_135rocblas_gemm_batched_general_kernelIdLi16ELi16ELi32ELi32ELi8ELi32ELi8ELi8ELi32ELc67ELc67EKPKdS3_KPdEEvlllT_PT11_llS8_llS6_PT12_llPT13_lli,comdat
.Lfunc_end227:
	.size	_ZN12_GLOBAL__N_135rocblas_gemm_batched_general_kernelIdLi16ELi16ELi32ELi32ELi8ELi32ELi8ELi8ELi32ELc67ELc67EKPKdS3_KPdEEvlllT_PT11_llS8_llS6_PT12_llPT13_lli, .Lfunc_end227-_ZN12_GLOBAL__N_135rocblas_gemm_batched_general_kernelIdLi16ELi16ELi32ELi32ELi8ELi32ELi8ELi8ELi32ELc67ELc67EKPKdS3_KPdEEvlllT_PT11_llS8_llS6_PT12_llPT13_lli
                                        ; -- End function
	.set _ZN12_GLOBAL__N_135rocblas_gemm_batched_general_kernelIdLi16ELi16ELi32ELi32ELi8ELi32ELi8ELi8ELi32ELc67ELc67EKPKdS3_KPdEEvlllT_PT11_llS8_llS6_PT12_llPT13_lli.num_vgpr, 44
	.set _ZN12_GLOBAL__N_135rocblas_gemm_batched_general_kernelIdLi16ELi16ELi32ELi32ELi8ELi32ELi8ELi8ELi32ELc67ELc67EKPKdS3_KPdEEvlllT_PT11_llS8_llS6_PT12_llPT13_lli.num_agpr, 0
	.set _ZN12_GLOBAL__N_135rocblas_gemm_batched_general_kernelIdLi16ELi16ELi32ELi32ELi8ELi32ELi8ELi8ELi32ELc67ELc67EKPKdS3_KPdEEvlllT_PT11_llS8_llS6_PT12_llPT13_lli.numbered_sgpr, 52
	.set _ZN12_GLOBAL__N_135rocblas_gemm_batched_general_kernelIdLi16ELi16ELi32ELi32ELi8ELi32ELi8ELi8ELi32ELc67ELc67EKPKdS3_KPdEEvlllT_PT11_llS8_llS6_PT12_llPT13_lli.num_named_barrier, 0
	.set _ZN12_GLOBAL__N_135rocblas_gemm_batched_general_kernelIdLi16ELi16ELi32ELi32ELi8ELi32ELi8ELi8ELi32ELc67ELc67EKPKdS3_KPdEEvlllT_PT11_llS8_llS6_PT12_llPT13_lli.private_seg_size, 0
	.set _ZN12_GLOBAL__N_135rocblas_gemm_batched_general_kernelIdLi16ELi16ELi32ELi32ELi8ELi32ELi8ELi8ELi32ELc67ELc67EKPKdS3_KPdEEvlllT_PT11_llS8_llS6_PT12_llPT13_lli.uses_vcc, 1
	.set _ZN12_GLOBAL__N_135rocblas_gemm_batched_general_kernelIdLi16ELi16ELi32ELi32ELi8ELi32ELi8ELi8ELi32ELc67ELc67EKPKdS3_KPdEEvlllT_PT11_llS8_llS6_PT12_llPT13_lli.uses_flat_scratch, 0
	.set _ZN12_GLOBAL__N_135rocblas_gemm_batched_general_kernelIdLi16ELi16ELi32ELi32ELi8ELi32ELi8ELi8ELi32ELc67ELc67EKPKdS3_KPdEEvlllT_PT11_llS8_llS6_PT12_llPT13_lli.has_dyn_sized_stack, 0
	.set _ZN12_GLOBAL__N_135rocblas_gemm_batched_general_kernelIdLi16ELi16ELi32ELi32ELi8ELi32ELi8ELi8ELi32ELc67ELc67EKPKdS3_KPdEEvlllT_PT11_llS8_llS6_PT12_llPT13_lli.has_recursion, 0
	.set _ZN12_GLOBAL__N_135rocblas_gemm_batched_general_kernelIdLi16ELi16ELi32ELi32ELi8ELi32ELi8ELi8ELi32ELc67ELc67EKPKdS3_KPdEEvlllT_PT11_llS8_llS6_PT12_llPT13_lli.has_indirect_call, 0
	.section	.AMDGPU.csdata,"",@progbits
; Kernel info:
; codeLenInByte = 2120
; TotalNumSgprs: 54
; NumVgprs: 44
; ScratchSize: 0
; MemoryBound: 0
; FloatMode: 240
; IeeeMode: 1
; LDSByteSize: 4096 bytes/workgroup (compile time only)
; SGPRBlocks: 0
; VGPRBlocks: 5
; NumSGPRsForWavesPerEU: 54
; NumVGPRsForWavesPerEU: 44
; Occupancy: 16
; WaveLimiterHint : 1
; COMPUTE_PGM_RSRC2:SCRATCH_EN: 0
; COMPUTE_PGM_RSRC2:USER_SGPR: 6
; COMPUTE_PGM_RSRC2:TRAP_HANDLER: 0
; COMPUTE_PGM_RSRC2:TGID_X_EN: 1
; COMPUTE_PGM_RSRC2:TGID_Y_EN: 1
; COMPUTE_PGM_RSRC2:TGID_Z_EN: 1
; COMPUTE_PGM_RSRC2:TIDIG_COMP_CNT: 1
	.section	.text._ZN12_GLOBAL__N_135rocblas_gemm_batched_general_kernelIdLi16ELi16ELi32ELi32ELi8ELi32ELi8ELi8ELi32ELc67ELc78EKPKdS3_KPdEEvlllT_PT11_llS8_llS6_PT12_llPT13_lli,"axG",@progbits,_ZN12_GLOBAL__N_135rocblas_gemm_batched_general_kernelIdLi16ELi16ELi32ELi32ELi8ELi32ELi8ELi8ELi32ELc67ELc78EKPKdS3_KPdEEvlllT_PT11_llS8_llS6_PT12_llPT13_lli,comdat
	.globl	_ZN12_GLOBAL__N_135rocblas_gemm_batched_general_kernelIdLi16ELi16ELi32ELi32ELi8ELi32ELi8ELi8ELi32ELc67ELc78EKPKdS3_KPdEEvlllT_PT11_llS8_llS6_PT12_llPT13_lli ; -- Begin function _ZN12_GLOBAL__N_135rocblas_gemm_batched_general_kernelIdLi16ELi16ELi32ELi32ELi8ELi32ELi8ELi8ELi32ELc67ELc78EKPKdS3_KPdEEvlllT_PT11_llS8_llS6_PT12_llPT13_lli
	.p2align	8
	.type	_ZN12_GLOBAL__N_135rocblas_gemm_batched_general_kernelIdLi16ELi16ELi32ELi32ELi8ELi32ELi8ELi8ELi32ELc67ELc78EKPKdS3_KPdEEvlllT_PT11_llS8_llS6_PT12_llPT13_lli,@function
_ZN12_GLOBAL__N_135rocblas_gemm_batched_general_kernelIdLi16ELi16ELi32ELi32ELi8ELi32ELi8ELi8ELi32ELc67ELc78EKPKdS3_KPdEEvlllT_PT11_llS8_llS6_PT12_llPT13_lli: ; @_ZN12_GLOBAL__N_135rocblas_gemm_batched_general_kernelIdLi16ELi16ELi32ELi32ELi8ELi32ELi8ELi8ELi32ELc67ELc78EKPKdS3_KPdEEvlllT_PT11_llS8_llS6_PT12_llPT13_lli
; %bb.0:
	s_clause 0x1
	s_load_dwordx16 s[36:51], s[4:5], 0x40
	s_load_dwordx16 s[12:27], s[4:5], 0x0
	s_mov_b32 s9, 0
	s_mov_b32 s10, s7
	s_lshl_b64 s[0:1], s[8:9], 3
	s_waitcnt lgkmcnt(0)
	s_add_u32 s2, s42, s0
	s_addc_u32 s3, s43, s1
	s_add_u32 s28, s48, s0
	s_addc_u32 s29, s49, s1
	s_load_dwordx2 s[8:9], s[2:3], 0x0
	s_load_dwordx2 s[2:3], s[28:29], 0x0
	v_cmp_lt_i64_e64 s28, s[16:17], 1
	s_ashr_i32 s7, s6, 31
	s_ashr_i32 s11, s10, 31
	s_lshl_b64 s[6:7], s[6:7], 5
	s_lshl_b64 s[10:11], s[10:11], 5
	s_and_b32 vcc_lo, exec_lo, s28
	s_cbranch_vccnz .LBB228_7
; %bb.1:
	v_lshl_add_u32 v2, v1, 4, v0
	s_add_u32 s26, s26, s0
	s_addc_u32 s27, s27, s1
	s_add_u32 s0, s20, s0
	v_mov_b32_e32 v3, s7
	v_lshrrev_b32_e32 v7, 3, v2
	v_and_b32_e32 v6, 31, v2
	v_lshrrev_b32_e32 v19, 5, v2
	v_and_b32_e32 v18, 7, v0
	s_addc_u32 s1, s21, s1
	v_add_co_u32 v4, s20, v7, s10
	v_or_b32_e32 v2, s6, v6
	v_add_co_ci_u32_e64 v5, null, 0, s11, s20
	s_load_dwordx2 s[20:21], s[26:27], 0x0
	s_load_dwordx2 s[26:27], s[0:1], 0x0
	v_mul_lo_u32 v8, s37, v4
	v_cmp_gt_i64_e64 s0, s[12:13], v[2:3]
	v_mul_lo_u32 v9, s36, v5
	v_mad_u64_u32 v[2:3], null, s36, v4, 0
	v_add_co_u32 v11, s1, s6, v6
	v_lshlrev_b32_e32 v10, 3, v18
	v_add_co_ci_u32_e64 v12, null, s7, 0, s1
	v_lshlrev_b32_e32 v13, 3, v6
	v_add3_u32 v3, v3, v9, v8
	v_lshl_or_b32 v14, v7, 6, v10
	v_mul_lo_u32 v8, s23, v11
	v_mul_lo_u32 v9, s22, v12
	v_mad_u64_u32 v[6:7], null, s22, v11, 0
	v_lshlrev_b64 v[2:3], 3, v[2:3]
	s_lshl_b64 s[22:23], s[38:39], 3
	v_cmp_gt_i64_e64 s1, s[14:15], v[4:5]
	v_lshl_or_b32 v20, v19, 8, v13
	v_add_nc_u32_e32 v21, 0x800, v14
	v_lshlrev_b32_e32 v22, 3, v0
	v_add3_u32 v7, v7, v9, v8
	v_add_co_u32 v4, vcc_lo, v2, s22
	v_add_co_ci_u32_e64 v5, null, s23, v3, vcc_lo
	v_lshlrev_b64 v[2:3], 3, v[6:7]
	v_add_co_u32 v4, vcc_lo, v4, v10
	s_lshl_b64 s[22:23], s[24:25], 3
	v_add_co_ci_u32_e64 v5, null, 0, v5, vcc_lo
	v_add_co_u32 v2, vcc_lo, v2, s22
	v_lshlrev_b32_e32 v6, 3, v19
	v_add_co_ci_u32_e64 v3, null, s23, v3, vcc_lo
	s_waitcnt lgkmcnt(0)
	v_add_co_u32 v10, vcc_lo, s20, v4
	v_add_co_ci_u32_e64 v11, null, s21, v5, vcc_lo
	v_add_co_u32 v12, vcc_lo, v2, v6
	v_add_co_ci_u32_e64 v13, null, 0, v3, vcc_lo
	v_mov_b32_e32 v2, 0
	v_add_co_u32 v12, vcc_lo, s26, v12
	v_mov_b32_e32 v4, 0
	v_mov_b32_e32 v6, 0
	;; [unrolled: 1-line block ×3, first 2 shown]
	v_lshl_add_u32 v23, v1, 6, 0x800
	v_mov_b32_e32 v3, 0
	v_mov_b32_e32 v5, 0
	;; [unrolled: 1-line block ×4, first 2 shown]
	v_add_co_ci_u32_e64 v13, null, s27, v13, vcc_lo
	s_mov_b64 s[20:21], 0
	s_branch .LBB228_3
.LBB228_2:                              ;   in Loop: Header=BB228_3 Depth=1
	s_or_b32 exec_lo, exec_lo, s22
	s_waitcnt vmcnt(0) lgkmcnt(0)
	ds_write_b64 v21, v[16:17]
	s_waitcnt lgkmcnt(0)
	s_barrier
	buffer_gl0_inv
	ds_read_b128 v[14:17], v23
	ds_read2_b64 v[24:27], v22 offset1:16
	ds_read_b128 v[28:31], v23 offset:1024
	ds_read_b128 v[32:35], v23 offset:16
	ds_read2_b64 v[36:39], v22 offset0:32 offset1:48
	ds_read_b128 v[40:43], v23 offset:1040
	s_add_u32 s20, s20, 8
	s_addc_u32 s21, s21, 0
	v_add_co_u32 v10, vcc_lo, v10, 64
	v_cmp_lt_i64_e64 s22, s[20:21], s[16:17]
	v_add_co_ci_u32_e64 v11, null, 0, v11, vcc_lo
	v_add_co_u32 v12, vcc_lo, v12, 64
	v_add_co_ci_u32_e64 v13, null, 0, v13, vcc_lo
	s_and_b32 vcc_lo, exec_lo, s22
	s_waitcnt lgkmcnt(4)
	v_fma_f64 v[8:9], v[24:25], v[14:15], v[8:9]
	v_fma_f64 v[6:7], v[26:27], v[14:15], v[6:7]
	s_waitcnt lgkmcnt(3)
	v_fma_f64 v[14:15], v[24:25], v[28:29], v[4:5]
	v_fma_f64 v[24:25], v[26:27], v[28:29], v[2:3]
	ds_read2_b64 v[2:5], v22 offset0:64 offset1:80
	s_waitcnt lgkmcnt(2)
	v_fma_f64 v[26:27], v[36:37], v[16:17], v[8:9]
	v_fma_f64 v[16:17], v[38:39], v[16:17], v[6:7]
	;; [unrolled: 1-line block ×4, first 2 shown]
	ds_read2_b64 v[6:9], v22 offset0:96 offset1:112
	s_waitcnt lgkmcnt(1)
	v_fma_f64 v[26:27], v[2:3], v[32:33], v[26:27]
	v_fma_f64 v[28:29], v[4:5], v[32:33], v[16:17]
	;; [unrolled: 1-line block ×4, first 2 shown]
	ds_read_b128 v[2:5], v23 offset:32
	ds_read2_b64 v[14:17], v22 offset0:128 offset1:144
	s_waitcnt lgkmcnt(2)
	v_fma_f64 v[36:37], v[6:7], v[34:35], v[26:27]
	v_fma_f64 v[38:39], v[8:9], v[34:35], v[28:29]
	;; [unrolled: 1-line block ×4, first 2 shown]
	ds_read_b128 v[6:9], v23 offset:1056
	ds_read_b128 v[24:27], v23 offset:48
	ds_read2_b64 v[28:31], v22 offset0:160 offset1:176
	ds_read_b128 v[32:35], v23 offset:1072
	s_waitcnt lgkmcnt(4)
	v_fma_f64 v[36:37], v[14:15], v[2:3], v[36:37]
	v_fma_f64 v[2:3], v[16:17], v[2:3], v[38:39]
	s_waitcnt lgkmcnt(3)
	v_fma_f64 v[38:39], v[14:15], v[6:7], v[40:41]
	v_fma_f64 v[6:7], v[16:17], v[6:7], v[42:43]
	ds_read2_b64 v[14:17], v22 offset0:192 offset1:208
	s_waitcnt lgkmcnt(2)
	v_fma_f64 v[36:37], v[28:29], v[4:5], v[36:37]
	v_fma_f64 v[2:3], v[30:31], v[4:5], v[2:3]
	;; [unrolled: 1-line block ×4, first 2 shown]
	ds_read2_b64 v[28:31], v22 offset0:224 offset1:240
	s_waitcnt lgkmcnt(0)
	s_barrier
	buffer_gl0_inv
	v_fma_f64 v[8:9], v[14:15], v[24:25], v[36:37]
	v_fma_f64 v[2:3], v[16:17], v[24:25], v[2:3]
	;; [unrolled: 1-line block ×8, first 2 shown]
	s_cbranch_vccz .LBB228_8
.LBB228_3:                              ; =>This Inner Loop Header: Depth=1
	v_add_co_u32 v14, s22, v19, s20
	v_add_co_ci_u32_e64 v15, null, 0, s21, s22
	v_cmp_gt_i64_e32 vcc_lo, s[16:17], v[14:15]
	v_mov_b32_e32 v14, 0
	v_mov_b32_e32 v15, 0
	s_and_b32 s23, s0, vcc_lo
	s_and_saveexec_b32 s22, s23
	s_cbranch_execz .LBB228_5
; %bb.4:                                ;   in Loop: Header=BB228_3 Depth=1
	flat_load_dwordx2 v[14:15], v[12:13]
.LBB228_5:                              ;   in Loop: Header=BB228_3 Depth=1
	s_or_b32 exec_lo, exec_lo, s22
	v_add_co_u32 v16, s22, v18, s20
	v_add_co_ci_u32_e64 v17, null, 0, s21, s22
	s_waitcnt vmcnt(0) lgkmcnt(0)
	ds_write_b64 v20, v[14:15]
	v_cmp_gt_i64_e32 vcc_lo, s[16:17], v[16:17]
	v_mov_b32_e32 v16, 0
	v_mov_b32_e32 v17, 0
	s_and_b32 s23, vcc_lo, s1
	s_and_saveexec_b32 s22, s23
	s_cbranch_execz .LBB228_2
; %bb.6:                                ;   in Loop: Header=BB228_3 Depth=1
	flat_load_dwordx2 v[16:17], v[10:11]
	s_branch .LBB228_2
.LBB228_7:
	v_mov_b32_e32 v8, 0
	v_mov_b32_e32 v6, 0
	;; [unrolled: 1-line block ×8, first 2 shown]
.LBB228_8:
	s_load_dwordx2 s[0:1], s[4:5], 0x80
	v_cmp_neq_f64_e64 s16, s[40:41], 0
	v_add_co_u32 v10, s4, s10, v1
	v_add_co_ci_u32_e64 v11, null, s11, 0, s4
	s_waitcnt lgkmcnt(0)
	s_lshl_b64 s[4:5], s[0:1], 3
	v_cmp_gt_i64_e64 s0, s[14:15], v[10:11]
	s_add_u32 s4, s2, s4
	s_addc_u32 s3, s3, s5
	s_and_b32 vcc_lo, exec_lo, s16
	s_cbranch_vccnz .LBB228_21
; %bb.9:
	s_and_saveexec_b32 s5, s0
	s_cbranch_execz .LBB228_19
; %bb.10:
	v_mul_lo_u32 v1, v11, s50
	v_mul_lo_u32 v14, v10, s51
	v_mad_u64_u32 v[12:13], null, v10, s50, 0
	v_add3_u32 v13, v13, v14, v1
	v_add_co_u32 v14, s1, s6, v0
	v_add_co_ci_u32_e64 v15, null, s7, 0, s1
	v_lshlrev_b64 v[16:17], 3, v[12:13]
	v_cmp_gt_i64_e32 vcc_lo, s[12:13], v[14:15]
	v_lshlrev_b64 v[12:13], 3, v[14:15]
	v_add_co_u32 v1, s1, s4, v16
	v_add_co_ci_u32_e64 v16, null, s3, v17, s1
	s_and_saveexec_b32 s2, vcc_lo
	s_cbranch_execz .LBB228_12
; %bb.11:
	v_mul_f64 v[17:18], s[18:19], v[8:9]
	v_add_co_u32 v19, s1, v1, v12
	v_add_co_ci_u32_e64 v20, null, v16, v13, s1
	flat_store_dwordx2 v[19:20], v[17:18]
.LBB228_12:
	s_or_b32 exec_lo, exec_lo, s2
	v_add_co_u32 v14, s1, v14, 16
	v_add_co_ci_u32_e64 v15, null, 0, v15, s1
	v_cmp_gt_i64_e64 s1, s[12:13], v[14:15]
	s_and_saveexec_b32 s10, s1
	s_cbranch_execz .LBB228_14
; %bb.13:
	v_mul_f64 v[14:15], s[18:19], v[6:7]
	v_add_co_u32 v17, s2, v1, v12
	v_add_co_ci_u32_e64 v18, null, v16, v13, s2
	flat_store_dwordx2 v[17:18], v[14:15] offset:128
.LBB228_14:
	s_or_b32 exec_lo, exec_lo, s10
	v_add_co_u32 v14, s2, v10, 16
	v_add_co_ci_u32_e64 v15, null, 0, v11, s2
	v_cmp_gt_i64_e64 s2, s[14:15], v[14:15]
	s_and_b32 exec_lo, exec_lo, s2
	s_cbranch_execz .LBB228_19
; %bb.15:
	s_lshl_b64 s[10:11], s[50:51], 7
	v_add_co_u32 v1, s2, v1, s10
	v_add_co_ci_u32_e64 v14, null, s11, v16, s2
	v_add_co_u32 v12, s2, v1, v12
	v_add_co_ci_u32_e64 v13, null, v14, v13, s2
	s_and_saveexec_b32 s2, vcc_lo
	s_cbranch_execz .LBB228_17
; %bb.16:
	v_mul_f64 v[14:15], s[18:19], v[4:5]
	flat_store_dwordx2 v[12:13], v[14:15]
.LBB228_17:
	s_or_b32 exec_lo, exec_lo, s2
	s_and_b32 exec_lo, exec_lo, s1
	s_cbranch_execz .LBB228_19
; %bb.18:
	v_mul_f64 v[14:15], s[18:19], v[2:3]
	flat_store_dwordx2 v[12:13], v[14:15] offset:128
.LBB228_19:
	s_or_b32 exec_lo, exec_lo, s5
	s_cbranch_execz .LBB228_22
.LBB228_20:
	s_endpgm
.LBB228_21:
.LBB228_22:
	s_and_saveexec_b32 s1, s0
	s_cbranch_execz .LBB228_20
; %bb.23:
	v_mul_lo_u32 v1, v11, s44
	v_mul_lo_u32 v12, v10, s45
	v_mad_u64_u32 v[14:15], null, v10, s44, 0
	v_mul_lo_u32 v18, v11, s50
	v_mul_lo_u32 v19, v10, s51
	v_mad_u64_u32 v[16:17], null, v10, s50, 0
	s_lshl_b64 s[0:1], s[46:47], 3
	v_add3_u32 v15, v15, v12, v1
	v_add_co_u32 v12, s2, s6, v0
	v_add_co_ci_u32_e64 v13, null, s7, 0, s2
	v_add3_u32 v17, v17, v19, v18
	v_lshlrev_b64 v[0:1], 3, v[14:15]
	s_add_u32 s0, s8, s0
	s_addc_u32 s1, s9, s1
	v_cmp_gt_i64_e32 vcc_lo, s[12:13], v[12:13]
	v_lshlrev_b64 v[16:17], 3, v[16:17]
	v_add_co_u32 v14, s0, s0, v0
	v_add_co_ci_u32_e64 v15, null, s1, v1, s0
	v_add_co_u32 v16, s0, s4, v16
	v_lshlrev_b64 v[0:1], 3, v[12:13]
	v_add_co_ci_u32_e64 v17, null, s3, v17, s0
	s_and_saveexec_b32 s1, vcc_lo
	s_cbranch_execz .LBB228_25
; %bb.24:
	v_add_co_u32 v18, s0, v14, v0
	v_add_co_ci_u32_e64 v19, null, v15, v1, s0
	flat_load_dwordx2 v[18:19], v[18:19]
	s_waitcnt vmcnt(0) lgkmcnt(0)
	v_mul_f64 v[18:19], s[40:41], v[18:19]
	v_fma_f64 v[8:9], s[18:19], v[8:9], v[18:19]
	v_add_co_u32 v18, s0, v16, v0
	v_add_co_ci_u32_e64 v19, null, v17, v1, s0
	flat_store_dwordx2 v[18:19], v[8:9]
.LBB228_25:
	s_or_b32 exec_lo, exec_lo, s1
	v_add_co_u32 v8, s0, v12, 16
	v_add_co_ci_u32_e64 v9, null, 0, v13, s0
	v_cmp_gt_i64_e64 s0, s[12:13], v[8:9]
	s_and_saveexec_b32 s2, s0
	s_cbranch_execz .LBB228_27
; %bb.26:
	v_add_co_u32 v8, s1, v14, v0
	v_add_co_ci_u32_e64 v9, null, v15, v1, s1
	flat_load_dwordx2 v[8:9], v[8:9] offset:128
	s_waitcnt vmcnt(0) lgkmcnt(0)
	v_mul_f64 v[8:9], s[40:41], v[8:9]
	v_fma_f64 v[6:7], s[18:19], v[6:7], v[8:9]
	v_add_co_u32 v8, s1, v16, v0
	v_add_co_ci_u32_e64 v9, null, v17, v1, s1
	flat_store_dwordx2 v[8:9], v[6:7] offset:128
.LBB228_27:
	s_or_b32 exec_lo, exec_lo, s2
	v_add_co_u32 v6, s1, v10, 16
	v_add_co_ci_u32_e64 v7, null, 0, v11, s1
	v_cmp_gt_i64_e64 s1, s[14:15], v[6:7]
	s_and_b32 exec_lo, exec_lo, s1
	s_cbranch_execz .LBB228_20
; %bb.28:
	s_lshl_b64 s[2:3], s[44:45], 7
	v_add_co_u32 v6, s1, v14, s2
	v_add_co_ci_u32_e64 v7, null, s3, v15, s1
	s_lshl_b64 s[2:3], s[50:51], 7
	v_add_co_u32 v8, s1, v16, s2
	v_add_co_ci_u32_e64 v9, null, s3, v17, s1
	v_add_co_u32 v6, s1, v6, v0
	v_add_co_ci_u32_e64 v7, null, v7, v1, s1
	;; [unrolled: 2-line block ×3, first 2 shown]
	s_and_saveexec_b32 s1, vcc_lo
	s_cbranch_execz .LBB228_30
; %bb.29:
	flat_load_dwordx2 v[8:9], v[6:7]
	s_waitcnt vmcnt(0) lgkmcnt(0)
	v_mul_f64 v[8:9], s[40:41], v[8:9]
	v_fma_f64 v[4:5], s[18:19], v[4:5], v[8:9]
	flat_store_dwordx2 v[0:1], v[4:5]
.LBB228_30:
	s_or_b32 exec_lo, exec_lo, s1
	s_and_b32 exec_lo, exec_lo, s0
	s_cbranch_execz .LBB228_20
; %bb.31:
	flat_load_dwordx2 v[4:5], v[6:7] offset:128
	s_waitcnt vmcnt(0) lgkmcnt(0)
	v_mul_f64 v[4:5], s[40:41], v[4:5]
	v_fma_f64 v[2:3], s[18:19], v[2:3], v[4:5]
	flat_store_dwordx2 v[0:1], v[2:3] offset:128
	s_endpgm
	.section	.rodata,"a",@progbits
	.p2align	6, 0x0
	.amdhsa_kernel _ZN12_GLOBAL__N_135rocblas_gemm_batched_general_kernelIdLi16ELi16ELi32ELi32ELi8ELi32ELi8ELi8ELi32ELc67ELc78EKPKdS3_KPdEEvlllT_PT11_llS8_llS6_PT12_llPT13_lli
		.amdhsa_group_segment_fixed_size 4096
		.amdhsa_private_segment_fixed_size 0
		.amdhsa_kernarg_size 140
		.amdhsa_user_sgpr_count 6
		.amdhsa_user_sgpr_private_segment_buffer 1
		.amdhsa_user_sgpr_dispatch_ptr 0
		.amdhsa_user_sgpr_queue_ptr 0
		.amdhsa_user_sgpr_kernarg_segment_ptr 1
		.amdhsa_user_sgpr_dispatch_id 0
		.amdhsa_user_sgpr_flat_scratch_init 0
		.amdhsa_user_sgpr_private_segment_size 0
		.amdhsa_wavefront_size32 1
		.amdhsa_uses_dynamic_stack 0
		.amdhsa_system_sgpr_private_segment_wavefront_offset 0
		.amdhsa_system_sgpr_workgroup_id_x 1
		.amdhsa_system_sgpr_workgroup_id_y 1
		.amdhsa_system_sgpr_workgroup_id_z 1
		.amdhsa_system_sgpr_workgroup_info 0
		.amdhsa_system_vgpr_workitem_id 1
		.amdhsa_next_free_vgpr 44
		.amdhsa_next_free_sgpr 52
		.amdhsa_reserve_vcc 1
		.amdhsa_reserve_flat_scratch 0
		.amdhsa_float_round_mode_32 0
		.amdhsa_float_round_mode_16_64 0
		.amdhsa_float_denorm_mode_32 3
		.amdhsa_float_denorm_mode_16_64 3
		.amdhsa_dx10_clamp 1
		.amdhsa_ieee_mode 1
		.amdhsa_fp16_overflow 0
		.amdhsa_workgroup_processor_mode 1
		.amdhsa_memory_ordered 1
		.amdhsa_forward_progress 1
		.amdhsa_shared_vgpr_count 0
		.amdhsa_exception_fp_ieee_invalid_op 0
		.amdhsa_exception_fp_denorm_src 0
		.amdhsa_exception_fp_ieee_div_zero 0
		.amdhsa_exception_fp_ieee_overflow 0
		.amdhsa_exception_fp_ieee_underflow 0
		.amdhsa_exception_fp_ieee_inexact 0
		.amdhsa_exception_int_div_zero 0
	.end_amdhsa_kernel
	.section	.text._ZN12_GLOBAL__N_135rocblas_gemm_batched_general_kernelIdLi16ELi16ELi32ELi32ELi8ELi32ELi8ELi8ELi32ELc67ELc78EKPKdS3_KPdEEvlllT_PT11_llS8_llS6_PT12_llPT13_lli,"axG",@progbits,_ZN12_GLOBAL__N_135rocblas_gemm_batched_general_kernelIdLi16ELi16ELi32ELi32ELi8ELi32ELi8ELi8ELi32ELc67ELc78EKPKdS3_KPdEEvlllT_PT11_llS8_llS6_PT12_llPT13_lli,comdat
.Lfunc_end228:
	.size	_ZN12_GLOBAL__N_135rocblas_gemm_batched_general_kernelIdLi16ELi16ELi32ELi32ELi8ELi32ELi8ELi8ELi32ELc67ELc78EKPKdS3_KPdEEvlllT_PT11_llS8_llS6_PT12_llPT13_lli, .Lfunc_end228-_ZN12_GLOBAL__N_135rocblas_gemm_batched_general_kernelIdLi16ELi16ELi32ELi32ELi8ELi32ELi8ELi8ELi32ELc67ELc78EKPKdS3_KPdEEvlllT_PT11_llS8_llS6_PT12_llPT13_lli
                                        ; -- End function
	.set _ZN12_GLOBAL__N_135rocblas_gemm_batched_general_kernelIdLi16ELi16ELi32ELi32ELi8ELi32ELi8ELi8ELi32ELc67ELc78EKPKdS3_KPdEEvlllT_PT11_llS8_llS6_PT12_llPT13_lli.num_vgpr, 44
	.set _ZN12_GLOBAL__N_135rocblas_gemm_batched_general_kernelIdLi16ELi16ELi32ELi32ELi8ELi32ELi8ELi8ELi32ELc67ELc78EKPKdS3_KPdEEvlllT_PT11_llS8_llS6_PT12_llPT13_lli.num_agpr, 0
	.set _ZN12_GLOBAL__N_135rocblas_gemm_batched_general_kernelIdLi16ELi16ELi32ELi32ELi8ELi32ELi8ELi8ELi32ELc67ELc78EKPKdS3_KPdEEvlllT_PT11_llS8_llS6_PT12_llPT13_lli.numbered_sgpr, 52
	.set _ZN12_GLOBAL__N_135rocblas_gemm_batched_general_kernelIdLi16ELi16ELi32ELi32ELi8ELi32ELi8ELi8ELi32ELc67ELc78EKPKdS3_KPdEEvlllT_PT11_llS8_llS6_PT12_llPT13_lli.num_named_barrier, 0
	.set _ZN12_GLOBAL__N_135rocblas_gemm_batched_general_kernelIdLi16ELi16ELi32ELi32ELi8ELi32ELi8ELi8ELi32ELc67ELc78EKPKdS3_KPdEEvlllT_PT11_llS8_llS6_PT12_llPT13_lli.private_seg_size, 0
	.set _ZN12_GLOBAL__N_135rocblas_gemm_batched_general_kernelIdLi16ELi16ELi32ELi32ELi8ELi32ELi8ELi8ELi32ELc67ELc78EKPKdS3_KPdEEvlllT_PT11_llS8_llS6_PT12_llPT13_lli.uses_vcc, 1
	.set _ZN12_GLOBAL__N_135rocblas_gemm_batched_general_kernelIdLi16ELi16ELi32ELi32ELi8ELi32ELi8ELi8ELi32ELc67ELc78EKPKdS3_KPdEEvlllT_PT11_llS8_llS6_PT12_llPT13_lli.uses_flat_scratch, 0
	.set _ZN12_GLOBAL__N_135rocblas_gemm_batched_general_kernelIdLi16ELi16ELi32ELi32ELi8ELi32ELi8ELi8ELi32ELc67ELc78EKPKdS3_KPdEEvlllT_PT11_llS8_llS6_PT12_llPT13_lli.has_dyn_sized_stack, 0
	.set _ZN12_GLOBAL__N_135rocblas_gemm_batched_general_kernelIdLi16ELi16ELi32ELi32ELi8ELi32ELi8ELi8ELi32ELc67ELc78EKPKdS3_KPdEEvlllT_PT11_llS8_llS6_PT12_llPT13_lli.has_recursion, 0
	.set _ZN12_GLOBAL__N_135rocblas_gemm_batched_general_kernelIdLi16ELi16ELi32ELi32ELi8ELi32ELi8ELi8ELi32ELc67ELc78EKPKdS3_KPdEEvlllT_PT11_llS8_llS6_PT12_llPT13_lli.has_indirect_call, 0
	.section	.AMDGPU.csdata,"",@progbits
; Kernel info:
; codeLenInByte = 2104
; TotalNumSgprs: 54
; NumVgprs: 44
; ScratchSize: 0
; MemoryBound: 0
; FloatMode: 240
; IeeeMode: 1
; LDSByteSize: 4096 bytes/workgroup (compile time only)
; SGPRBlocks: 0
; VGPRBlocks: 5
; NumSGPRsForWavesPerEU: 54
; NumVGPRsForWavesPerEU: 44
; Occupancy: 16
; WaveLimiterHint : 1
; COMPUTE_PGM_RSRC2:SCRATCH_EN: 0
; COMPUTE_PGM_RSRC2:USER_SGPR: 6
; COMPUTE_PGM_RSRC2:TRAP_HANDLER: 0
; COMPUTE_PGM_RSRC2:TGID_X_EN: 1
; COMPUTE_PGM_RSRC2:TGID_Y_EN: 1
; COMPUTE_PGM_RSRC2:TGID_Z_EN: 1
; COMPUTE_PGM_RSRC2:TIDIG_COMP_CNT: 1
	.section	.text._ZN12_GLOBAL__N_135rocblas_gemm_batched_general_kernelIdLi16ELi16ELi32ELi32ELi8ELi32ELi8ELi8ELi32ELc67ELc84EKPKdS3_KPdEEvlllT_PT11_llS8_llS6_PT12_llPT13_lli,"axG",@progbits,_ZN12_GLOBAL__N_135rocblas_gemm_batched_general_kernelIdLi16ELi16ELi32ELi32ELi8ELi32ELi8ELi8ELi32ELc67ELc84EKPKdS3_KPdEEvlllT_PT11_llS8_llS6_PT12_llPT13_lli,comdat
	.globl	_ZN12_GLOBAL__N_135rocblas_gemm_batched_general_kernelIdLi16ELi16ELi32ELi32ELi8ELi32ELi8ELi8ELi32ELc67ELc84EKPKdS3_KPdEEvlllT_PT11_llS8_llS6_PT12_llPT13_lli ; -- Begin function _ZN12_GLOBAL__N_135rocblas_gemm_batched_general_kernelIdLi16ELi16ELi32ELi32ELi8ELi32ELi8ELi8ELi32ELc67ELc84EKPKdS3_KPdEEvlllT_PT11_llS8_llS6_PT12_llPT13_lli
	.p2align	8
	.type	_ZN12_GLOBAL__N_135rocblas_gemm_batched_general_kernelIdLi16ELi16ELi32ELi32ELi8ELi32ELi8ELi8ELi32ELc67ELc84EKPKdS3_KPdEEvlllT_PT11_llS8_llS6_PT12_llPT13_lli,@function
_ZN12_GLOBAL__N_135rocblas_gemm_batched_general_kernelIdLi16ELi16ELi32ELi32ELi8ELi32ELi8ELi8ELi32ELc67ELc84EKPKdS3_KPdEEvlllT_PT11_llS8_llS6_PT12_llPT13_lli: ; @_ZN12_GLOBAL__N_135rocblas_gemm_batched_general_kernelIdLi16ELi16ELi32ELi32ELi8ELi32ELi8ELi8ELi32ELc67ELc84EKPKdS3_KPdEEvlllT_PT11_llS8_llS6_PT12_llPT13_lli
; %bb.0:
	s_clause 0x1
	s_load_dwordx16 s[36:51], s[4:5], 0x40
	s_load_dwordx16 s[12:27], s[4:5], 0x0
	s_mov_b32 s9, 0
	s_mov_b32 s28, s7
	s_lshl_b64 s[0:1], s[8:9], 3
	s_waitcnt lgkmcnt(0)
	s_add_u32 s2, s42, s0
	s_addc_u32 s3, s43, s1
	s_add_u32 s10, s48, s0
	s_addc_u32 s11, s49, s1
	s_load_dwordx2 s[8:9], s[2:3], 0x0
	s_load_dwordx2 s[2:3], s[10:11], 0x0
	v_cmp_lt_i64_e64 s10, s[16:17], 1
	s_ashr_i32 s7, s6, 31
	s_ashr_i32 s29, s28, 31
	s_lshl_b64 s[6:7], s[6:7], 5
	s_and_b32 vcc_lo, exec_lo, s10
	s_lshl_b64 s[10:11], s[28:29], 5
	s_cbranch_vccnz .LBB229_7
; %bb.1:
	v_lshl_add_u32 v8, v1, 4, v0
	v_and_b32_e32 v18, 7, v0
	s_add_u32 s26, s26, s0
	s_addc_u32 s27, s27, s1
	v_mov_b32_e32 v3, s7
	v_and_b32_e32 v9, 31, v8
	v_mad_u64_u32 v[4:5], null, s36, v18, 0
	v_lshrrev_b32_e32 v10, 3, v8
	s_add_u32 s0, s20, s0
	v_or_b32_e32 v2, s6, v9
	s_addc_u32 s1, s21, s1
	s_load_dwordx2 s[20:21], s[26:27], 0x0
	s_load_dwordx2 s[26:27], s[0:1], 0x0
	v_add_co_u32 v6, s0, v10, s10
	v_add_co_ci_u32_e64 v7, null, 0, s11, s0
	v_cmp_gt_i64_e64 s0, s[12:13], v[2:3]
	v_mov_b32_e32 v2, v5
	v_lshlrev_b32_e32 v5, 3, v18
	v_cmp_gt_i64_e64 s1, s[14:15], v[6:7]
	v_add_co_u32 v6, s30, s6, v9
	v_mad_u64_u32 v[2:3], null, s37, v18, v[2:3]
	v_lshl_or_b32 v3, v10, 6, v5
	v_add_co_ci_u32_e64 v7, null, s7, 0, s30
	v_lshlrev_b32_e32 v11, 3, v9
	v_mul_lo_u32 v9, s23, v6
	v_add_nc_u32_e32 v21, 0x800, v3
	v_mov_b32_e32 v5, v2
	v_mul_lo_u32 v7, s22, v7
	v_mad_u64_u32 v[2:3], null, s22, v6, 0
	s_lshl_b64 s[22:23], s[28:29], 8
	v_lshlrev_b64 v[4:5], 3, v[4:5]
	s_lshl_b64 s[28:29], s[38:39], 3
	v_and_b32_e32 v6, 0x1ff8, v8
	s_add_u32 s22, s28, s22
	s_addc_u32 s23, s29, s23
	v_add3_u32 v3, v3, v7, v9
	v_add_co_u32 v4, vcc_lo, s22, v4
	v_lshrrev_b32_e32 v19, 5, v8
	v_add_co_ci_u32_e64 v5, null, s23, v5, vcc_lo
	v_lshlrev_b64 v[2:3], 3, v[2:3]
	v_add_co_u32 v4, vcc_lo, v4, v6
	s_lshl_b64 s[22:23], s[24:25], 3
	v_add_co_ci_u32_e64 v5, null, 0, v5, vcc_lo
	v_add_co_u32 v2, vcc_lo, v2, s22
	v_lshlrev_b32_e32 v6, 3, v19
	v_add_co_ci_u32_e64 v3, null, s23, v3, vcc_lo
	s_waitcnt lgkmcnt(0)
	v_add_co_u32 v10, vcc_lo, s20, v4
	v_lshl_or_b32 v20, v19, 8, v11
	v_add_co_ci_u32_e64 v11, null, s21, v5, vcc_lo
	v_add_co_u32 v12, vcc_lo, v2, v6
	v_add_co_ci_u32_e64 v13, null, 0, v3, vcc_lo
	v_mov_b32_e32 v2, 0
	v_add_co_u32 v12, vcc_lo, s26, v12
	v_mov_b32_e32 v4, 0
	v_mov_b32_e32 v6, 0
	;; [unrolled: 1-line block ×3, first 2 shown]
	v_lshlrev_b32_e32 v22, 3, v0
	v_lshl_add_u32 v23, v1, 6, 0x800
	v_mov_b32_e32 v3, 0
	v_mov_b32_e32 v5, 0
	;; [unrolled: 1-line block ×4, first 2 shown]
	v_add_co_ci_u32_e64 v13, null, s27, v13, vcc_lo
	s_lshl_b64 s[20:21], s[36:37], 6
	s_mov_b64 s[22:23], 0
	s_branch .LBB229_3
.LBB229_2:                              ;   in Loop: Header=BB229_3 Depth=1
	s_or_b32 exec_lo, exec_lo, s24
	s_waitcnt vmcnt(0) lgkmcnt(0)
	ds_write_b64 v21, v[16:17]
	s_waitcnt lgkmcnt(0)
	s_barrier
	buffer_gl0_inv
	ds_read_b128 v[14:17], v23
	ds_read2_b64 v[24:27], v22 offset1:16
	ds_read_b128 v[28:31], v23 offset:1024
	ds_read_b128 v[32:35], v23 offset:16
	ds_read2_b64 v[36:39], v22 offset0:32 offset1:48
	ds_read_b128 v[40:43], v23 offset:1040
	s_add_u32 s22, s22, 8
	s_addc_u32 s23, s23, 0
	v_add_co_u32 v10, vcc_lo, v10, s20
	v_cmp_lt_i64_e64 s24, s[22:23], s[16:17]
	v_add_co_ci_u32_e64 v11, null, s21, v11, vcc_lo
	v_add_co_u32 v12, vcc_lo, v12, 64
	v_add_co_ci_u32_e64 v13, null, 0, v13, vcc_lo
	s_and_b32 vcc_lo, exec_lo, s24
	s_waitcnt lgkmcnt(4)
	v_fma_f64 v[8:9], v[24:25], v[14:15], v[8:9]
	v_fma_f64 v[6:7], v[26:27], v[14:15], v[6:7]
	s_waitcnt lgkmcnt(3)
	v_fma_f64 v[14:15], v[24:25], v[28:29], v[4:5]
	v_fma_f64 v[24:25], v[26:27], v[28:29], v[2:3]
	ds_read2_b64 v[2:5], v22 offset0:64 offset1:80
	s_waitcnt lgkmcnt(2)
	v_fma_f64 v[26:27], v[36:37], v[16:17], v[8:9]
	v_fma_f64 v[16:17], v[38:39], v[16:17], v[6:7]
	;; [unrolled: 1-line block ×4, first 2 shown]
	ds_read2_b64 v[6:9], v22 offset0:96 offset1:112
	s_waitcnt lgkmcnt(1)
	v_fma_f64 v[26:27], v[2:3], v[32:33], v[26:27]
	v_fma_f64 v[28:29], v[4:5], v[32:33], v[16:17]
	;; [unrolled: 1-line block ×4, first 2 shown]
	ds_read_b128 v[2:5], v23 offset:32
	ds_read2_b64 v[14:17], v22 offset0:128 offset1:144
	s_waitcnt lgkmcnt(2)
	v_fma_f64 v[36:37], v[6:7], v[34:35], v[26:27]
	v_fma_f64 v[38:39], v[8:9], v[34:35], v[28:29]
	;; [unrolled: 1-line block ×4, first 2 shown]
	ds_read_b128 v[6:9], v23 offset:1056
	ds_read_b128 v[24:27], v23 offset:48
	ds_read2_b64 v[28:31], v22 offset0:160 offset1:176
	ds_read_b128 v[32:35], v23 offset:1072
	s_waitcnt lgkmcnt(4)
	v_fma_f64 v[36:37], v[14:15], v[2:3], v[36:37]
	v_fma_f64 v[2:3], v[16:17], v[2:3], v[38:39]
	s_waitcnt lgkmcnt(3)
	v_fma_f64 v[38:39], v[14:15], v[6:7], v[40:41]
	v_fma_f64 v[6:7], v[16:17], v[6:7], v[42:43]
	ds_read2_b64 v[14:17], v22 offset0:192 offset1:208
	s_waitcnt lgkmcnt(2)
	v_fma_f64 v[36:37], v[28:29], v[4:5], v[36:37]
	v_fma_f64 v[2:3], v[30:31], v[4:5], v[2:3]
	;; [unrolled: 1-line block ×4, first 2 shown]
	ds_read2_b64 v[28:31], v22 offset0:224 offset1:240
	s_waitcnt lgkmcnt(0)
	s_barrier
	buffer_gl0_inv
	v_fma_f64 v[8:9], v[14:15], v[24:25], v[36:37]
	v_fma_f64 v[2:3], v[16:17], v[24:25], v[2:3]
	;; [unrolled: 1-line block ×8, first 2 shown]
	s_cbranch_vccz .LBB229_8
.LBB229_3:                              ; =>This Inner Loop Header: Depth=1
	v_add_co_u32 v14, s24, v19, s22
	v_add_co_ci_u32_e64 v15, null, 0, s23, s24
	v_cmp_gt_i64_e32 vcc_lo, s[16:17], v[14:15]
	v_mov_b32_e32 v14, 0
	v_mov_b32_e32 v15, 0
	s_and_b32 s25, s0, vcc_lo
	s_and_saveexec_b32 s24, s25
	s_cbranch_execz .LBB229_5
; %bb.4:                                ;   in Loop: Header=BB229_3 Depth=1
	flat_load_dwordx2 v[14:15], v[12:13]
.LBB229_5:                              ;   in Loop: Header=BB229_3 Depth=1
	s_or_b32 exec_lo, exec_lo, s24
	v_add_co_u32 v16, s24, v18, s22
	v_add_co_ci_u32_e64 v17, null, 0, s23, s24
	s_waitcnt vmcnt(0) lgkmcnt(0)
	ds_write_b64 v20, v[14:15]
	v_cmp_gt_i64_e32 vcc_lo, s[16:17], v[16:17]
	v_mov_b32_e32 v16, 0
	v_mov_b32_e32 v17, 0
	s_and_b32 s25, vcc_lo, s1
	s_and_saveexec_b32 s24, s25
	s_cbranch_execz .LBB229_2
; %bb.6:                                ;   in Loop: Header=BB229_3 Depth=1
	flat_load_dwordx2 v[16:17], v[10:11]
	s_branch .LBB229_2
.LBB229_7:
	v_mov_b32_e32 v8, 0
	v_mov_b32_e32 v6, 0
	;; [unrolled: 1-line block ×8, first 2 shown]
.LBB229_8:
	s_load_dwordx2 s[0:1], s[4:5], 0x80
	v_cmp_neq_f64_e64 s16, s[40:41], 0
	v_add_co_u32 v10, s4, s10, v1
	v_add_co_ci_u32_e64 v11, null, s11, 0, s4
	s_waitcnt lgkmcnt(0)
	s_lshl_b64 s[4:5], s[0:1], 3
	v_cmp_gt_i64_e64 s0, s[14:15], v[10:11]
	s_add_u32 s4, s2, s4
	s_addc_u32 s3, s3, s5
	s_and_b32 vcc_lo, exec_lo, s16
	s_cbranch_vccnz .LBB229_21
; %bb.9:
	s_and_saveexec_b32 s5, s0
	s_cbranch_execz .LBB229_19
; %bb.10:
	v_mul_lo_u32 v1, v11, s50
	v_mul_lo_u32 v14, v10, s51
	v_mad_u64_u32 v[12:13], null, v10, s50, 0
	v_add3_u32 v13, v13, v14, v1
	v_add_co_u32 v14, s1, s6, v0
	v_add_co_ci_u32_e64 v15, null, s7, 0, s1
	v_lshlrev_b64 v[16:17], 3, v[12:13]
	v_cmp_gt_i64_e32 vcc_lo, s[12:13], v[14:15]
	v_lshlrev_b64 v[12:13], 3, v[14:15]
	v_add_co_u32 v1, s1, s4, v16
	v_add_co_ci_u32_e64 v16, null, s3, v17, s1
	s_and_saveexec_b32 s2, vcc_lo
	s_cbranch_execz .LBB229_12
; %bb.11:
	v_mul_f64 v[17:18], s[18:19], v[8:9]
	v_add_co_u32 v19, s1, v1, v12
	v_add_co_ci_u32_e64 v20, null, v16, v13, s1
	flat_store_dwordx2 v[19:20], v[17:18]
.LBB229_12:
	s_or_b32 exec_lo, exec_lo, s2
	v_add_co_u32 v14, s1, v14, 16
	v_add_co_ci_u32_e64 v15, null, 0, v15, s1
	v_cmp_gt_i64_e64 s1, s[12:13], v[14:15]
	s_and_saveexec_b32 s10, s1
	s_cbranch_execz .LBB229_14
; %bb.13:
	v_mul_f64 v[14:15], s[18:19], v[6:7]
	v_add_co_u32 v17, s2, v1, v12
	v_add_co_ci_u32_e64 v18, null, v16, v13, s2
	flat_store_dwordx2 v[17:18], v[14:15] offset:128
.LBB229_14:
	s_or_b32 exec_lo, exec_lo, s10
	v_add_co_u32 v14, s2, v10, 16
	v_add_co_ci_u32_e64 v15, null, 0, v11, s2
	v_cmp_gt_i64_e64 s2, s[14:15], v[14:15]
	s_and_b32 exec_lo, exec_lo, s2
	s_cbranch_execz .LBB229_19
; %bb.15:
	s_lshl_b64 s[10:11], s[50:51], 7
	v_add_co_u32 v1, s2, v1, s10
	v_add_co_ci_u32_e64 v14, null, s11, v16, s2
	v_add_co_u32 v12, s2, v1, v12
	v_add_co_ci_u32_e64 v13, null, v14, v13, s2
	s_and_saveexec_b32 s2, vcc_lo
	s_cbranch_execz .LBB229_17
; %bb.16:
	v_mul_f64 v[14:15], s[18:19], v[4:5]
	flat_store_dwordx2 v[12:13], v[14:15]
.LBB229_17:
	s_or_b32 exec_lo, exec_lo, s2
	s_and_b32 exec_lo, exec_lo, s1
	s_cbranch_execz .LBB229_19
; %bb.18:
	v_mul_f64 v[14:15], s[18:19], v[2:3]
	flat_store_dwordx2 v[12:13], v[14:15] offset:128
.LBB229_19:
	s_or_b32 exec_lo, exec_lo, s5
	s_cbranch_execz .LBB229_22
.LBB229_20:
	s_endpgm
.LBB229_21:
.LBB229_22:
	s_and_saveexec_b32 s1, s0
	s_cbranch_execz .LBB229_20
; %bb.23:
	v_mul_lo_u32 v1, v11, s44
	v_mul_lo_u32 v12, v10, s45
	v_mad_u64_u32 v[14:15], null, v10, s44, 0
	v_mul_lo_u32 v18, v11, s50
	v_mul_lo_u32 v19, v10, s51
	v_mad_u64_u32 v[16:17], null, v10, s50, 0
	s_lshl_b64 s[0:1], s[46:47], 3
	v_add3_u32 v15, v15, v12, v1
	v_add_co_u32 v12, s2, s6, v0
	v_add_co_ci_u32_e64 v13, null, s7, 0, s2
	v_add3_u32 v17, v17, v19, v18
	v_lshlrev_b64 v[0:1], 3, v[14:15]
	s_add_u32 s0, s8, s0
	s_addc_u32 s1, s9, s1
	v_cmp_gt_i64_e32 vcc_lo, s[12:13], v[12:13]
	v_lshlrev_b64 v[16:17], 3, v[16:17]
	v_add_co_u32 v14, s0, s0, v0
	v_add_co_ci_u32_e64 v15, null, s1, v1, s0
	v_add_co_u32 v16, s0, s4, v16
	v_lshlrev_b64 v[0:1], 3, v[12:13]
	v_add_co_ci_u32_e64 v17, null, s3, v17, s0
	s_and_saveexec_b32 s1, vcc_lo
	s_cbranch_execz .LBB229_25
; %bb.24:
	v_add_co_u32 v18, s0, v14, v0
	v_add_co_ci_u32_e64 v19, null, v15, v1, s0
	flat_load_dwordx2 v[18:19], v[18:19]
	s_waitcnt vmcnt(0) lgkmcnt(0)
	v_mul_f64 v[18:19], s[40:41], v[18:19]
	v_fma_f64 v[8:9], s[18:19], v[8:9], v[18:19]
	v_add_co_u32 v18, s0, v16, v0
	v_add_co_ci_u32_e64 v19, null, v17, v1, s0
	flat_store_dwordx2 v[18:19], v[8:9]
.LBB229_25:
	s_or_b32 exec_lo, exec_lo, s1
	v_add_co_u32 v8, s0, v12, 16
	v_add_co_ci_u32_e64 v9, null, 0, v13, s0
	v_cmp_gt_i64_e64 s0, s[12:13], v[8:9]
	s_and_saveexec_b32 s2, s0
	s_cbranch_execz .LBB229_27
; %bb.26:
	v_add_co_u32 v8, s1, v14, v0
	v_add_co_ci_u32_e64 v9, null, v15, v1, s1
	flat_load_dwordx2 v[8:9], v[8:9] offset:128
	s_waitcnt vmcnt(0) lgkmcnt(0)
	v_mul_f64 v[8:9], s[40:41], v[8:9]
	v_fma_f64 v[6:7], s[18:19], v[6:7], v[8:9]
	v_add_co_u32 v8, s1, v16, v0
	v_add_co_ci_u32_e64 v9, null, v17, v1, s1
	flat_store_dwordx2 v[8:9], v[6:7] offset:128
.LBB229_27:
	s_or_b32 exec_lo, exec_lo, s2
	v_add_co_u32 v6, s1, v10, 16
	v_add_co_ci_u32_e64 v7, null, 0, v11, s1
	v_cmp_gt_i64_e64 s1, s[14:15], v[6:7]
	s_and_b32 exec_lo, exec_lo, s1
	s_cbranch_execz .LBB229_20
; %bb.28:
	s_lshl_b64 s[2:3], s[44:45], 7
	v_add_co_u32 v6, s1, v14, s2
	v_add_co_ci_u32_e64 v7, null, s3, v15, s1
	s_lshl_b64 s[2:3], s[50:51], 7
	v_add_co_u32 v8, s1, v16, s2
	v_add_co_ci_u32_e64 v9, null, s3, v17, s1
	v_add_co_u32 v6, s1, v6, v0
	v_add_co_ci_u32_e64 v7, null, v7, v1, s1
	;; [unrolled: 2-line block ×3, first 2 shown]
	s_and_saveexec_b32 s1, vcc_lo
	s_cbranch_execz .LBB229_30
; %bb.29:
	flat_load_dwordx2 v[8:9], v[6:7]
	s_waitcnt vmcnt(0) lgkmcnt(0)
	v_mul_f64 v[8:9], s[40:41], v[8:9]
	v_fma_f64 v[4:5], s[18:19], v[4:5], v[8:9]
	flat_store_dwordx2 v[0:1], v[4:5]
.LBB229_30:
	s_or_b32 exec_lo, exec_lo, s1
	s_and_b32 exec_lo, exec_lo, s0
	s_cbranch_execz .LBB229_20
; %bb.31:
	flat_load_dwordx2 v[4:5], v[6:7] offset:128
	s_waitcnt vmcnt(0) lgkmcnt(0)
	v_mul_f64 v[4:5], s[40:41], v[4:5]
	v_fma_f64 v[2:3], s[18:19], v[2:3], v[4:5]
	flat_store_dwordx2 v[0:1], v[2:3] offset:128
	s_endpgm
	.section	.rodata,"a",@progbits
	.p2align	6, 0x0
	.amdhsa_kernel _ZN12_GLOBAL__N_135rocblas_gemm_batched_general_kernelIdLi16ELi16ELi32ELi32ELi8ELi32ELi8ELi8ELi32ELc67ELc84EKPKdS3_KPdEEvlllT_PT11_llS8_llS6_PT12_llPT13_lli
		.amdhsa_group_segment_fixed_size 4096
		.amdhsa_private_segment_fixed_size 0
		.amdhsa_kernarg_size 140
		.amdhsa_user_sgpr_count 6
		.amdhsa_user_sgpr_private_segment_buffer 1
		.amdhsa_user_sgpr_dispatch_ptr 0
		.amdhsa_user_sgpr_queue_ptr 0
		.amdhsa_user_sgpr_kernarg_segment_ptr 1
		.amdhsa_user_sgpr_dispatch_id 0
		.amdhsa_user_sgpr_flat_scratch_init 0
		.amdhsa_user_sgpr_private_segment_size 0
		.amdhsa_wavefront_size32 1
		.amdhsa_uses_dynamic_stack 0
		.amdhsa_system_sgpr_private_segment_wavefront_offset 0
		.amdhsa_system_sgpr_workgroup_id_x 1
		.amdhsa_system_sgpr_workgroup_id_y 1
		.amdhsa_system_sgpr_workgroup_id_z 1
		.amdhsa_system_sgpr_workgroup_info 0
		.amdhsa_system_vgpr_workitem_id 1
		.amdhsa_next_free_vgpr 44
		.amdhsa_next_free_sgpr 52
		.amdhsa_reserve_vcc 1
		.amdhsa_reserve_flat_scratch 0
		.amdhsa_float_round_mode_32 0
		.amdhsa_float_round_mode_16_64 0
		.amdhsa_float_denorm_mode_32 3
		.amdhsa_float_denorm_mode_16_64 3
		.amdhsa_dx10_clamp 1
		.amdhsa_ieee_mode 1
		.amdhsa_fp16_overflow 0
		.amdhsa_workgroup_processor_mode 1
		.amdhsa_memory_ordered 1
		.amdhsa_forward_progress 1
		.amdhsa_shared_vgpr_count 0
		.amdhsa_exception_fp_ieee_invalid_op 0
		.amdhsa_exception_fp_denorm_src 0
		.amdhsa_exception_fp_ieee_div_zero 0
		.amdhsa_exception_fp_ieee_overflow 0
		.amdhsa_exception_fp_ieee_underflow 0
		.amdhsa_exception_fp_ieee_inexact 0
		.amdhsa_exception_int_div_zero 0
	.end_amdhsa_kernel
	.section	.text._ZN12_GLOBAL__N_135rocblas_gemm_batched_general_kernelIdLi16ELi16ELi32ELi32ELi8ELi32ELi8ELi8ELi32ELc67ELc84EKPKdS3_KPdEEvlllT_PT11_llS8_llS6_PT12_llPT13_lli,"axG",@progbits,_ZN12_GLOBAL__N_135rocblas_gemm_batched_general_kernelIdLi16ELi16ELi32ELi32ELi8ELi32ELi8ELi8ELi32ELc67ELc84EKPKdS3_KPdEEvlllT_PT11_llS8_llS6_PT12_llPT13_lli,comdat
.Lfunc_end229:
	.size	_ZN12_GLOBAL__N_135rocblas_gemm_batched_general_kernelIdLi16ELi16ELi32ELi32ELi8ELi32ELi8ELi8ELi32ELc67ELc84EKPKdS3_KPdEEvlllT_PT11_llS8_llS6_PT12_llPT13_lli, .Lfunc_end229-_ZN12_GLOBAL__N_135rocblas_gemm_batched_general_kernelIdLi16ELi16ELi32ELi32ELi8ELi32ELi8ELi8ELi32ELc67ELc84EKPKdS3_KPdEEvlllT_PT11_llS8_llS6_PT12_llPT13_lli
                                        ; -- End function
	.set _ZN12_GLOBAL__N_135rocblas_gemm_batched_general_kernelIdLi16ELi16ELi32ELi32ELi8ELi32ELi8ELi8ELi32ELc67ELc84EKPKdS3_KPdEEvlllT_PT11_llS8_llS6_PT12_llPT13_lli.num_vgpr, 44
	.set _ZN12_GLOBAL__N_135rocblas_gemm_batched_general_kernelIdLi16ELi16ELi32ELi32ELi8ELi32ELi8ELi8ELi32ELc67ELc84EKPKdS3_KPdEEvlllT_PT11_llS8_llS6_PT12_llPT13_lli.num_agpr, 0
	.set _ZN12_GLOBAL__N_135rocblas_gemm_batched_general_kernelIdLi16ELi16ELi32ELi32ELi8ELi32ELi8ELi8ELi32ELc67ELc84EKPKdS3_KPdEEvlllT_PT11_llS8_llS6_PT12_llPT13_lli.numbered_sgpr, 52
	.set _ZN12_GLOBAL__N_135rocblas_gemm_batched_general_kernelIdLi16ELi16ELi32ELi32ELi8ELi32ELi8ELi8ELi32ELc67ELc84EKPKdS3_KPdEEvlllT_PT11_llS8_llS6_PT12_llPT13_lli.num_named_barrier, 0
	.set _ZN12_GLOBAL__N_135rocblas_gemm_batched_general_kernelIdLi16ELi16ELi32ELi32ELi8ELi32ELi8ELi8ELi32ELc67ELc84EKPKdS3_KPdEEvlllT_PT11_llS8_llS6_PT12_llPT13_lli.private_seg_size, 0
	.set _ZN12_GLOBAL__N_135rocblas_gemm_batched_general_kernelIdLi16ELi16ELi32ELi32ELi8ELi32ELi8ELi8ELi32ELc67ELc84EKPKdS3_KPdEEvlllT_PT11_llS8_llS6_PT12_llPT13_lli.uses_vcc, 1
	.set _ZN12_GLOBAL__N_135rocblas_gemm_batched_general_kernelIdLi16ELi16ELi32ELi32ELi8ELi32ELi8ELi8ELi32ELc67ELc84EKPKdS3_KPdEEvlllT_PT11_llS8_llS6_PT12_llPT13_lli.uses_flat_scratch, 0
	.set _ZN12_GLOBAL__N_135rocblas_gemm_batched_general_kernelIdLi16ELi16ELi32ELi32ELi8ELi32ELi8ELi8ELi32ELc67ELc84EKPKdS3_KPdEEvlllT_PT11_llS8_llS6_PT12_llPT13_lli.has_dyn_sized_stack, 0
	.set _ZN12_GLOBAL__N_135rocblas_gemm_batched_general_kernelIdLi16ELi16ELi32ELi32ELi8ELi32ELi8ELi8ELi32ELc67ELc84EKPKdS3_KPdEEvlllT_PT11_llS8_llS6_PT12_llPT13_lli.has_recursion, 0
	.set _ZN12_GLOBAL__N_135rocblas_gemm_batched_general_kernelIdLi16ELi16ELi32ELi32ELi8ELi32ELi8ELi8ELi32ELc67ELc84EKPKdS3_KPdEEvlllT_PT11_llS8_llS6_PT12_llPT13_lli.has_indirect_call, 0
	.section	.AMDGPU.csdata,"",@progbits
; Kernel info:
; codeLenInByte = 2120
; TotalNumSgprs: 54
; NumVgprs: 44
; ScratchSize: 0
; MemoryBound: 0
; FloatMode: 240
; IeeeMode: 1
; LDSByteSize: 4096 bytes/workgroup (compile time only)
; SGPRBlocks: 0
; VGPRBlocks: 5
; NumSGPRsForWavesPerEU: 54
; NumVGPRsForWavesPerEU: 44
; Occupancy: 16
; WaveLimiterHint : 1
; COMPUTE_PGM_RSRC2:SCRATCH_EN: 0
; COMPUTE_PGM_RSRC2:USER_SGPR: 6
; COMPUTE_PGM_RSRC2:TRAP_HANDLER: 0
; COMPUTE_PGM_RSRC2:TGID_X_EN: 1
; COMPUTE_PGM_RSRC2:TGID_Y_EN: 1
; COMPUTE_PGM_RSRC2:TGID_Z_EN: 1
; COMPUTE_PGM_RSRC2:TIDIG_COMP_CNT: 1
	.section	.text._ZN12_GLOBAL__N_135rocblas_gemm_batched_general_kernelIdLi16ELi16ELi32ELi32ELi8ELi32ELi8ELi8ELi32ELc78ELc67EKPKdS3_KPdEEvlllT_PT11_llS8_llS6_PT12_llPT13_lli,"axG",@progbits,_ZN12_GLOBAL__N_135rocblas_gemm_batched_general_kernelIdLi16ELi16ELi32ELi32ELi8ELi32ELi8ELi8ELi32ELc78ELc67EKPKdS3_KPdEEvlllT_PT11_llS8_llS6_PT12_llPT13_lli,comdat
	.globl	_ZN12_GLOBAL__N_135rocblas_gemm_batched_general_kernelIdLi16ELi16ELi32ELi32ELi8ELi32ELi8ELi8ELi32ELc78ELc67EKPKdS3_KPdEEvlllT_PT11_llS8_llS6_PT12_llPT13_lli ; -- Begin function _ZN12_GLOBAL__N_135rocblas_gemm_batched_general_kernelIdLi16ELi16ELi32ELi32ELi8ELi32ELi8ELi8ELi32ELc78ELc67EKPKdS3_KPdEEvlllT_PT11_llS8_llS6_PT12_llPT13_lli
	.p2align	8
	.type	_ZN12_GLOBAL__N_135rocblas_gemm_batched_general_kernelIdLi16ELi16ELi32ELi32ELi8ELi32ELi8ELi8ELi32ELc78ELc67EKPKdS3_KPdEEvlllT_PT11_llS8_llS6_PT12_llPT13_lli,@function
_ZN12_GLOBAL__N_135rocblas_gemm_batched_general_kernelIdLi16ELi16ELi32ELi32ELi8ELi32ELi8ELi8ELi32ELc78ELc67EKPKdS3_KPdEEvlllT_PT11_llS8_llS6_PT12_llPT13_lli: ; @_ZN12_GLOBAL__N_135rocblas_gemm_batched_general_kernelIdLi16ELi16ELi32ELi32ELi8ELi32ELi8ELi8ELi32ELc78ELc67EKPKdS3_KPdEEvlllT_PT11_llS8_llS6_PT12_llPT13_lli
; %bb.0:
	s_clause 0x1
	s_load_dwordx16 s[36:51], s[4:5], 0x40
	s_load_dwordx16 s[12:27], s[4:5], 0x0
	s_mov_b32 s9, 0
	s_mov_b32 s30, s7
	s_lshl_b64 s[0:1], s[8:9], 3
	s_waitcnt lgkmcnt(0)
	s_add_u32 s2, s42, s0
	s_addc_u32 s3, s43, s1
	s_add_u32 s10, s48, s0
	s_addc_u32 s11, s49, s1
	s_load_dwordx2 s[8:9], s[2:3], 0x0
	s_load_dwordx2 s[2:3], s[10:11], 0x0
	v_cmp_lt_i64_e64 s28, s[16:17], 1
	s_ashr_i32 s7, s6, 31
	s_ashr_i32 s31, s30, 31
	s_lshl_b64 s[10:11], s[6:7], 5
	s_and_b32 vcc_lo, exec_lo, s28
	s_lshl_b64 s[28:29], s[30:31], 5
	s_cbranch_vccnz .LBB230_7
; %bb.1:
	v_lshl_add_u32 v11, v1, 4, v0
	v_and_b32_e32 v18, 7, v0
	s_add_u32 s26, s26, s0
	s_addc_u32 s27, s27, s1
	s_add_u32 s0, s20, s0
	v_lshrrev_b32_e32 v10, 3, v11
	v_mad_u64_u32 v[2:3], null, s36, v18, 0
	s_addc_u32 s1, s21, s1
	s_load_dwordx2 s[20:21], s[26:27], 0x0
	s_load_dwordx2 s[26:27], s[0:1], 0x0
	v_add_co_u32 v4, s0, v10, s28
	v_lshrrev_b32_e32 v19, 5, v11
	v_lshlrev_b32_e32 v13, 3, v18
	v_add_co_ci_u32_e64 v5, null, 0, s29, s0
	v_mad_u64_u32 v[8:9], null, s37, v18, v[3:4]
	v_lshl_or_b32 v13, v10, 6, v13
	v_mad_u64_u32 v[9:10], null, s22, v19, 0
	v_cmp_gt_i64_e64 s1, s[14:15], v[4:5]
	s_lshl_b64 s[30:31], s[30:31], 8
	s_lshl_b64 s[34:35], s[38:39], 3
	v_mov_b32_e32 v3, v8
	s_add_u32 s30, s34, s30
	s_addc_u32 s31, s35, s31
	v_mov_b32_e32 v4, v10
	v_and_b32_e32 v12, 31, v11
	v_lshlrev_b64 v[2:3], 3, v[2:3]
	s_lshl_b64 s[24:25], s[24:25], 3
	v_mov_b32_e32 v7, s11
	v_mad_u64_u32 v[4:5], null, s23, v19, v[4:5]
	v_and_b32_e32 v5, 0x1ff8, v11
	v_add_co_u32 v2, vcc_lo, s30, v2
	v_add_co_ci_u32_e64 v3, null, s31, v3, vcc_lo
	s_lshl_b64 s[30:31], s[6:7], 8
	v_mov_b32_e32 v10, v4
	v_add_co_u32 v4, vcc_lo, v2, v5
	v_add_co_ci_u32_e64 v5, null, 0, v3, vcc_lo
	v_lshlrev_b64 v[2:3], 3, v[9:10]
	s_lshl_b64 s[6:7], s[36:37], 6
	s_add_u32 s24, s24, s30
	v_or_b32_e32 v6, s10, v12
	v_lshlrev_b32_e32 v12, 3, v12
	s_addc_u32 s25, s25, s31
	v_add_co_u32 v2, vcc_lo, s24, v2
	v_add_co_ci_u32_e64 v3, null, s25, v3, vcc_lo
	s_waitcnt lgkmcnt(0)
	v_add_co_u32 v10, vcc_lo, s20, v4
	v_lshl_or_b32 v20, v19, 8, v12
	v_add_co_ci_u32_e64 v11, null, s21, v5, vcc_lo
	v_add_co_u32 v12, vcc_lo, v2, v12
	v_add_nc_u32_e32 v21, 0x800, v13
	v_add_co_ci_u32_e64 v13, null, 0, v3, vcc_lo
	v_add_co_u32 v12, vcc_lo, s26, v12
	v_cmp_gt_i64_e64 s0, s[12:13], v[6:7]
	v_mov_b32_e32 v2, 0
	v_mov_b32_e32 v4, 0
	;; [unrolled: 1-line block ×4, first 2 shown]
	v_lshlrev_b32_e32 v22, 3, v0
	v_lshl_add_u32 v23, v1, 6, 0x800
	v_mov_b32_e32 v3, 0
	v_mov_b32_e32 v5, 0
	;; [unrolled: 1-line block ×4, first 2 shown]
	v_add_co_ci_u32_e64 v13, null, s27, v13, vcc_lo
	s_lshl_b64 s[20:21], s[22:23], 6
	s_mov_b64 s[22:23], 0
	s_branch .LBB230_3
.LBB230_2:                              ;   in Loop: Header=BB230_3 Depth=1
	s_or_b32 exec_lo, exec_lo, s24
	s_waitcnt vmcnt(0) lgkmcnt(0)
	ds_write_b64 v21, v[16:17]
	s_waitcnt lgkmcnt(0)
	s_barrier
	buffer_gl0_inv
	ds_read_b128 v[14:17], v23
	ds_read2_b64 v[24:27], v22 offset1:16
	ds_read_b128 v[28:31], v23 offset:1024
	ds_read_b128 v[32:35], v23 offset:16
	ds_read2_b64 v[36:39], v22 offset0:32 offset1:48
	ds_read_b128 v[40:43], v23 offset:1040
	s_add_u32 s22, s22, 8
	s_addc_u32 s23, s23, 0
	v_add_co_u32 v10, vcc_lo, v10, s6
	v_cmp_lt_i64_e64 s24, s[22:23], s[16:17]
	v_add_co_ci_u32_e64 v11, null, s7, v11, vcc_lo
	v_add_co_u32 v12, vcc_lo, v12, s20
	v_add_co_ci_u32_e64 v13, null, s21, v13, vcc_lo
	s_and_b32 vcc_lo, exec_lo, s24
	s_waitcnt lgkmcnt(4)
	v_fma_f64 v[8:9], v[24:25], v[14:15], v[8:9]
	v_fma_f64 v[6:7], v[26:27], v[14:15], v[6:7]
	s_waitcnt lgkmcnt(3)
	v_fma_f64 v[14:15], v[24:25], v[28:29], v[4:5]
	v_fma_f64 v[24:25], v[26:27], v[28:29], v[2:3]
	ds_read2_b64 v[2:5], v22 offset0:64 offset1:80
	s_waitcnt lgkmcnt(2)
	v_fma_f64 v[26:27], v[36:37], v[16:17], v[8:9]
	v_fma_f64 v[16:17], v[38:39], v[16:17], v[6:7]
	;; [unrolled: 1-line block ×4, first 2 shown]
	ds_read2_b64 v[6:9], v22 offset0:96 offset1:112
	s_waitcnt lgkmcnt(1)
	v_fma_f64 v[26:27], v[2:3], v[32:33], v[26:27]
	v_fma_f64 v[28:29], v[4:5], v[32:33], v[16:17]
	;; [unrolled: 1-line block ×4, first 2 shown]
	ds_read_b128 v[2:5], v23 offset:32
	ds_read2_b64 v[14:17], v22 offset0:128 offset1:144
	s_waitcnt lgkmcnt(2)
	v_fma_f64 v[36:37], v[6:7], v[34:35], v[26:27]
	v_fma_f64 v[38:39], v[8:9], v[34:35], v[28:29]
	;; [unrolled: 1-line block ×4, first 2 shown]
	ds_read_b128 v[6:9], v23 offset:1056
	ds_read_b128 v[24:27], v23 offset:48
	ds_read2_b64 v[28:31], v22 offset0:160 offset1:176
	ds_read_b128 v[32:35], v23 offset:1072
	s_waitcnt lgkmcnt(4)
	v_fma_f64 v[36:37], v[14:15], v[2:3], v[36:37]
	v_fma_f64 v[2:3], v[16:17], v[2:3], v[38:39]
	s_waitcnt lgkmcnt(3)
	v_fma_f64 v[38:39], v[14:15], v[6:7], v[40:41]
	v_fma_f64 v[6:7], v[16:17], v[6:7], v[42:43]
	ds_read2_b64 v[14:17], v22 offset0:192 offset1:208
	s_waitcnt lgkmcnt(2)
	v_fma_f64 v[36:37], v[28:29], v[4:5], v[36:37]
	v_fma_f64 v[2:3], v[30:31], v[4:5], v[2:3]
	;; [unrolled: 1-line block ×4, first 2 shown]
	ds_read2_b64 v[28:31], v22 offset0:224 offset1:240
	s_waitcnt lgkmcnt(0)
	s_barrier
	buffer_gl0_inv
	v_fma_f64 v[8:9], v[14:15], v[24:25], v[36:37]
	v_fma_f64 v[2:3], v[16:17], v[24:25], v[2:3]
	;; [unrolled: 1-line block ×8, first 2 shown]
	s_cbranch_vccz .LBB230_8
.LBB230_3:                              ; =>This Inner Loop Header: Depth=1
	v_add_co_u32 v14, s24, v19, s22
	v_add_co_ci_u32_e64 v15, null, 0, s23, s24
	v_cmp_gt_i64_e32 vcc_lo, s[16:17], v[14:15]
	v_mov_b32_e32 v14, 0
	v_mov_b32_e32 v15, 0
	s_and_b32 s25, s0, vcc_lo
	s_and_saveexec_b32 s24, s25
	s_cbranch_execz .LBB230_5
; %bb.4:                                ;   in Loop: Header=BB230_3 Depth=1
	flat_load_dwordx2 v[14:15], v[12:13]
.LBB230_5:                              ;   in Loop: Header=BB230_3 Depth=1
	s_or_b32 exec_lo, exec_lo, s24
	v_add_co_u32 v16, s24, v18, s22
	v_add_co_ci_u32_e64 v17, null, 0, s23, s24
	s_waitcnt vmcnt(0) lgkmcnt(0)
	ds_write_b64 v20, v[14:15]
	v_cmp_gt_i64_e32 vcc_lo, s[16:17], v[16:17]
	v_mov_b32_e32 v16, 0
	v_mov_b32_e32 v17, 0
	s_and_b32 s25, vcc_lo, s1
	s_and_saveexec_b32 s24, s25
	s_cbranch_execz .LBB230_2
; %bb.6:                                ;   in Loop: Header=BB230_3 Depth=1
	flat_load_dwordx2 v[16:17], v[10:11]
	s_branch .LBB230_2
.LBB230_7:
	v_mov_b32_e32 v8, 0
	v_mov_b32_e32 v6, 0
	;; [unrolled: 1-line block ×8, first 2 shown]
.LBB230_8:
	s_load_dwordx2 s[0:1], s[4:5], 0x80
	v_cmp_neq_f64_e64 s6, s[40:41], 0
	v_add_co_u32 v10, s4, s28, v1
	v_add_co_ci_u32_e64 v11, null, s29, 0, s4
	s_waitcnt lgkmcnt(0)
	s_lshl_b64 s[4:5], s[0:1], 3
	v_cmp_gt_i64_e64 s0, s[14:15], v[10:11]
	s_add_u32 s4, s2, s4
	s_addc_u32 s3, s3, s5
	s_and_b32 vcc_lo, exec_lo, s6
	s_cbranch_vccnz .LBB230_21
; %bb.9:
	s_and_saveexec_b32 s5, s0
	s_cbranch_execz .LBB230_19
; %bb.10:
	v_mul_lo_u32 v1, v11, s50
	v_mul_lo_u32 v14, v10, s51
	v_mad_u64_u32 v[12:13], null, v10, s50, 0
	v_add3_u32 v13, v13, v14, v1
	v_add_co_u32 v14, s1, s10, v0
	v_add_co_ci_u32_e64 v15, null, s11, 0, s1
	v_lshlrev_b64 v[16:17], 3, v[12:13]
	v_cmp_gt_i64_e32 vcc_lo, s[12:13], v[14:15]
	v_lshlrev_b64 v[12:13], 3, v[14:15]
	v_add_co_u32 v1, s1, s4, v16
	v_add_co_ci_u32_e64 v16, null, s3, v17, s1
	s_and_saveexec_b32 s2, vcc_lo
	s_cbranch_execz .LBB230_12
; %bb.11:
	v_mul_f64 v[17:18], s[18:19], v[8:9]
	v_add_co_u32 v19, s1, v1, v12
	v_add_co_ci_u32_e64 v20, null, v16, v13, s1
	flat_store_dwordx2 v[19:20], v[17:18]
.LBB230_12:
	s_or_b32 exec_lo, exec_lo, s2
	v_add_co_u32 v14, s1, v14, 16
	v_add_co_ci_u32_e64 v15, null, 0, v15, s1
	v_cmp_gt_i64_e64 s1, s[12:13], v[14:15]
	s_and_saveexec_b32 s6, s1
	s_cbranch_execz .LBB230_14
; %bb.13:
	v_mul_f64 v[14:15], s[18:19], v[6:7]
	v_add_co_u32 v17, s2, v1, v12
	v_add_co_ci_u32_e64 v18, null, v16, v13, s2
	flat_store_dwordx2 v[17:18], v[14:15] offset:128
.LBB230_14:
	s_or_b32 exec_lo, exec_lo, s6
	v_add_co_u32 v14, s2, v10, 16
	v_add_co_ci_u32_e64 v15, null, 0, v11, s2
	v_cmp_gt_i64_e64 s2, s[14:15], v[14:15]
	s_and_b32 exec_lo, exec_lo, s2
	s_cbranch_execz .LBB230_19
; %bb.15:
	s_lshl_b64 s[6:7], s[50:51], 7
	v_add_co_u32 v1, s2, v1, s6
	v_add_co_ci_u32_e64 v14, null, s7, v16, s2
	v_add_co_u32 v12, s2, v1, v12
	v_add_co_ci_u32_e64 v13, null, v14, v13, s2
	s_and_saveexec_b32 s2, vcc_lo
	s_cbranch_execz .LBB230_17
; %bb.16:
	v_mul_f64 v[14:15], s[18:19], v[4:5]
	flat_store_dwordx2 v[12:13], v[14:15]
.LBB230_17:
	s_or_b32 exec_lo, exec_lo, s2
	s_and_b32 exec_lo, exec_lo, s1
	s_cbranch_execz .LBB230_19
; %bb.18:
	v_mul_f64 v[14:15], s[18:19], v[2:3]
	flat_store_dwordx2 v[12:13], v[14:15] offset:128
.LBB230_19:
	s_or_b32 exec_lo, exec_lo, s5
	s_cbranch_execz .LBB230_22
.LBB230_20:
	s_endpgm
.LBB230_21:
.LBB230_22:
	s_and_saveexec_b32 s1, s0
	s_cbranch_execz .LBB230_20
; %bb.23:
	v_mul_lo_u32 v1, v11, s44
	v_mul_lo_u32 v12, v10, s45
	v_mad_u64_u32 v[14:15], null, v10, s44, 0
	v_mul_lo_u32 v18, v11, s50
	v_mul_lo_u32 v19, v10, s51
	v_mad_u64_u32 v[16:17], null, v10, s50, 0
	s_lshl_b64 s[0:1], s[46:47], 3
	v_add3_u32 v15, v15, v12, v1
	v_add_co_u32 v12, s2, s10, v0
	v_add_co_ci_u32_e64 v13, null, s11, 0, s2
	v_add3_u32 v17, v17, v19, v18
	v_lshlrev_b64 v[0:1], 3, v[14:15]
	s_add_u32 s0, s8, s0
	s_addc_u32 s1, s9, s1
	v_cmp_gt_i64_e32 vcc_lo, s[12:13], v[12:13]
	v_lshlrev_b64 v[16:17], 3, v[16:17]
	v_add_co_u32 v14, s0, s0, v0
	v_add_co_ci_u32_e64 v15, null, s1, v1, s0
	v_add_co_u32 v16, s0, s4, v16
	v_lshlrev_b64 v[0:1], 3, v[12:13]
	v_add_co_ci_u32_e64 v17, null, s3, v17, s0
	s_and_saveexec_b32 s1, vcc_lo
	s_cbranch_execz .LBB230_25
; %bb.24:
	v_add_co_u32 v18, s0, v14, v0
	v_add_co_ci_u32_e64 v19, null, v15, v1, s0
	flat_load_dwordx2 v[18:19], v[18:19]
	s_waitcnt vmcnt(0) lgkmcnt(0)
	v_mul_f64 v[18:19], s[40:41], v[18:19]
	v_fma_f64 v[8:9], s[18:19], v[8:9], v[18:19]
	v_add_co_u32 v18, s0, v16, v0
	v_add_co_ci_u32_e64 v19, null, v17, v1, s0
	flat_store_dwordx2 v[18:19], v[8:9]
.LBB230_25:
	s_or_b32 exec_lo, exec_lo, s1
	v_add_co_u32 v8, s0, v12, 16
	v_add_co_ci_u32_e64 v9, null, 0, v13, s0
	v_cmp_gt_i64_e64 s0, s[12:13], v[8:9]
	s_and_saveexec_b32 s2, s0
	s_cbranch_execz .LBB230_27
; %bb.26:
	v_add_co_u32 v8, s1, v14, v0
	v_add_co_ci_u32_e64 v9, null, v15, v1, s1
	flat_load_dwordx2 v[8:9], v[8:9] offset:128
	s_waitcnt vmcnt(0) lgkmcnt(0)
	v_mul_f64 v[8:9], s[40:41], v[8:9]
	v_fma_f64 v[6:7], s[18:19], v[6:7], v[8:9]
	v_add_co_u32 v8, s1, v16, v0
	v_add_co_ci_u32_e64 v9, null, v17, v1, s1
	flat_store_dwordx2 v[8:9], v[6:7] offset:128
.LBB230_27:
	s_or_b32 exec_lo, exec_lo, s2
	v_add_co_u32 v6, s1, v10, 16
	v_add_co_ci_u32_e64 v7, null, 0, v11, s1
	v_cmp_gt_i64_e64 s1, s[14:15], v[6:7]
	s_and_b32 exec_lo, exec_lo, s1
	s_cbranch_execz .LBB230_20
; %bb.28:
	s_lshl_b64 s[2:3], s[44:45], 7
	v_add_co_u32 v6, s1, v14, s2
	v_add_co_ci_u32_e64 v7, null, s3, v15, s1
	s_lshl_b64 s[2:3], s[50:51], 7
	v_add_co_u32 v8, s1, v16, s2
	v_add_co_ci_u32_e64 v9, null, s3, v17, s1
	v_add_co_u32 v6, s1, v6, v0
	v_add_co_ci_u32_e64 v7, null, v7, v1, s1
	;; [unrolled: 2-line block ×3, first 2 shown]
	s_and_saveexec_b32 s1, vcc_lo
	s_cbranch_execz .LBB230_30
; %bb.29:
	flat_load_dwordx2 v[8:9], v[6:7]
	s_waitcnt vmcnt(0) lgkmcnt(0)
	v_mul_f64 v[8:9], s[40:41], v[8:9]
	v_fma_f64 v[4:5], s[18:19], v[4:5], v[8:9]
	flat_store_dwordx2 v[0:1], v[4:5]
.LBB230_30:
	s_or_b32 exec_lo, exec_lo, s1
	s_and_b32 exec_lo, exec_lo, s0
	s_cbranch_execz .LBB230_20
; %bb.31:
	flat_load_dwordx2 v[4:5], v[6:7] offset:128
	s_waitcnt vmcnt(0) lgkmcnt(0)
	v_mul_f64 v[4:5], s[40:41], v[4:5]
	v_fma_f64 v[2:3], s[18:19], v[2:3], v[4:5]
	flat_store_dwordx2 v[0:1], v[2:3] offset:128
	s_endpgm
	.section	.rodata,"a",@progbits
	.p2align	6, 0x0
	.amdhsa_kernel _ZN12_GLOBAL__N_135rocblas_gemm_batched_general_kernelIdLi16ELi16ELi32ELi32ELi8ELi32ELi8ELi8ELi32ELc78ELc67EKPKdS3_KPdEEvlllT_PT11_llS8_llS6_PT12_llPT13_lli
		.amdhsa_group_segment_fixed_size 4096
		.amdhsa_private_segment_fixed_size 0
		.amdhsa_kernarg_size 140
		.amdhsa_user_sgpr_count 6
		.amdhsa_user_sgpr_private_segment_buffer 1
		.amdhsa_user_sgpr_dispatch_ptr 0
		.amdhsa_user_sgpr_queue_ptr 0
		.amdhsa_user_sgpr_kernarg_segment_ptr 1
		.amdhsa_user_sgpr_dispatch_id 0
		.amdhsa_user_sgpr_flat_scratch_init 0
		.amdhsa_user_sgpr_private_segment_size 0
		.amdhsa_wavefront_size32 1
		.amdhsa_uses_dynamic_stack 0
		.amdhsa_system_sgpr_private_segment_wavefront_offset 0
		.amdhsa_system_sgpr_workgroup_id_x 1
		.amdhsa_system_sgpr_workgroup_id_y 1
		.amdhsa_system_sgpr_workgroup_id_z 1
		.amdhsa_system_sgpr_workgroup_info 0
		.amdhsa_system_vgpr_workitem_id 1
		.amdhsa_next_free_vgpr 44
		.amdhsa_next_free_sgpr 52
		.amdhsa_reserve_vcc 1
		.amdhsa_reserve_flat_scratch 0
		.amdhsa_float_round_mode_32 0
		.amdhsa_float_round_mode_16_64 0
		.amdhsa_float_denorm_mode_32 3
		.amdhsa_float_denorm_mode_16_64 3
		.amdhsa_dx10_clamp 1
		.amdhsa_ieee_mode 1
		.amdhsa_fp16_overflow 0
		.amdhsa_workgroup_processor_mode 1
		.amdhsa_memory_ordered 1
		.amdhsa_forward_progress 1
		.amdhsa_shared_vgpr_count 0
		.amdhsa_exception_fp_ieee_invalid_op 0
		.amdhsa_exception_fp_denorm_src 0
		.amdhsa_exception_fp_ieee_div_zero 0
		.amdhsa_exception_fp_ieee_overflow 0
		.amdhsa_exception_fp_ieee_underflow 0
		.amdhsa_exception_fp_ieee_inexact 0
		.amdhsa_exception_int_div_zero 0
	.end_amdhsa_kernel
	.section	.text._ZN12_GLOBAL__N_135rocblas_gemm_batched_general_kernelIdLi16ELi16ELi32ELi32ELi8ELi32ELi8ELi8ELi32ELc78ELc67EKPKdS3_KPdEEvlllT_PT11_llS8_llS6_PT12_llPT13_lli,"axG",@progbits,_ZN12_GLOBAL__N_135rocblas_gemm_batched_general_kernelIdLi16ELi16ELi32ELi32ELi8ELi32ELi8ELi8ELi32ELc78ELc67EKPKdS3_KPdEEvlllT_PT11_llS8_llS6_PT12_llPT13_lli,comdat
.Lfunc_end230:
	.size	_ZN12_GLOBAL__N_135rocblas_gemm_batched_general_kernelIdLi16ELi16ELi32ELi32ELi8ELi32ELi8ELi8ELi32ELc78ELc67EKPKdS3_KPdEEvlllT_PT11_llS8_llS6_PT12_llPT13_lli, .Lfunc_end230-_ZN12_GLOBAL__N_135rocblas_gemm_batched_general_kernelIdLi16ELi16ELi32ELi32ELi8ELi32ELi8ELi8ELi32ELc78ELc67EKPKdS3_KPdEEvlllT_PT11_llS8_llS6_PT12_llPT13_lli
                                        ; -- End function
	.set _ZN12_GLOBAL__N_135rocblas_gemm_batched_general_kernelIdLi16ELi16ELi32ELi32ELi8ELi32ELi8ELi8ELi32ELc78ELc67EKPKdS3_KPdEEvlllT_PT11_llS8_llS6_PT12_llPT13_lli.num_vgpr, 44
	.set _ZN12_GLOBAL__N_135rocblas_gemm_batched_general_kernelIdLi16ELi16ELi32ELi32ELi8ELi32ELi8ELi8ELi32ELc78ELc67EKPKdS3_KPdEEvlllT_PT11_llS8_llS6_PT12_llPT13_lli.num_agpr, 0
	.set _ZN12_GLOBAL__N_135rocblas_gemm_batched_general_kernelIdLi16ELi16ELi32ELi32ELi8ELi32ELi8ELi8ELi32ELc78ELc67EKPKdS3_KPdEEvlllT_PT11_llS8_llS6_PT12_llPT13_lli.numbered_sgpr, 52
	.set _ZN12_GLOBAL__N_135rocblas_gemm_batched_general_kernelIdLi16ELi16ELi32ELi32ELi8ELi32ELi8ELi8ELi32ELc78ELc67EKPKdS3_KPdEEvlllT_PT11_llS8_llS6_PT12_llPT13_lli.num_named_barrier, 0
	.set _ZN12_GLOBAL__N_135rocblas_gemm_batched_general_kernelIdLi16ELi16ELi32ELi32ELi8ELi32ELi8ELi8ELi32ELc78ELc67EKPKdS3_KPdEEvlllT_PT11_llS8_llS6_PT12_llPT13_lli.private_seg_size, 0
	.set _ZN12_GLOBAL__N_135rocblas_gemm_batched_general_kernelIdLi16ELi16ELi32ELi32ELi8ELi32ELi8ELi8ELi32ELc78ELc67EKPKdS3_KPdEEvlllT_PT11_llS8_llS6_PT12_llPT13_lli.uses_vcc, 1
	.set _ZN12_GLOBAL__N_135rocblas_gemm_batched_general_kernelIdLi16ELi16ELi32ELi32ELi8ELi32ELi8ELi8ELi32ELc78ELc67EKPKdS3_KPdEEvlllT_PT11_llS8_llS6_PT12_llPT13_lli.uses_flat_scratch, 0
	.set _ZN12_GLOBAL__N_135rocblas_gemm_batched_general_kernelIdLi16ELi16ELi32ELi32ELi8ELi32ELi8ELi8ELi32ELc78ELc67EKPKdS3_KPdEEvlllT_PT11_llS8_llS6_PT12_llPT13_lli.has_dyn_sized_stack, 0
	.set _ZN12_GLOBAL__N_135rocblas_gemm_batched_general_kernelIdLi16ELi16ELi32ELi32ELi8ELi32ELi8ELi8ELi32ELc78ELc67EKPKdS3_KPdEEvlllT_PT11_llS8_llS6_PT12_llPT13_lli.has_recursion, 0
	.set _ZN12_GLOBAL__N_135rocblas_gemm_batched_general_kernelIdLi16ELi16ELi32ELi32ELi8ELi32ELi8ELi8ELi32ELc78ELc67EKPKdS3_KPdEEvlllT_PT11_llS8_llS6_PT12_llPT13_lli.has_indirect_call, 0
	.section	.AMDGPU.csdata,"",@progbits
; Kernel info:
; codeLenInByte = 2104
; TotalNumSgprs: 54
; NumVgprs: 44
; ScratchSize: 0
; MemoryBound: 0
; FloatMode: 240
; IeeeMode: 1
; LDSByteSize: 4096 bytes/workgroup (compile time only)
; SGPRBlocks: 0
; VGPRBlocks: 5
; NumSGPRsForWavesPerEU: 54
; NumVGPRsForWavesPerEU: 44
; Occupancy: 16
; WaveLimiterHint : 1
; COMPUTE_PGM_RSRC2:SCRATCH_EN: 0
; COMPUTE_PGM_RSRC2:USER_SGPR: 6
; COMPUTE_PGM_RSRC2:TRAP_HANDLER: 0
; COMPUTE_PGM_RSRC2:TGID_X_EN: 1
; COMPUTE_PGM_RSRC2:TGID_Y_EN: 1
; COMPUTE_PGM_RSRC2:TGID_Z_EN: 1
; COMPUTE_PGM_RSRC2:TIDIG_COMP_CNT: 1
	.section	.text._ZN12_GLOBAL__N_135rocblas_gemm_batched_general_kernelIdLi16ELi16ELi32ELi32ELi8ELi32ELi8ELi8ELi32ELc84ELc67EKPKdS3_KPdEEvlllT_PT11_llS8_llS6_PT12_llPT13_lli,"axG",@progbits,_ZN12_GLOBAL__N_135rocblas_gemm_batched_general_kernelIdLi16ELi16ELi32ELi32ELi8ELi32ELi8ELi8ELi32ELc84ELc67EKPKdS3_KPdEEvlllT_PT11_llS8_llS6_PT12_llPT13_lli,comdat
	.globl	_ZN12_GLOBAL__N_135rocblas_gemm_batched_general_kernelIdLi16ELi16ELi32ELi32ELi8ELi32ELi8ELi8ELi32ELc84ELc67EKPKdS3_KPdEEvlllT_PT11_llS8_llS6_PT12_llPT13_lli ; -- Begin function _ZN12_GLOBAL__N_135rocblas_gemm_batched_general_kernelIdLi16ELi16ELi32ELi32ELi8ELi32ELi8ELi8ELi32ELc84ELc67EKPKdS3_KPdEEvlllT_PT11_llS8_llS6_PT12_llPT13_lli
	.p2align	8
	.type	_ZN12_GLOBAL__N_135rocblas_gemm_batched_general_kernelIdLi16ELi16ELi32ELi32ELi8ELi32ELi8ELi8ELi32ELc84ELc67EKPKdS3_KPdEEvlllT_PT11_llS8_llS6_PT12_llPT13_lli,@function
_ZN12_GLOBAL__N_135rocblas_gemm_batched_general_kernelIdLi16ELi16ELi32ELi32ELi8ELi32ELi8ELi8ELi32ELc84ELc67EKPKdS3_KPdEEvlllT_PT11_llS8_llS6_PT12_llPT13_lli: ; @_ZN12_GLOBAL__N_135rocblas_gemm_batched_general_kernelIdLi16ELi16ELi32ELi32ELi8ELi32ELi8ELi8ELi32ELc84ELc67EKPKdS3_KPdEEvlllT_PT11_llS8_llS6_PT12_llPT13_lli
; %bb.0:
	s_clause 0x1
	s_load_dwordx16 s[36:51], s[4:5], 0x40
	s_load_dwordx16 s[12:27], s[4:5], 0x0
	s_mov_b32 s9, 0
	s_mov_b32 s28, s7
	s_lshl_b64 s[0:1], s[8:9], 3
	s_waitcnt lgkmcnt(0)
	s_add_u32 s2, s42, s0
	s_addc_u32 s3, s43, s1
	s_add_u32 s10, s48, s0
	s_addc_u32 s11, s49, s1
	s_load_dwordx2 s[8:9], s[2:3], 0x0
	s_load_dwordx2 s[2:3], s[10:11], 0x0
	v_cmp_lt_i64_e64 s10, s[16:17], 1
	s_ashr_i32 s7, s6, 31
	s_ashr_i32 s29, s28, 31
	s_lshl_b64 s[6:7], s[6:7], 5
	s_and_b32 vcc_lo, exec_lo, s10
	s_lshl_b64 s[10:11], s[28:29], 5
	s_cbranch_vccnz .LBB231_7
; %bb.1:
	v_lshl_add_u32 v8, v1, 4, v0
	v_and_b32_e32 v18, 7, v0
	s_add_u32 s26, s26, s0
	s_addc_u32 s27, s27, s1
	v_mov_b32_e32 v3, s7
	v_and_b32_e32 v9, 31, v8
	v_mad_u64_u32 v[4:5], null, s36, v18, 0
	v_lshrrev_b32_e32 v10, 3, v8
	s_add_u32 s0, s20, s0
	v_or_b32_e32 v2, s6, v9
	s_addc_u32 s1, s21, s1
	s_load_dwordx2 s[20:21], s[26:27], 0x0
	s_load_dwordx2 s[26:27], s[0:1], 0x0
	v_add_co_u32 v6, s0, v10, s10
	v_add_co_ci_u32_e64 v7, null, 0, s11, s0
	v_cmp_gt_i64_e64 s0, s[12:13], v[2:3]
	v_mov_b32_e32 v2, v5
	v_lshlrev_b32_e32 v5, 3, v18
	v_cmp_gt_i64_e64 s1, s[14:15], v[6:7]
	v_add_co_u32 v6, s30, s6, v9
	v_mad_u64_u32 v[2:3], null, s37, v18, v[2:3]
	v_lshl_or_b32 v3, v10, 6, v5
	v_add_co_ci_u32_e64 v7, null, s7, 0, s30
	v_lshlrev_b32_e32 v11, 3, v9
	v_mul_lo_u32 v9, s23, v6
	v_add_nc_u32_e32 v21, 0x800, v3
	v_mov_b32_e32 v5, v2
	v_mul_lo_u32 v7, s22, v7
	v_mad_u64_u32 v[2:3], null, s22, v6, 0
	s_lshl_b64 s[22:23], s[28:29], 8
	v_lshlrev_b64 v[4:5], 3, v[4:5]
	s_lshl_b64 s[28:29], s[38:39], 3
	v_and_b32_e32 v6, 0x1ff8, v8
	s_add_u32 s22, s28, s22
	s_addc_u32 s23, s29, s23
	v_add3_u32 v3, v3, v7, v9
	v_add_co_u32 v4, vcc_lo, s22, v4
	v_lshrrev_b32_e32 v19, 5, v8
	v_add_co_ci_u32_e64 v5, null, s23, v5, vcc_lo
	v_lshlrev_b64 v[2:3], 3, v[2:3]
	v_add_co_u32 v4, vcc_lo, v4, v6
	s_lshl_b64 s[22:23], s[24:25], 3
	v_add_co_ci_u32_e64 v5, null, 0, v5, vcc_lo
	v_add_co_u32 v2, vcc_lo, v2, s22
	v_lshlrev_b32_e32 v6, 3, v19
	v_add_co_ci_u32_e64 v3, null, s23, v3, vcc_lo
	s_waitcnt lgkmcnt(0)
	v_add_co_u32 v10, vcc_lo, s20, v4
	v_lshl_or_b32 v20, v19, 8, v11
	v_add_co_ci_u32_e64 v11, null, s21, v5, vcc_lo
	v_add_co_u32 v12, vcc_lo, v2, v6
	v_add_co_ci_u32_e64 v13, null, 0, v3, vcc_lo
	v_mov_b32_e32 v2, 0
	v_add_co_u32 v12, vcc_lo, s26, v12
	v_mov_b32_e32 v4, 0
	v_mov_b32_e32 v6, 0
	;; [unrolled: 1-line block ×3, first 2 shown]
	v_lshlrev_b32_e32 v22, 3, v0
	v_lshl_add_u32 v23, v1, 6, 0x800
	v_mov_b32_e32 v3, 0
	v_mov_b32_e32 v5, 0
	;; [unrolled: 1-line block ×4, first 2 shown]
	v_add_co_ci_u32_e64 v13, null, s27, v13, vcc_lo
	s_lshl_b64 s[20:21], s[36:37], 6
	s_mov_b64 s[22:23], 0
	s_branch .LBB231_3
.LBB231_2:                              ;   in Loop: Header=BB231_3 Depth=1
	s_or_b32 exec_lo, exec_lo, s24
	s_waitcnt vmcnt(0) lgkmcnt(0)
	ds_write_b64 v21, v[16:17]
	s_waitcnt lgkmcnt(0)
	s_barrier
	buffer_gl0_inv
	ds_read_b128 v[14:17], v23
	ds_read2_b64 v[24:27], v22 offset1:16
	ds_read_b128 v[28:31], v23 offset:1024
	ds_read_b128 v[32:35], v23 offset:16
	ds_read2_b64 v[36:39], v22 offset0:32 offset1:48
	ds_read_b128 v[40:43], v23 offset:1040
	s_add_u32 s22, s22, 8
	s_addc_u32 s23, s23, 0
	v_add_co_u32 v10, vcc_lo, v10, s20
	v_cmp_lt_i64_e64 s24, s[22:23], s[16:17]
	v_add_co_ci_u32_e64 v11, null, s21, v11, vcc_lo
	v_add_co_u32 v12, vcc_lo, v12, 64
	v_add_co_ci_u32_e64 v13, null, 0, v13, vcc_lo
	s_and_b32 vcc_lo, exec_lo, s24
	s_waitcnt lgkmcnt(4)
	v_fma_f64 v[8:9], v[24:25], v[14:15], v[8:9]
	v_fma_f64 v[6:7], v[26:27], v[14:15], v[6:7]
	s_waitcnt lgkmcnt(3)
	v_fma_f64 v[14:15], v[24:25], v[28:29], v[4:5]
	v_fma_f64 v[24:25], v[26:27], v[28:29], v[2:3]
	ds_read2_b64 v[2:5], v22 offset0:64 offset1:80
	s_waitcnt lgkmcnt(2)
	v_fma_f64 v[26:27], v[36:37], v[16:17], v[8:9]
	v_fma_f64 v[16:17], v[38:39], v[16:17], v[6:7]
	;; [unrolled: 1-line block ×4, first 2 shown]
	ds_read2_b64 v[6:9], v22 offset0:96 offset1:112
	s_waitcnt lgkmcnt(1)
	v_fma_f64 v[26:27], v[2:3], v[32:33], v[26:27]
	v_fma_f64 v[28:29], v[4:5], v[32:33], v[16:17]
	;; [unrolled: 1-line block ×4, first 2 shown]
	ds_read_b128 v[2:5], v23 offset:32
	ds_read2_b64 v[14:17], v22 offset0:128 offset1:144
	s_waitcnt lgkmcnt(2)
	v_fma_f64 v[36:37], v[6:7], v[34:35], v[26:27]
	v_fma_f64 v[38:39], v[8:9], v[34:35], v[28:29]
	;; [unrolled: 1-line block ×4, first 2 shown]
	ds_read_b128 v[6:9], v23 offset:1056
	ds_read_b128 v[24:27], v23 offset:48
	ds_read2_b64 v[28:31], v22 offset0:160 offset1:176
	ds_read_b128 v[32:35], v23 offset:1072
	s_waitcnt lgkmcnt(4)
	v_fma_f64 v[36:37], v[14:15], v[2:3], v[36:37]
	v_fma_f64 v[2:3], v[16:17], v[2:3], v[38:39]
	s_waitcnt lgkmcnt(3)
	v_fma_f64 v[38:39], v[14:15], v[6:7], v[40:41]
	v_fma_f64 v[6:7], v[16:17], v[6:7], v[42:43]
	ds_read2_b64 v[14:17], v22 offset0:192 offset1:208
	s_waitcnt lgkmcnt(2)
	v_fma_f64 v[36:37], v[28:29], v[4:5], v[36:37]
	v_fma_f64 v[2:3], v[30:31], v[4:5], v[2:3]
	;; [unrolled: 1-line block ×4, first 2 shown]
	ds_read2_b64 v[28:31], v22 offset0:224 offset1:240
	s_waitcnt lgkmcnt(0)
	s_barrier
	buffer_gl0_inv
	v_fma_f64 v[8:9], v[14:15], v[24:25], v[36:37]
	v_fma_f64 v[2:3], v[16:17], v[24:25], v[2:3]
	;; [unrolled: 1-line block ×8, first 2 shown]
	s_cbranch_vccz .LBB231_8
.LBB231_3:                              ; =>This Inner Loop Header: Depth=1
	v_add_co_u32 v14, s24, v19, s22
	v_add_co_ci_u32_e64 v15, null, 0, s23, s24
	v_cmp_gt_i64_e32 vcc_lo, s[16:17], v[14:15]
	v_mov_b32_e32 v14, 0
	v_mov_b32_e32 v15, 0
	s_and_b32 s25, s0, vcc_lo
	s_and_saveexec_b32 s24, s25
	s_cbranch_execz .LBB231_5
; %bb.4:                                ;   in Loop: Header=BB231_3 Depth=1
	flat_load_dwordx2 v[14:15], v[12:13]
.LBB231_5:                              ;   in Loop: Header=BB231_3 Depth=1
	s_or_b32 exec_lo, exec_lo, s24
	v_add_co_u32 v16, s24, v18, s22
	v_add_co_ci_u32_e64 v17, null, 0, s23, s24
	s_waitcnt vmcnt(0) lgkmcnt(0)
	ds_write_b64 v20, v[14:15]
	v_cmp_gt_i64_e32 vcc_lo, s[16:17], v[16:17]
	v_mov_b32_e32 v16, 0
	v_mov_b32_e32 v17, 0
	s_and_b32 s25, vcc_lo, s1
	s_and_saveexec_b32 s24, s25
	s_cbranch_execz .LBB231_2
; %bb.6:                                ;   in Loop: Header=BB231_3 Depth=1
	flat_load_dwordx2 v[16:17], v[10:11]
	s_branch .LBB231_2
.LBB231_7:
	v_mov_b32_e32 v8, 0
	v_mov_b32_e32 v6, 0
	;; [unrolled: 1-line block ×8, first 2 shown]
.LBB231_8:
	s_load_dwordx2 s[0:1], s[4:5], 0x80
	v_cmp_neq_f64_e64 s16, s[40:41], 0
	v_add_co_u32 v10, s4, s10, v1
	v_add_co_ci_u32_e64 v11, null, s11, 0, s4
	s_waitcnt lgkmcnt(0)
	s_lshl_b64 s[4:5], s[0:1], 3
	v_cmp_gt_i64_e64 s0, s[14:15], v[10:11]
	s_add_u32 s4, s2, s4
	s_addc_u32 s3, s3, s5
	s_and_b32 vcc_lo, exec_lo, s16
	s_cbranch_vccnz .LBB231_21
; %bb.9:
	s_and_saveexec_b32 s5, s0
	s_cbranch_execz .LBB231_19
; %bb.10:
	v_mul_lo_u32 v1, v11, s50
	v_mul_lo_u32 v14, v10, s51
	v_mad_u64_u32 v[12:13], null, v10, s50, 0
	v_add3_u32 v13, v13, v14, v1
	v_add_co_u32 v14, s1, s6, v0
	v_add_co_ci_u32_e64 v15, null, s7, 0, s1
	v_lshlrev_b64 v[16:17], 3, v[12:13]
	v_cmp_gt_i64_e32 vcc_lo, s[12:13], v[14:15]
	v_lshlrev_b64 v[12:13], 3, v[14:15]
	v_add_co_u32 v1, s1, s4, v16
	v_add_co_ci_u32_e64 v16, null, s3, v17, s1
	s_and_saveexec_b32 s2, vcc_lo
	s_cbranch_execz .LBB231_12
; %bb.11:
	v_mul_f64 v[17:18], s[18:19], v[8:9]
	v_add_co_u32 v19, s1, v1, v12
	v_add_co_ci_u32_e64 v20, null, v16, v13, s1
	flat_store_dwordx2 v[19:20], v[17:18]
.LBB231_12:
	s_or_b32 exec_lo, exec_lo, s2
	v_add_co_u32 v14, s1, v14, 16
	v_add_co_ci_u32_e64 v15, null, 0, v15, s1
	v_cmp_gt_i64_e64 s1, s[12:13], v[14:15]
	s_and_saveexec_b32 s10, s1
	s_cbranch_execz .LBB231_14
; %bb.13:
	v_mul_f64 v[14:15], s[18:19], v[6:7]
	v_add_co_u32 v17, s2, v1, v12
	v_add_co_ci_u32_e64 v18, null, v16, v13, s2
	flat_store_dwordx2 v[17:18], v[14:15] offset:128
.LBB231_14:
	s_or_b32 exec_lo, exec_lo, s10
	v_add_co_u32 v14, s2, v10, 16
	v_add_co_ci_u32_e64 v15, null, 0, v11, s2
	v_cmp_gt_i64_e64 s2, s[14:15], v[14:15]
	s_and_b32 exec_lo, exec_lo, s2
	s_cbranch_execz .LBB231_19
; %bb.15:
	s_lshl_b64 s[10:11], s[50:51], 7
	v_add_co_u32 v1, s2, v1, s10
	v_add_co_ci_u32_e64 v14, null, s11, v16, s2
	v_add_co_u32 v12, s2, v1, v12
	v_add_co_ci_u32_e64 v13, null, v14, v13, s2
	s_and_saveexec_b32 s2, vcc_lo
	s_cbranch_execz .LBB231_17
; %bb.16:
	v_mul_f64 v[14:15], s[18:19], v[4:5]
	flat_store_dwordx2 v[12:13], v[14:15]
.LBB231_17:
	s_or_b32 exec_lo, exec_lo, s2
	s_and_b32 exec_lo, exec_lo, s1
	s_cbranch_execz .LBB231_19
; %bb.18:
	v_mul_f64 v[14:15], s[18:19], v[2:3]
	flat_store_dwordx2 v[12:13], v[14:15] offset:128
.LBB231_19:
	s_or_b32 exec_lo, exec_lo, s5
	s_cbranch_execz .LBB231_22
.LBB231_20:
	s_endpgm
.LBB231_21:
.LBB231_22:
	s_and_saveexec_b32 s1, s0
	s_cbranch_execz .LBB231_20
; %bb.23:
	v_mul_lo_u32 v1, v11, s44
	v_mul_lo_u32 v12, v10, s45
	v_mad_u64_u32 v[14:15], null, v10, s44, 0
	v_mul_lo_u32 v18, v11, s50
	v_mul_lo_u32 v19, v10, s51
	v_mad_u64_u32 v[16:17], null, v10, s50, 0
	s_lshl_b64 s[0:1], s[46:47], 3
	v_add3_u32 v15, v15, v12, v1
	v_add_co_u32 v12, s2, s6, v0
	v_add_co_ci_u32_e64 v13, null, s7, 0, s2
	v_add3_u32 v17, v17, v19, v18
	v_lshlrev_b64 v[0:1], 3, v[14:15]
	s_add_u32 s0, s8, s0
	s_addc_u32 s1, s9, s1
	v_cmp_gt_i64_e32 vcc_lo, s[12:13], v[12:13]
	v_lshlrev_b64 v[16:17], 3, v[16:17]
	v_add_co_u32 v14, s0, s0, v0
	v_add_co_ci_u32_e64 v15, null, s1, v1, s0
	v_add_co_u32 v16, s0, s4, v16
	v_lshlrev_b64 v[0:1], 3, v[12:13]
	v_add_co_ci_u32_e64 v17, null, s3, v17, s0
	s_and_saveexec_b32 s1, vcc_lo
	s_cbranch_execz .LBB231_25
; %bb.24:
	v_add_co_u32 v18, s0, v14, v0
	v_add_co_ci_u32_e64 v19, null, v15, v1, s0
	flat_load_dwordx2 v[18:19], v[18:19]
	s_waitcnt vmcnt(0) lgkmcnt(0)
	v_mul_f64 v[18:19], s[40:41], v[18:19]
	v_fma_f64 v[8:9], s[18:19], v[8:9], v[18:19]
	v_add_co_u32 v18, s0, v16, v0
	v_add_co_ci_u32_e64 v19, null, v17, v1, s0
	flat_store_dwordx2 v[18:19], v[8:9]
.LBB231_25:
	s_or_b32 exec_lo, exec_lo, s1
	v_add_co_u32 v8, s0, v12, 16
	v_add_co_ci_u32_e64 v9, null, 0, v13, s0
	v_cmp_gt_i64_e64 s0, s[12:13], v[8:9]
	s_and_saveexec_b32 s2, s0
	s_cbranch_execz .LBB231_27
; %bb.26:
	v_add_co_u32 v8, s1, v14, v0
	v_add_co_ci_u32_e64 v9, null, v15, v1, s1
	flat_load_dwordx2 v[8:9], v[8:9] offset:128
	s_waitcnt vmcnt(0) lgkmcnt(0)
	v_mul_f64 v[8:9], s[40:41], v[8:9]
	v_fma_f64 v[6:7], s[18:19], v[6:7], v[8:9]
	v_add_co_u32 v8, s1, v16, v0
	v_add_co_ci_u32_e64 v9, null, v17, v1, s1
	flat_store_dwordx2 v[8:9], v[6:7] offset:128
.LBB231_27:
	s_or_b32 exec_lo, exec_lo, s2
	v_add_co_u32 v6, s1, v10, 16
	v_add_co_ci_u32_e64 v7, null, 0, v11, s1
	v_cmp_gt_i64_e64 s1, s[14:15], v[6:7]
	s_and_b32 exec_lo, exec_lo, s1
	s_cbranch_execz .LBB231_20
; %bb.28:
	s_lshl_b64 s[2:3], s[44:45], 7
	v_add_co_u32 v6, s1, v14, s2
	v_add_co_ci_u32_e64 v7, null, s3, v15, s1
	s_lshl_b64 s[2:3], s[50:51], 7
	v_add_co_u32 v8, s1, v16, s2
	v_add_co_ci_u32_e64 v9, null, s3, v17, s1
	v_add_co_u32 v6, s1, v6, v0
	v_add_co_ci_u32_e64 v7, null, v7, v1, s1
	;; [unrolled: 2-line block ×3, first 2 shown]
	s_and_saveexec_b32 s1, vcc_lo
	s_cbranch_execz .LBB231_30
; %bb.29:
	flat_load_dwordx2 v[8:9], v[6:7]
	s_waitcnt vmcnt(0) lgkmcnt(0)
	v_mul_f64 v[8:9], s[40:41], v[8:9]
	v_fma_f64 v[4:5], s[18:19], v[4:5], v[8:9]
	flat_store_dwordx2 v[0:1], v[4:5]
.LBB231_30:
	s_or_b32 exec_lo, exec_lo, s1
	s_and_b32 exec_lo, exec_lo, s0
	s_cbranch_execz .LBB231_20
; %bb.31:
	flat_load_dwordx2 v[4:5], v[6:7] offset:128
	s_waitcnt vmcnt(0) lgkmcnt(0)
	v_mul_f64 v[4:5], s[40:41], v[4:5]
	v_fma_f64 v[2:3], s[18:19], v[2:3], v[4:5]
	flat_store_dwordx2 v[0:1], v[2:3] offset:128
	s_endpgm
	.section	.rodata,"a",@progbits
	.p2align	6, 0x0
	.amdhsa_kernel _ZN12_GLOBAL__N_135rocblas_gemm_batched_general_kernelIdLi16ELi16ELi32ELi32ELi8ELi32ELi8ELi8ELi32ELc84ELc67EKPKdS3_KPdEEvlllT_PT11_llS8_llS6_PT12_llPT13_lli
		.amdhsa_group_segment_fixed_size 4096
		.amdhsa_private_segment_fixed_size 0
		.amdhsa_kernarg_size 140
		.amdhsa_user_sgpr_count 6
		.amdhsa_user_sgpr_private_segment_buffer 1
		.amdhsa_user_sgpr_dispatch_ptr 0
		.amdhsa_user_sgpr_queue_ptr 0
		.amdhsa_user_sgpr_kernarg_segment_ptr 1
		.amdhsa_user_sgpr_dispatch_id 0
		.amdhsa_user_sgpr_flat_scratch_init 0
		.amdhsa_user_sgpr_private_segment_size 0
		.amdhsa_wavefront_size32 1
		.amdhsa_uses_dynamic_stack 0
		.amdhsa_system_sgpr_private_segment_wavefront_offset 0
		.amdhsa_system_sgpr_workgroup_id_x 1
		.amdhsa_system_sgpr_workgroup_id_y 1
		.amdhsa_system_sgpr_workgroup_id_z 1
		.amdhsa_system_sgpr_workgroup_info 0
		.amdhsa_system_vgpr_workitem_id 1
		.amdhsa_next_free_vgpr 44
		.amdhsa_next_free_sgpr 52
		.amdhsa_reserve_vcc 1
		.amdhsa_reserve_flat_scratch 0
		.amdhsa_float_round_mode_32 0
		.amdhsa_float_round_mode_16_64 0
		.amdhsa_float_denorm_mode_32 3
		.amdhsa_float_denorm_mode_16_64 3
		.amdhsa_dx10_clamp 1
		.amdhsa_ieee_mode 1
		.amdhsa_fp16_overflow 0
		.amdhsa_workgroup_processor_mode 1
		.amdhsa_memory_ordered 1
		.amdhsa_forward_progress 1
		.amdhsa_shared_vgpr_count 0
		.amdhsa_exception_fp_ieee_invalid_op 0
		.amdhsa_exception_fp_denorm_src 0
		.amdhsa_exception_fp_ieee_div_zero 0
		.amdhsa_exception_fp_ieee_overflow 0
		.amdhsa_exception_fp_ieee_underflow 0
		.amdhsa_exception_fp_ieee_inexact 0
		.amdhsa_exception_int_div_zero 0
	.end_amdhsa_kernel
	.section	.text._ZN12_GLOBAL__N_135rocblas_gemm_batched_general_kernelIdLi16ELi16ELi32ELi32ELi8ELi32ELi8ELi8ELi32ELc84ELc67EKPKdS3_KPdEEvlllT_PT11_llS8_llS6_PT12_llPT13_lli,"axG",@progbits,_ZN12_GLOBAL__N_135rocblas_gemm_batched_general_kernelIdLi16ELi16ELi32ELi32ELi8ELi32ELi8ELi8ELi32ELc84ELc67EKPKdS3_KPdEEvlllT_PT11_llS8_llS6_PT12_llPT13_lli,comdat
.Lfunc_end231:
	.size	_ZN12_GLOBAL__N_135rocblas_gemm_batched_general_kernelIdLi16ELi16ELi32ELi32ELi8ELi32ELi8ELi8ELi32ELc84ELc67EKPKdS3_KPdEEvlllT_PT11_llS8_llS6_PT12_llPT13_lli, .Lfunc_end231-_ZN12_GLOBAL__N_135rocblas_gemm_batched_general_kernelIdLi16ELi16ELi32ELi32ELi8ELi32ELi8ELi8ELi32ELc84ELc67EKPKdS3_KPdEEvlllT_PT11_llS8_llS6_PT12_llPT13_lli
                                        ; -- End function
	.set _ZN12_GLOBAL__N_135rocblas_gemm_batched_general_kernelIdLi16ELi16ELi32ELi32ELi8ELi32ELi8ELi8ELi32ELc84ELc67EKPKdS3_KPdEEvlllT_PT11_llS8_llS6_PT12_llPT13_lli.num_vgpr, 44
	.set _ZN12_GLOBAL__N_135rocblas_gemm_batched_general_kernelIdLi16ELi16ELi32ELi32ELi8ELi32ELi8ELi8ELi32ELc84ELc67EKPKdS3_KPdEEvlllT_PT11_llS8_llS6_PT12_llPT13_lli.num_agpr, 0
	.set _ZN12_GLOBAL__N_135rocblas_gemm_batched_general_kernelIdLi16ELi16ELi32ELi32ELi8ELi32ELi8ELi8ELi32ELc84ELc67EKPKdS3_KPdEEvlllT_PT11_llS8_llS6_PT12_llPT13_lli.numbered_sgpr, 52
	.set _ZN12_GLOBAL__N_135rocblas_gemm_batched_general_kernelIdLi16ELi16ELi32ELi32ELi8ELi32ELi8ELi8ELi32ELc84ELc67EKPKdS3_KPdEEvlllT_PT11_llS8_llS6_PT12_llPT13_lli.num_named_barrier, 0
	.set _ZN12_GLOBAL__N_135rocblas_gemm_batched_general_kernelIdLi16ELi16ELi32ELi32ELi8ELi32ELi8ELi8ELi32ELc84ELc67EKPKdS3_KPdEEvlllT_PT11_llS8_llS6_PT12_llPT13_lli.private_seg_size, 0
	.set _ZN12_GLOBAL__N_135rocblas_gemm_batched_general_kernelIdLi16ELi16ELi32ELi32ELi8ELi32ELi8ELi8ELi32ELc84ELc67EKPKdS3_KPdEEvlllT_PT11_llS8_llS6_PT12_llPT13_lli.uses_vcc, 1
	.set _ZN12_GLOBAL__N_135rocblas_gemm_batched_general_kernelIdLi16ELi16ELi32ELi32ELi8ELi32ELi8ELi8ELi32ELc84ELc67EKPKdS3_KPdEEvlllT_PT11_llS8_llS6_PT12_llPT13_lli.uses_flat_scratch, 0
	.set _ZN12_GLOBAL__N_135rocblas_gemm_batched_general_kernelIdLi16ELi16ELi32ELi32ELi8ELi32ELi8ELi8ELi32ELc84ELc67EKPKdS3_KPdEEvlllT_PT11_llS8_llS6_PT12_llPT13_lli.has_dyn_sized_stack, 0
	.set _ZN12_GLOBAL__N_135rocblas_gemm_batched_general_kernelIdLi16ELi16ELi32ELi32ELi8ELi32ELi8ELi8ELi32ELc84ELc67EKPKdS3_KPdEEvlllT_PT11_llS8_llS6_PT12_llPT13_lli.has_recursion, 0
	.set _ZN12_GLOBAL__N_135rocblas_gemm_batched_general_kernelIdLi16ELi16ELi32ELi32ELi8ELi32ELi8ELi8ELi32ELc84ELc67EKPKdS3_KPdEEvlllT_PT11_llS8_llS6_PT12_llPT13_lli.has_indirect_call, 0
	.section	.AMDGPU.csdata,"",@progbits
; Kernel info:
; codeLenInByte = 2120
; TotalNumSgprs: 54
; NumVgprs: 44
; ScratchSize: 0
; MemoryBound: 0
; FloatMode: 240
; IeeeMode: 1
; LDSByteSize: 4096 bytes/workgroup (compile time only)
; SGPRBlocks: 0
; VGPRBlocks: 5
; NumSGPRsForWavesPerEU: 54
; NumVGPRsForWavesPerEU: 44
; Occupancy: 16
; WaveLimiterHint : 1
; COMPUTE_PGM_RSRC2:SCRATCH_EN: 0
; COMPUTE_PGM_RSRC2:USER_SGPR: 6
; COMPUTE_PGM_RSRC2:TRAP_HANDLER: 0
; COMPUTE_PGM_RSRC2:TGID_X_EN: 1
; COMPUTE_PGM_RSRC2:TGID_Y_EN: 1
; COMPUTE_PGM_RSRC2:TGID_Z_EN: 1
; COMPUTE_PGM_RSRC2:TIDIG_COMP_CNT: 1
	.section	.text._ZN12_GLOBAL__N_125rocblas_gemm_scale_kernelILi32ELi32E19rocblas_complex_numIfEPKPS2_EEviiT1_T2_llli,"axG",@progbits,_ZN12_GLOBAL__N_125rocblas_gemm_scale_kernelILi32ELi32E19rocblas_complex_numIfEPKPS2_EEviiT1_T2_llli,comdat
	.globl	_ZN12_GLOBAL__N_125rocblas_gemm_scale_kernelILi32ELi32E19rocblas_complex_numIfEPKPS2_EEviiT1_T2_llli ; -- Begin function _ZN12_GLOBAL__N_125rocblas_gemm_scale_kernelILi32ELi32E19rocblas_complex_numIfEPKPS2_EEviiT1_T2_llli
	.p2align	8
	.type	_ZN12_GLOBAL__N_125rocblas_gemm_scale_kernelILi32ELi32E19rocblas_complex_numIfEPKPS2_EEviiT1_T2_llli,@function
_ZN12_GLOBAL__N_125rocblas_gemm_scale_kernelILi32ELi32E19rocblas_complex_numIfEPKPS2_EEviiT1_T2_llli: ; @_ZN12_GLOBAL__N_125rocblas_gemm_scale_kernelILi32ELi32E19rocblas_complex_numIfEPKPS2_EEviiT1_T2_llli
; %bb.0:
	s_load_dwordx4 s[0:3], s[4:5], 0x0
	v_lshl_add_u32 v0, s6, 5, v0
	v_lshl_add_u32 v1, s7, 5, v1
	s_waitcnt lgkmcnt(0)
	v_cmp_gt_u32_e32 vcc_lo, s0, v0
	v_cmp_gt_u32_e64 s0, s1, v1
	s_and_b32 s0, vcc_lo, s0
	s_and_saveexec_b32 s1, s0
	s_cbranch_execz .LBB232_4
; %bb.1:
	s_clause 0x1
	s_load_dwordx4 s[12:15], s[4:5], 0x10
	s_load_dwordx2 s[0:1], s[4:5], 0x20
	s_mov_b32 s9, 0
	s_lshl_b64 s[4:5], s[8:9], 3
	s_waitcnt lgkmcnt(0)
	s_add_u32 s4, s12, s4
	s_addc_u32 s5, s13, s5
	v_mad_u64_u32 v[2:3], null, s0, v1, 0
	s_load_dwordx2 s[4:5], s[4:5], 0x0
	v_mad_u64_u32 v[3:4], null, s1, v1, v[3:4]
	v_mov_b32_e32 v1, 0
	s_lshl_b64 s[0:1], s[14:15], 3
	v_lshlrev_b64 v[4:5], 3, v[2:3]
	v_lshlrev_b64 v[2:3], 3, v[0:1]
	v_mov_b32_e32 v0, v1
	s_waitcnt lgkmcnt(0)
	s_add_u32 s0, s4, s0
	s_addc_u32 s1, s5, s1
	s_or_b32 s4, s2, s3
	s_bitset0_b32 s4, 31
	s_cmp_eq_u32 s4, 0
	s_cbranch_scc1 .LBB232_3
; %bb.2:
	v_add_co_u32 v0, vcc_lo, s0, v4
	v_add_co_ci_u32_e64 v1, null, s1, v5, vcc_lo
	v_add_co_u32 v0, vcc_lo, v0, v2
	v_add_co_ci_u32_e64 v1, null, v1, v3, vcc_lo
	flat_load_dwordx2 v[6:7], v[0:1]
	s_waitcnt vmcnt(0) lgkmcnt(0)
	v_mul_f32_e32 v0, s3, v7
	v_mul_f32_e32 v1, s2, v7
	v_fma_f32 v0, v6, s2, -v0
	v_fmac_f32_e32 v1, s3, v6
.LBB232_3:
	v_add_co_u32 v4, vcc_lo, s0, v4
	v_add_co_ci_u32_e64 v5, null, s1, v5, vcc_lo
	v_add_co_u32 v2, vcc_lo, v4, v2
	v_add_co_ci_u32_e64 v3, null, v5, v3, vcc_lo
	flat_store_dwordx2 v[2:3], v[0:1]
.LBB232_4:
	s_endpgm
	.section	.rodata,"a",@progbits
	.p2align	6, 0x0
	.amdhsa_kernel _ZN12_GLOBAL__N_125rocblas_gemm_scale_kernelILi32ELi32E19rocblas_complex_numIfEPKPS2_EEviiT1_T2_llli
		.amdhsa_group_segment_fixed_size 0
		.amdhsa_private_segment_fixed_size 0
		.amdhsa_kernarg_size 52
		.amdhsa_user_sgpr_count 6
		.amdhsa_user_sgpr_private_segment_buffer 1
		.amdhsa_user_sgpr_dispatch_ptr 0
		.amdhsa_user_sgpr_queue_ptr 0
		.amdhsa_user_sgpr_kernarg_segment_ptr 1
		.amdhsa_user_sgpr_dispatch_id 0
		.amdhsa_user_sgpr_flat_scratch_init 0
		.amdhsa_user_sgpr_private_segment_size 0
		.amdhsa_wavefront_size32 1
		.amdhsa_uses_dynamic_stack 0
		.amdhsa_system_sgpr_private_segment_wavefront_offset 0
		.amdhsa_system_sgpr_workgroup_id_x 1
		.amdhsa_system_sgpr_workgroup_id_y 1
		.amdhsa_system_sgpr_workgroup_id_z 1
		.amdhsa_system_sgpr_workgroup_info 0
		.amdhsa_system_vgpr_workitem_id 1
		.amdhsa_next_free_vgpr 8
		.amdhsa_next_free_sgpr 16
		.amdhsa_reserve_vcc 1
		.amdhsa_reserve_flat_scratch 0
		.amdhsa_float_round_mode_32 0
		.amdhsa_float_round_mode_16_64 0
		.amdhsa_float_denorm_mode_32 3
		.amdhsa_float_denorm_mode_16_64 3
		.amdhsa_dx10_clamp 1
		.amdhsa_ieee_mode 1
		.amdhsa_fp16_overflow 0
		.amdhsa_workgroup_processor_mode 1
		.amdhsa_memory_ordered 1
		.amdhsa_forward_progress 1
		.amdhsa_shared_vgpr_count 0
		.amdhsa_exception_fp_ieee_invalid_op 0
		.amdhsa_exception_fp_denorm_src 0
		.amdhsa_exception_fp_ieee_div_zero 0
		.amdhsa_exception_fp_ieee_overflow 0
		.amdhsa_exception_fp_ieee_underflow 0
		.amdhsa_exception_fp_ieee_inexact 0
		.amdhsa_exception_int_div_zero 0
	.end_amdhsa_kernel
	.section	.text._ZN12_GLOBAL__N_125rocblas_gemm_scale_kernelILi32ELi32E19rocblas_complex_numIfEPKPS2_EEviiT1_T2_llli,"axG",@progbits,_ZN12_GLOBAL__N_125rocblas_gemm_scale_kernelILi32ELi32E19rocblas_complex_numIfEPKPS2_EEviiT1_T2_llli,comdat
.Lfunc_end232:
	.size	_ZN12_GLOBAL__N_125rocblas_gemm_scale_kernelILi32ELi32E19rocblas_complex_numIfEPKPS2_EEviiT1_T2_llli, .Lfunc_end232-_ZN12_GLOBAL__N_125rocblas_gemm_scale_kernelILi32ELi32E19rocblas_complex_numIfEPKPS2_EEviiT1_T2_llli
                                        ; -- End function
	.set _ZN12_GLOBAL__N_125rocblas_gemm_scale_kernelILi32ELi32E19rocblas_complex_numIfEPKPS2_EEviiT1_T2_llli.num_vgpr, 8
	.set _ZN12_GLOBAL__N_125rocblas_gemm_scale_kernelILi32ELi32E19rocblas_complex_numIfEPKPS2_EEviiT1_T2_llli.num_agpr, 0
	.set _ZN12_GLOBAL__N_125rocblas_gemm_scale_kernelILi32ELi32E19rocblas_complex_numIfEPKPS2_EEviiT1_T2_llli.numbered_sgpr, 16
	.set _ZN12_GLOBAL__N_125rocblas_gemm_scale_kernelILi32ELi32E19rocblas_complex_numIfEPKPS2_EEviiT1_T2_llli.num_named_barrier, 0
	.set _ZN12_GLOBAL__N_125rocblas_gemm_scale_kernelILi32ELi32E19rocblas_complex_numIfEPKPS2_EEviiT1_T2_llli.private_seg_size, 0
	.set _ZN12_GLOBAL__N_125rocblas_gemm_scale_kernelILi32ELi32E19rocblas_complex_numIfEPKPS2_EEviiT1_T2_llli.uses_vcc, 1
	.set _ZN12_GLOBAL__N_125rocblas_gemm_scale_kernelILi32ELi32E19rocblas_complex_numIfEPKPS2_EEviiT1_T2_llli.uses_flat_scratch, 0
	.set _ZN12_GLOBAL__N_125rocblas_gemm_scale_kernelILi32ELi32E19rocblas_complex_numIfEPKPS2_EEviiT1_T2_llli.has_dyn_sized_stack, 0
	.set _ZN12_GLOBAL__N_125rocblas_gemm_scale_kernelILi32ELi32E19rocblas_complex_numIfEPKPS2_EEviiT1_T2_llli.has_recursion, 0
	.set _ZN12_GLOBAL__N_125rocblas_gemm_scale_kernelILi32ELi32E19rocblas_complex_numIfEPKPS2_EEviiT1_T2_llli.has_indirect_call, 0
	.section	.AMDGPU.csdata,"",@progbits
; Kernel info:
; codeLenInByte = 280
; TotalNumSgprs: 18
; NumVgprs: 8
; ScratchSize: 0
; MemoryBound: 0
; FloatMode: 240
; IeeeMode: 1
; LDSByteSize: 0 bytes/workgroup (compile time only)
; SGPRBlocks: 0
; VGPRBlocks: 0
; NumSGPRsForWavesPerEU: 18
; NumVGPRsForWavesPerEU: 8
; Occupancy: 16
; WaveLimiterHint : 1
; COMPUTE_PGM_RSRC2:SCRATCH_EN: 0
; COMPUTE_PGM_RSRC2:USER_SGPR: 6
; COMPUTE_PGM_RSRC2:TRAP_HANDLER: 0
; COMPUTE_PGM_RSRC2:TGID_X_EN: 1
; COMPUTE_PGM_RSRC2:TGID_Y_EN: 1
; COMPUTE_PGM_RSRC2:TGID_Z_EN: 1
; COMPUTE_PGM_RSRC2:TIDIG_COMP_CNT: 1
	.section	.text._ZN12_GLOBAL__N_120gemm_ex_scale_kernelILi32ELi32E19rocblas_complex_numIfEPKPKS2_PKPS2_EEviiT1_T2_lllT3_llli,"axG",@progbits,_ZN12_GLOBAL__N_120gemm_ex_scale_kernelILi32ELi32E19rocblas_complex_numIfEPKPKS2_PKPS2_EEviiT1_T2_lllT3_llli,comdat
	.globl	_ZN12_GLOBAL__N_120gemm_ex_scale_kernelILi32ELi32E19rocblas_complex_numIfEPKPKS2_PKPS2_EEviiT1_T2_lllT3_llli ; -- Begin function _ZN12_GLOBAL__N_120gemm_ex_scale_kernelILi32ELi32E19rocblas_complex_numIfEPKPKS2_PKPS2_EEviiT1_T2_lllT3_llli
	.p2align	8
	.type	_ZN12_GLOBAL__N_120gemm_ex_scale_kernelILi32ELi32E19rocblas_complex_numIfEPKPKS2_PKPS2_EEviiT1_T2_lllT3_llli,@function
_ZN12_GLOBAL__N_120gemm_ex_scale_kernelILi32ELi32E19rocblas_complex_numIfEPKPKS2_PKPS2_EEviiT1_T2_lllT3_llli: ; @_ZN12_GLOBAL__N_120gemm_ex_scale_kernelILi32ELi32E19rocblas_complex_numIfEPKPKS2_PKPS2_EEviiT1_T2_lllT3_llli
; %bb.0:
	s_clause 0x1
	s_load_dwordx8 s[12:19], s[4:5], 0x0
	s_load_dwordx2 s[10:11], s[4:5], 0x20
	s_mov_b32 s9, 0
	s_mov_b64 s[20:21], 0
	s_waitcnt lgkmcnt(0)
	v_cmp_neq_f32_e64 s0, s14, 0
	v_cmp_neq_f32_e64 s1, s15, 0
	s_or_b32 s0, s0, s1
	s_andn2_b32 vcc_lo, exec_lo, s0
	s_cbranch_vccnz .LBB233_2
; %bb.1:
	s_lshl_b64 s[0:1], s[8:9], 3
	s_add_u32 s0, s16, s0
	s_addc_u32 s1, s17, s1
	s_lshl_b64 s[2:3], s[18:19], 3
	s_load_dwordx2 s[0:1], s[0:1], 0x0
	s_waitcnt lgkmcnt(0)
	s_add_u32 s20, s0, s2
	s_addc_u32 s21, s1, s3
.LBB233_2:
	v_lshl_add_u32 v0, s6, 5, v0
	v_lshl_add_u32 v5, s7, 5, v1
	v_cmp_gt_u32_e32 vcc_lo, s12, v0
	v_cmp_gt_u32_e64 s0, s13, v5
	s_and_b32 s0, vcc_lo, s0
	s_and_saveexec_b32 s1, s0
	s_cbranch_execz .LBB233_8
; %bb.3:
	s_load_dwordx4 s[0:3], s[4:5], 0x30
	s_lshl_b64 s[6:7], s[8:9], 3
	s_load_dwordx2 s[4:5], s[4:5], 0x40
	v_mov_b32_e32 v1, 0
	s_waitcnt lgkmcnt(0)
	s_add_u32 s0, s0, s6
	s_addc_u32 s1, s1, s7
	s_or_b32 s6, s14, s15
	s_load_dwordx2 s[0:1], s[0:1], 0x0
	s_bitset0_b32 s6, 31
	s_cmp_lg_u32 s6, 0
	s_mov_b32 s6, 0
	s_cbranch_scc1 .LBB233_5
; %bb.4:
	v_mov_b32_e32 v3, 0
	v_mov_b32_e32 v2, v0
	;; [unrolled: 1-line block ×3, first 2 shown]
	s_andn2_b32 vcc_lo, exec_lo, s6
	s_cbranch_vccz .LBB233_6
	s_branch .LBB233_7
.LBB233_5:
	v_mov_b32_e32 v3, v1
	v_mov_b32_e32 v2, v0
	;; [unrolled: 1-line block ×3, first 2 shown]
.LBB233_6:
	v_mad_u64_u32 v[6:7], null, s10, v5, 0
	v_lshlrev_b64 v[0:1], 3, v[0:1]
	v_mov_b32_e32 v4, v7
	v_mad_u64_u32 v[7:8], null, s11, v5, v[4:5]
	v_lshlrev_b64 v[6:7], 3, v[6:7]
	v_add_co_u32 v4, vcc_lo, s20, v6
	v_add_co_ci_u32_e64 v6, null, s21, v7, vcc_lo
	v_add_co_u32 v0, vcc_lo, v4, v0
	v_add_co_ci_u32_e64 v1, null, v6, v1, vcc_lo
	flat_load_dwordx2 v[0:1], v[0:1]
	s_waitcnt vmcnt(0) lgkmcnt(0)
	v_mul_f32_e32 v4, s15, v1
	v_mul_f32_e32 v1, s14, v1
	v_fma_f32 v4, v0, s14, -v4
	v_fmac_f32_e32 v1, s15, v0
.LBB233_7:
	v_mad_u64_u32 v[6:7], null, s4, v5, 0
	s_lshl_b64 s[2:3], s[2:3], 3
	v_lshlrev_b64 v[2:3], 3, v[2:3]
	s_waitcnt lgkmcnt(0)
	s_add_u32 s0, s0, s2
	s_addc_u32 s1, s1, s3
	v_mov_b32_e32 v0, v7
	v_mad_u64_u32 v[7:8], null, s5, v5, v[0:1]
	v_lshlrev_b64 v[5:6], 3, v[6:7]
	v_add_co_u32 v0, vcc_lo, s0, v5
	v_add_co_ci_u32_e64 v5, null, s1, v6, vcc_lo
	v_add_co_u32 v2, vcc_lo, v0, v2
	v_add_co_ci_u32_e64 v3, null, v5, v3, vcc_lo
	v_mov_b32_e32 v5, v1
	flat_store_dwordx2 v[2:3], v[4:5]
.LBB233_8:
	s_endpgm
	.section	.rodata,"a",@progbits
	.p2align	6, 0x0
	.amdhsa_kernel _ZN12_GLOBAL__N_120gemm_ex_scale_kernelILi32ELi32E19rocblas_complex_numIfEPKPKS2_PKPS2_EEviiT1_T2_lllT3_llli
		.amdhsa_group_segment_fixed_size 0
		.amdhsa_private_segment_fixed_size 0
		.amdhsa_kernarg_size 84
		.amdhsa_user_sgpr_count 6
		.amdhsa_user_sgpr_private_segment_buffer 1
		.amdhsa_user_sgpr_dispatch_ptr 0
		.amdhsa_user_sgpr_queue_ptr 0
		.amdhsa_user_sgpr_kernarg_segment_ptr 1
		.amdhsa_user_sgpr_dispatch_id 0
		.amdhsa_user_sgpr_flat_scratch_init 0
		.amdhsa_user_sgpr_private_segment_size 0
		.amdhsa_wavefront_size32 1
		.amdhsa_uses_dynamic_stack 0
		.amdhsa_system_sgpr_private_segment_wavefront_offset 0
		.amdhsa_system_sgpr_workgroup_id_x 1
		.amdhsa_system_sgpr_workgroup_id_y 1
		.amdhsa_system_sgpr_workgroup_id_z 1
		.amdhsa_system_sgpr_workgroup_info 0
		.amdhsa_system_vgpr_workitem_id 1
		.amdhsa_next_free_vgpr 9
		.amdhsa_next_free_sgpr 22
		.amdhsa_reserve_vcc 1
		.amdhsa_reserve_flat_scratch 0
		.amdhsa_float_round_mode_32 0
		.amdhsa_float_round_mode_16_64 0
		.amdhsa_float_denorm_mode_32 3
		.amdhsa_float_denorm_mode_16_64 3
		.amdhsa_dx10_clamp 1
		.amdhsa_ieee_mode 1
		.amdhsa_fp16_overflow 0
		.amdhsa_workgroup_processor_mode 1
		.amdhsa_memory_ordered 1
		.amdhsa_forward_progress 1
		.amdhsa_shared_vgpr_count 0
		.amdhsa_exception_fp_ieee_invalid_op 0
		.amdhsa_exception_fp_denorm_src 0
		.amdhsa_exception_fp_ieee_div_zero 0
		.amdhsa_exception_fp_ieee_overflow 0
		.amdhsa_exception_fp_ieee_underflow 0
		.amdhsa_exception_fp_ieee_inexact 0
		.amdhsa_exception_int_div_zero 0
	.end_amdhsa_kernel
	.section	.text._ZN12_GLOBAL__N_120gemm_ex_scale_kernelILi32ELi32E19rocblas_complex_numIfEPKPKS2_PKPS2_EEviiT1_T2_lllT3_llli,"axG",@progbits,_ZN12_GLOBAL__N_120gemm_ex_scale_kernelILi32ELi32E19rocblas_complex_numIfEPKPKS2_PKPS2_EEviiT1_T2_lllT3_llli,comdat
.Lfunc_end233:
	.size	_ZN12_GLOBAL__N_120gemm_ex_scale_kernelILi32ELi32E19rocblas_complex_numIfEPKPKS2_PKPS2_EEviiT1_T2_lllT3_llli, .Lfunc_end233-_ZN12_GLOBAL__N_120gemm_ex_scale_kernelILi32ELi32E19rocblas_complex_numIfEPKPKS2_PKPS2_EEviiT1_T2_lllT3_llli
                                        ; -- End function
	.set _ZN12_GLOBAL__N_120gemm_ex_scale_kernelILi32ELi32E19rocblas_complex_numIfEPKPKS2_PKPS2_EEviiT1_T2_lllT3_llli.num_vgpr, 9
	.set _ZN12_GLOBAL__N_120gemm_ex_scale_kernelILi32ELi32E19rocblas_complex_numIfEPKPKS2_PKPS2_EEviiT1_T2_lllT3_llli.num_agpr, 0
	.set _ZN12_GLOBAL__N_120gemm_ex_scale_kernelILi32ELi32E19rocblas_complex_numIfEPKPKS2_PKPS2_EEviiT1_T2_lllT3_llli.numbered_sgpr, 22
	.set _ZN12_GLOBAL__N_120gemm_ex_scale_kernelILi32ELi32E19rocblas_complex_numIfEPKPKS2_PKPS2_EEviiT1_T2_lllT3_llli.num_named_barrier, 0
	.set _ZN12_GLOBAL__N_120gemm_ex_scale_kernelILi32ELi32E19rocblas_complex_numIfEPKPKS2_PKPS2_EEviiT1_T2_lllT3_llli.private_seg_size, 0
	.set _ZN12_GLOBAL__N_120gemm_ex_scale_kernelILi32ELi32E19rocblas_complex_numIfEPKPKS2_PKPS2_EEviiT1_T2_lllT3_llli.uses_vcc, 1
	.set _ZN12_GLOBAL__N_120gemm_ex_scale_kernelILi32ELi32E19rocblas_complex_numIfEPKPKS2_PKPS2_EEviiT1_T2_lllT3_llli.uses_flat_scratch, 0
	.set _ZN12_GLOBAL__N_120gemm_ex_scale_kernelILi32ELi32E19rocblas_complex_numIfEPKPKS2_PKPS2_EEviiT1_T2_lllT3_llli.has_dyn_sized_stack, 0
	.set _ZN12_GLOBAL__N_120gemm_ex_scale_kernelILi32ELi32E19rocblas_complex_numIfEPKPKS2_PKPS2_EEviiT1_T2_lllT3_llli.has_recursion, 0
	.set _ZN12_GLOBAL__N_120gemm_ex_scale_kernelILi32ELi32E19rocblas_complex_numIfEPKPKS2_PKPS2_EEviiT1_T2_lllT3_llli.has_indirect_call, 0
	.section	.AMDGPU.csdata,"",@progbits
; Kernel info:
; codeLenInByte = 436
; TotalNumSgprs: 24
; NumVgprs: 9
; ScratchSize: 0
; MemoryBound: 0
; FloatMode: 240
; IeeeMode: 1
; LDSByteSize: 0 bytes/workgroup (compile time only)
; SGPRBlocks: 0
; VGPRBlocks: 1
; NumSGPRsForWavesPerEU: 24
; NumVGPRsForWavesPerEU: 9
; Occupancy: 16
; WaveLimiterHint : 1
; COMPUTE_PGM_RSRC2:SCRATCH_EN: 0
; COMPUTE_PGM_RSRC2:USER_SGPR: 6
; COMPUTE_PGM_RSRC2:TRAP_HANDLER: 0
; COMPUTE_PGM_RSRC2:TGID_X_EN: 1
; COMPUTE_PGM_RSRC2:TGID_Y_EN: 1
; COMPUTE_PGM_RSRC2:TGID_Z_EN: 1
; COMPUTE_PGM_RSRC2:TIDIG_COMP_CNT: 1
	.section	.text._ZN12_GLOBAL__N_127rocblas_gemm_batched_kernelI19rocblas_complex_numIfELi16ELi16ELi64ELi64ELi4ELi64ELi4ELi4ELi64ELc78ELc78EKPKS2_S5_KPS2_EEvlllT_PT11_llSA_llS8_PT12_llPT13_lli,"axG",@progbits,_ZN12_GLOBAL__N_127rocblas_gemm_batched_kernelI19rocblas_complex_numIfELi16ELi16ELi64ELi64ELi4ELi64ELi4ELi4ELi64ELc78ELc78EKPKS2_S5_KPS2_EEvlllT_PT11_llSA_llS8_PT12_llPT13_lli,comdat
	.globl	_ZN12_GLOBAL__N_127rocblas_gemm_batched_kernelI19rocblas_complex_numIfELi16ELi16ELi64ELi64ELi4ELi64ELi4ELi4ELi64ELc78ELc78EKPKS2_S5_KPS2_EEvlllT_PT11_llSA_llS8_PT12_llPT13_lli ; -- Begin function _ZN12_GLOBAL__N_127rocblas_gemm_batched_kernelI19rocblas_complex_numIfELi16ELi16ELi64ELi64ELi4ELi64ELi4ELi4ELi64ELc78ELc78EKPKS2_S5_KPS2_EEvlllT_PT11_llSA_llS8_PT12_llPT13_lli
	.p2align	8
	.type	_ZN12_GLOBAL__N_127rocblas_gemm_batched_kernelI19rocblas_complex_numIfELi16ELi16ELi64ELi64ELi4ELi64ELi4ELi4ELi64ELc78ELc78EKPKS2_S5_KPS2_EEvlllT_PT11_llSA_llS8_PT12_llPT13_lli,@function
_ZN12_GLOBAL__N_127rocblas_gemm_batched_kernelI19rocblas_complex_numIfELi16ELi16ELi64ELi64ELi4ELi64ELi4ELi4ELi64ELc78ELc78EKPKS2_S5_KPS2_EEvlllT_PT11_llSA_llS8_PT12_llPT13_lli: ; @_ZN12_GLOBAL__N_127rocblas_gemm_batched_kernelI19rocblas_complex_numIfELi16ELi16ELi64ELi64ELi4ELi64ELi4ELi4ELi64ELc78ELc78EKPKS2_S5_KPS2_EEvlllT_PT11_llSA_llS8_PT12_llPT13_lli
; %bb.0:
	s_clause 0x1
	s_load_dwordx8 s[36:43], s[4:5], 0x58
	s_load_dwordx16 s[12:27], s[4:5], 0x10
	s_mov_b32 s9, 0
	s_clause 0x1
	s_load_dwordx4 s[28:31], s[4:5], 0x78
	s_load_dwordx2 s[2:3], s[4:5], 0x50
	s_lshl_b64 s[0:1], s[8:9], 3
	s_mov_b32 s10, s7
	v_mov_b32_e32 v38, 0
	v_mov_b32_e32 v39, 0
	;; [unrolled: 1-line block ×13, first 2 shown]
	s_waitcnt lgkmcnt(0)
	s_add_u32 s4, s36, s0
	s_addc_u32 s5, s37, s1
	s_add_u32 s8, s42, s0
	s_addc_u32 s9, s43, s1
	s_load_dwordx2 s[4:5], s[4:5], 0x0
	s_load_dwordx2 s[8:9], s[8:9], 0x0
	v_cmp_lt_i64_e64 s33, s[12:13], 1
	v_mov_b32_e32 v27, 0
	v_mov_b32_e32 v24, 0
	;; [unrolled: 1-line block ×19, first 2 shown]
	s_ashr_i32 s7, s6, 31
	s_ashr_i32 s11, s10, 31
	s_lshl_b64 s[6:7], s[6:7], 6
	s_and_b32 vcc_lo, exec_lo, s33
	s_lshl_b64 s[10:11], s[10:11], 6
	s_cbranch_vccnz .LBB234_3
; %bb.1:
	v_lshl_add_u32 v2, v1, 4, v0
	s_add_u32 s16, s16, s0
	s_addc_u32 s17, s17, s1
	v_and_b32_e32 v3, 3, v0
	s_add_u32 s0, s22, s0
	v_lshrrev_b32_e32 v6, 2, v2
	v_lshrrev_b32_e32 v7, 6, v2
	s_load_dwordx2 s[16:17], s[16:17], 0x0
	v_and_b32_e32 v9, 63, v2
	v_lshlrev_b32_e32 v10, 3, v3
	v_add_co_u32 v4, s22, v6, s10
	v_add_co_ci_u32_e64 v5, null, 0, s11, s22
	v_mad_u64_u32 v[2:3], null, s18, v7, s[6:7]
	v_mul_lo_u32 v11, s25, v4
	v_mul_lo_u32 v12, s24, v5
	v_mad_u64_u32 v[4:5], null, s24, v4, 0
	v_lshlrev_b32_e32 v13, 3, v9
	v_lshl_or_b32 v6, v6, 5, v10
	s_addc_u32 s1, s23, s1
	s_lshl_b64 s[20:21], s[20:21], 3
	s_load_dwordx2 s[0:1], s[0:1], 0x0
	v_lshl_or_b32 v40, v7, 9, v13
	v_add_nc_u32_e32 v41, 0x800, v6
	v_add3_u32 v5, v5, v12, v11
	v_mad_u64_u32 v[6:7], null, s19, v7, v[3:4]
	s_waitcnt lgkmcnt(0)
	s_add_u32 s20, s16, s20
	s_addc_u32 s21, s17, s21
	v_lshlrev_b64 v[3:4], 3, v[4:5]
	v_add_co_u32 v5, vcc_lo, v2, v9
	s_lshl_b64 s[16:17], s[26:27], 3
	v_add_co_ci_u32_e64 v6, null, 0, v6, vcc_lo
	v_add_co_u32 v7, vcc_lo, v3, s16
	v_add_co_ci_u32_e64 v4, null, s17, v4, vcc_lo
	v_lshlrev_b64 v[2:3], 3, v[5:6]
	v_add_co_u32 v5, vcc_lo, v7, v10
	v_add_co_ci_u32_e64 v6, null, 0, v4, vcc_lo
	v_mov_b32_e32 v8, 0
	v_add_co_u32 v2, vcc_lo, s20, v2
	v_add_co_ci_u32_e64 v3, null, s21, v3, vcc_lo
	v_add_co_u32 v4, vcc_lo, s0, v5
	v_lshlrev_b32_e32 v42, 3, v0
	v_lshl_add_u32 v43, v1, 5, 0x800
	v_add_co_ci_u32_e64 v5, null, s1, v6, vcc_lo
	v_mov_b32_e32 v9, 0
	v_mov_b32_e32 v11, 0
	;; [unrolled: 1-line block ×31, first 2 shown]
	s_lshl_b64 s[16:17], s[18:19], 5
	s_mov_b64 s[18:19], 0
.LBB234_2:                              ; =>This Inner Loop Header: Depth=1
	flat_load_dwordx2 v[6:7], v[2:3]
	s_add_u32 s18, s18, 4
	s_addc_u32 s19, s19, 0
	v_add_co_u32 v2, vcc_lo, v2, s16
	v_cmp_lt_i64_e64 s0, s[18:19], s[12:13]
	v_add_co_ci_u32_e64 v3, null, s17, v3, vcc_lo
	s_and_b32 vcc_lo, exec_lo, s0
	s_waitcnt vmcnt(0) lgkmcnt(0)
	ds_write_b64 v40, v[6:7]
	flat_load_dwordx2 v[6:7], v[4:5]
	v_add_co_u32 v4, s0, v4, 32
	v_add_co_ci_u32_e64 v5, null, 0, v5, s0
	s_waitcnt vmcnt(0) lgkmcnt(0)
	ds_write_b64 v41, v[6:7]
	s_waitcnt lgkmcnt(0)
	s_barrier
	buffer_gl0_inv
	ds_read_b128 v[44:47], v43
	ds_read2_b64 v[48:51], v42 offset1:16
	ds_read_b128 v[52:55], v43 offset:512
	ds_read_b128 v[56:59], v43 offset:16
	;; [unrolled: 1-line block ×7, first 2 shown]
	ds_read2_b64 v[80:83], v42 offset0:32 offset1:48
	ds_read2_b64 v[84:87], v42 offset0:64 offset1:80
	;; [unrolled: 1-line block ×7, first 2 shown]
	s_waitcnt lgkmcnt(0)
	s_barrier
	buffer_gl0_inv
	v_mul_f32_e32 v6, v45, v49
	v_mul_f32_e32 v7, v44, v49
	;; [unrolled: 1-line block ×64, first 2 shown]
	v_fma_f32 v6, v44, v48, -v6
	v_fmac_f32_e32 v7, v45, v48
	v_fma_f32 v108, v44, v50, -v108
	v_fmac_f32_e32 v109, v45, v50
	;; [unrolled: 2-line block ×16, first 2 shown]
	v_mul_f32_e32 v162, v57, v93
	v_mul_f32_e32 v163, v56, v93
	;; [unrolled: 1-line block ×28, first 2 shown]
	v_fma_f32 v124, v46, v84, -v134
	v_fmac_f32_e32 v135, v47, v84
	v_fma_f32 v126, v46, v86, -v136
	v_fmac_f32_e32 v137, v47, v86
	;; [unrolled: 2-line block ×4, first 2 shown]
	v_mul_f32_e32 v47, v77, v97
	v_mul_f32_e32 v97, v76, v97
	;; [unrolled: 1-line block ×4, first 2 shown]
	v_fma_f32 v132, v54, v84, -v142
	v_fmac_f32_e32 v143, v55, v84
	v_fma_f32 v133, v54, v86, -v144
	v_fmac_f32_e32 v145, v55, v86
	;; [unrolled: 2-line block ×4, first 2 shown]
	v_mul_f32_e32 v136, v58, v101
	v_mul_f32_e32 v140, v58, v103
	v_fma_f32 v142, v66, v84, -v150
	v_fmac_f32_e32 v151, v67, v84
	v_fma_f32 v144, v66, v86, -v152
	v_fmac_f32_e32 v153, v67, v86
	;; [unrolled: 2-line block ×4, first 2 shown]
	v_mul_f32_e32 v148, v58, v105
	v_mul_f32_e32 v152, v58, v107
	v_fma_f32 v154, v74, v84, -v158
	v_fmac_f32_e32 v85, v75, v84
	v_fma_f32 v84, v74, v86, -v159
	v_fmac_f32_e32 v87, v75, v86
	;; [unrolled: 2-line block ×4, first 2 shown]
	v_add_f32_e32 v6, v38, v6
	v_add_f32_e32 v7, v39, v7
	;; [unrolled: 1-line block ×32, first 2 shown]
	v_mul_f32_e32 v55, v59, v101
	v_mul_f32_e32 v138, v59, v103
	;; [unrolled: 1-line block ×16, first 2 shown]
	v_fma_f32 v162, v56, v92, -v162
	v_fmac_f32_e32 v163, v57, v92
	v_fma_f32 v164, v56, v94, -v164
	v_fmac_f32_e32 v165, v57, v94
	;; [unrolled: 2-line block ×8, first 2 shown]
	v_mul_f32_e32 v94, v71, v105
	v_mul_f32_e32 v175, v70, v105
	v_mul_f32_e32 v186, v71, v107
	v_mul_f32_e32 v187, v70, v107
	v_fma_f32 v176, v56, v96, -v176
	v_fmac_f32_e32 v177, v57, v96
	v_fma_f32 v56, v56, v98, -v178
	v_fmac_f32_e32 v179, v57, v98
	;; [unrolled: 2-line block ×8, first 2 shown]
	v_mul_f32_e32 v69, v79, v101
	v_mul_f32_e32 v73, v78, v101
	;; [unrolled: 1-line block ×4, first 2 shown]
	v_fmac_f32_e32 v136, v59, v100
	v_fmac_f32_e32 v140, v59, v102
	;; [unrolled: 1-line block ×4, first 2 shown]
	v_mul_f32_e32 v59, v79, v105
	v_mul_f32_e32 v96, v78, v105
	;; [unrolled: 1-line block ×4, first 2 shown]
	v_add_f32_e32 v6, v6, v124
	v_add_f32_e32 v7, v7, v135
	;; [unrolled: 1-line block ×32, first 2 shown]
	v_fma_f32 v55, v58, v100, -v55
	v_fma_f32 v82, v58, v102, -v138
	;; [unrolled: 1-line block ×5, first 2 shown]
	v_fmac_f32_e32 v156, v63, v100
	v_fma_f32 v103, v62, v102, -v158
	v_fmac_f32_e32 v159, v63, v102
	v_fma_f32 v75, v62, v104, -v75
	v_fmac_f32_e32 v88, v63, v104
	v_fma_f32 v62, v62, v106, -v90
	v_fmac_f32_e32 v161, v63, v106
	v_fma_f32 v63, v70, v100, -v182
	v_fmac_f32_e32 v183, v71, v100
	v_fma_f32 v90, v70, v102, -v184
	v_fmac_f32_e32 v185, v71, v102
	v_fma_f32 v94, v70, v104, -v94
	v_fmac_f32_e32 v175, v71, v104
	v_fma_f32 v70, v70, v106, -v186
	v_fmac_f32_e32 v187, v71, v106
	v_fma_f32 v69, v78, v100, -v69
	v_fmac_f32_e32 v73, v79, v100
	v_fma_f32 v71, v78, v102, -v76
	v_fmac_f32_e32 v77, v79, v102
	v_fma_f32 v59, v78, v104, -v59
	v_fmac_f32_e32 v96, v79, v104
	v_fma_f32 v76, v78, v106, -v98
	v_fmac_f32_e32 v101, v79, v106
	v_add_f32_e32 v6, v6, v162
	v_add_f32_e32 v7, v7, v163
	;; [unrolled: 1-line block ×64, first 2 shown]
	s_cbranch_vccnz .LBB234_2
.LBB234_3:
	s_lshl_b64 s[0:1], s[30:31], 3
	s_waitcnt lgkmcnt(0)
	s_add_u32 s8, s8, s0
	s_addc_u32 s9, s9, s1
	v_add_co_u32 v4, s1, s10, v1
	v_add_co_ci_u32_e64 v5, null, s11, 0, s1
	v_add_co_u32 v0, s1, s6, v0
	s_or_b32 s0, s2, s3
	v_add_co_ci_u32_e64 v1, null, s7, 0, s1
	s_bitset0_b32 s0, 31
	s_mov_b32 s6, 0
	s_cmp_lg_u32 s0, 0
	s_cbranch_scc1 .LBB234_5
; %bb.4:
	v_mul_lo_u32 v6, v5, s28
	v_mul_lo_u32 v40, v4, s29
	v_mad_u64_u32 v[2:3], null, v4, s28, 0
	v_mul_f32_e32 v42, s15, v39
	v_mul_f32_e32 v7, s14, v39
	;; [unrolled: 1-line block ×6, first 2 shown]
	v_add3_u32 v3, v3, v40, v6
	v_lshlrev_b64 v[40:41], 3, v[0:1]
	v_mul_f32_e32 v48, s15, v33
	v_mul_f32_e32 v47, s14, v33
	v_fma_f32 v6, v38, s14, -v42
	v_lshlrev_b64 v[2:3], 3, v[2:3]
	v_fmac_f32_e32 v7, s15, v38
	v_fma_f32 v42, v36, s14, -v44
	v_fmac_f32_e32 v43, s15, v36
	s_lshl_b64 s[0:1], s[28:29], 7
	v_fma_f32 v44, v34, s14, -v46
	v_add_co_u32 v49, vcc_lo, s8, v2
	v_add_co_ci_u32_e64 v50, null, s9, v3, vcc_lo
	v_fmac_f32_e32 v45, s15, v34
	v_add_co_u32 v2, vcc_lo, v49, v40
	v_add_co_ci_u32_e64 v3, null, v50, v41, vcc_lo
	v_fma_f32 v46, v32, s14, -v48
	v_fmac_f32_e32 v47, s15, v32
	v_add_co_u32 v48, vcc_lo, v49, s0
	flat_store_dwordx2 v[2:3], v[6:7]
	flat_store_dwordx2 v[2:3], v[42:43] offset:128
	flat_store_dwordx2 v[2:3], v[44:45] offset:256
	;; [unrolled: 1-line block ×3, first 2 shown]
	v_mul_f32_e32 v2, s15, v31
	v_mul_f32_e32 v3, s14, v31
	v_add_co_ci_u32_e64 v49, null, s1, v50, vcc_lo
	v_mul_f32_e32 v6, s15, v29
	v_mul_f32_e32 v7, s14, v29
	;; [unrolled: 1-line block ×4, first 2 shown]
	v_add_co_u32 v44, vcc_lo, v48, v40
	v_fma_f32 v2, v30, s14, -v2
	v_fmac_f32_e32 v3, s15, v30
	v_add_co_ci_u32_e64 v45, null, v49, v41, vcc_lo
	v_fma_f32 v6, v28, s14, -v6
	v_fmac_f32_e32 v7, s15, v28
	v_fma_f32 v42, v26, s14, -v42
	v_fmac_f32_e32 v43, s15, v26
	v_add_co_u32 v52, vcc_lo, v48, s0
	v_mul_f32_e32 v46, s15, v25
	v_mul_f32_e32 v47, s14, v25
	flat_store_dwordx2 v[44:45], v[2:3]
	flat_store_dwordx2 v[44:45], v[6:7] offset:128
	flat_store_dwordx2 v[44:45], v[42:43] offset:256
	v_mul_f32_e32 v2, s15, v23
	v_mul_f32_e32 v3, s14, v23
	v_add_co_ci_u32_e64 v53, null, s1, v49, vcc_lo
	v_mul_f32_e32 v42, s15, v21
	v_mul_f32_e32 v43, s14, v21
	;; [unrolled: 1-line block ×4, first 2 shown]
	v_add_co_u32 v6, vcc_lo, v52, v40
	v_mul_f32_e32 v50, s15, v17
	v_mul_f32_e32 v51, s14, v17
	v_fma_f32 v46, v24, s14, -v46
	v_fmac_f32_e32 v47, s15, v24
	v_fma_f32 v2, v22, s14, -v2
	v_fmac_f32_e32 v3, s15, v22
	v_add_co_ci_u32_e64 v7, null, v53, v41, vcc_lo
	v_fma_f32 v42, v20, s14, -v42
	v_fmac_f32_e32 v43, s15, v20
	v_fma_f32 v48, v18, s14, -v48
	v_fmac_f32_e32 v49, s15, v18
	;; [unrolled: 2-line block ×3, first 2 shown]
	flat_store_dwordx2 v[44:45], v[46:47] offset:384
	flat_store_dwordx2 v[6:7], v[2:3]
	flat_store_dwordx2 v[6:7], v[42:43] offset:128
	flat_store_dwordx2 v[6:7], v[48:49] offset:256
	;; [unrolled: 1-line block ×3, first 2 shown]
	v_mul_f32_e32 v2, s15, v15
	v_add_co_u32 v3, vcc_lo, v52, s0
	v_add_co_ci_u32_e64 v6, null, s1, v53, vcc_lo
	v_fma_f32 v42, v14, s14, -v2
	v_mul_f32_e32 v2, s15, v13
	v_add_co_u32 v40, vcc_lo, v3, v40
	v_mul_f32_e32 v43, s14, v15
	v_add_co_ci_u32_e64 v41, null, v6, v41, vcc_lo
	v_fma_f32 v44, v12, s14, -v2
	v_mul_f32_e32 v2, s15, v11
	v_mul_f32_e32 v3, s15, v8
	;; [unrolled: 1-line block ×5, first 2 shown]
	v_fma_f32 v46, v10, s14, -v2
	v_add_co_u32 v2, vcc_lo, 0x180, v40
	v_fmac_f32_e32 v43, s15, v14
	v_fma_f32 v7, v9, s14, -v3
	v_fmac_f32_e32 v6, s15, v9
	v_add_co_ci_u32_e64 v3, null, 0, v41, vcc_lo
	v_fmac_f32_e32 v45, s15, v12
	v_fmac_f32_e32 v47, s15, v10
	flat_store_dwordx2 v[40:41], v[42:43]
	flat_store_dwordx2 v[40:41], v[44:45] offset:128
	flat_store_dwordx2 v[40:41], v[46:47] offset:256
	flat_store_dword v[40:41], v7 offset:384
	s_andn2_b32 vcc_lo, exec_lo, s6
	s_cbranch_vccz .LBB234_6
	s_branch .LBB234_7
.LBB234_5:
                                        ; implicit-def: $vgpr6
                                        ; implicit-def: $vgpr2_vgpr3
.LBB234_6:
	v_mul_lo_u32 v6, v5, s38
	v_mul_lo_u32 v7, v4, s39
	v_mad_u64_u32 v[2:3], null, v4, s38, 0
	s_lshl_b64 s[0:1], s[40:41], 3
	v_lshlrev_b64 v[0:1], 3, v[0:1]
	s_add_u32 s0, s4, s0
	s_addc_u32 s1, s5, s1
	v_mul_lo_u32 v42, v5, s28
	v_mul_lo_u32 v43, v4, s29
	v_add3_u32 v3, v3, v7, v6
	v_mad_u64_u32 v[4:5], null, v4, s28, 0
	s_lshl_b64 s[4:5], s[28:29], 7
	v_lshlrev_b64 v[2:3], 3, v[2:3]
	v_add3_u32 v5, v5, v43, v42
	v_mul_f32_e32 v42, s15, v39
	v_add_co_u32 v40, vcc_lo, s0, v2
	v_add_co_ci_u32_e64 v41, null, s1, v3, vcc_lo
	v_mul_f32_e32 v39, s14, v39
	v_add_co_u32 v2, vcc_lo, v40, v0
	v_add_co_ci_u32_e64 v3, null, v41, v1, vcc_lo
	v_lshlrev_b64 v[4:5], 3, v[4:5]
	v_fma_f32 v42, v38, s14, -v42
	v_fmac_f32_e32 v39, s15, v38
	flat_load_dwordx2 v[6:7], v[2:3]
	s_lshl_b64 s[0:1], s[38:39], 7
	v_add_co_u32 v43, vcc_lo, s8, v4
	v_add_co_ci_u32_e64 v44, null, s9, v5, vcc_lo
	v_add_co_u32 v4, vcc_lo, v43, v0
	v_add_co_ci_u32_e64 v5, null, v44, v1, vcc_lo
	s_waitcnt vmcnt(0) lgkmcnt(0)
	v_mul_f32_e32 v38, s3, v7
	v_mul_f32_e32 v7, s2, v7
	v_fma_f32 v38, v6, s2, -v38
	v_fmac_f32_e32 v7, s3, v6
	v_add_f32_e32 v6, v42, v38
	v_add_f32_e32 v7, v39, v7
	v_mul_f32_e32 v38, s15, v37
	v_mul_f32_e32 v37, s14, v37
	flat_store_dwordx2 v[4:5], v[6:7]
	flat_load_dwordx2 v[6:7], v[2:3] offset:128
	v_fma_f32 v38, v36, s14, -v38
	v_fmac_f32_e32 v37, s15, v36
	s_waitcnt vmcnt(0) lgkmcnt(0)
	v_mul_f32_e32 v39, s3, v7
	v_mul_f32_e32 v7, s2, v7
	v_fma_f32 v36, v6, s2, -v39
	v_fmac_f32_e32 v7, s3, v6
	v_add_f32_e32 v6, v38, v36
	v_add_f32_e32 v7, v37, v7
	v_mul_f32_e32 v36, s15, v35
	v_mul_f32_e32 v35, s14, v35
	flat_store_dwordx2 v[4:5], v[6:7] offset:128
	flat_load_dwordx2 v[6:7], v[2:3] offset:256
	v_fma_f32 v36, v34, s14, -v36
	v_fmac_f32_e32 v35, s15, v34
	s_waitcnt vmcnt(0) lgkmcnt(0)
	v_mul_f32_e32 v37, s3, v7
	v_mul_f32_e32 v7, s2, v7
	v_fma_f32 v34, v6, s2, -v37
	v_fmac_f32_e32 v7, s3, v6
	v_add_f32_e32 v6, v36, v34
	v_add_f32_e32 v7, v35, v7
	flat_store_dwordx2 v[4:5], v[6:7] offset:256
	flat_load_dwordx2 v[2:3], v[2:3] offset:384
	v_mul_f32_e32 v6, s15, v33
	v_mul_f32_e32 v7, s14, v33
	v_fma_f32 v6, v32, s14, -v6
	v_fmac_f32_e32 v7, s15, v32
	s_waitcnt vmcnt(0) lgkmcnt(0)
	v_mul_f32_e32 v33, s3, v3
	v_mul_f32_e32 v3, s2, v3
	v_fma_f32 v32, v2, s2, -v33
	v_add_co_u32 v33, vcc_lo, v40, s0
	v_fmac_f32_e32 v3, s3, v2
	v_add_co_ci_u32_e64 v34, null, s1, v41, vcc_lo
	v_add_f32_e32 v2, v6, v32
	v_add_co_u32 v6, vcc_lo, v33, v0
	v_add_f32_e32 v3, v7, v3
	v_add_co_ci_u32_e64 v7, null, v34, v1, vcc_lo
	v_add_co_u32 v32, vcc_lo, v43, s4
	flat_store_dwordx2 v[4:5], v[2:3] offset:384
	flat_load_dwordx2 v[2:3], v[6:7]
	v_mul_f32_e32 v4, s15, v31
	v_mul_f32_e32 v5, s14, v31
	v_add_co_ci_u32_e64 v35, null, s5, v44, vcc_lo
	v_fma_f32 v4, v30, s14, -v4
	v_fmac_f32_e32 v5, s15, v30
	s_waitcnt vmcnt(0) lgkmcnt(0)
	v_mul_f32_e32 v30, s3, v3
	v_mul_f32_e32 v31, s2, v3
	v_fma_f32 v30, v2, s2, -v30
	v_fmac_f32_e32 v31, s3, v2
	v_add_co_u32 v2, vcc_lo, v32, v0
	v_add_co_ci_u32_e64 v3, null, v35, v1, vcc_lo
	v_add_f32_e32 v4, v4, v30
	v_add_f32_e32 v5, v5, v31
	v_mul_f32_e32 v30, s15, v29
	v_mul_f32_e32 v29, s14, v29
	flat_store_dwordx2 v[2:3], v[4:5]
	flat_load_dwordx2 v[4:5], v[6:7] offset:128
	v_fma_f32 v30, v28, s14, -v30
	v_fmac_f32_e32 v29, s15, v28
	s_waitcnt vmcnt(0) lgkmcnt(0)
	v_mul_f32_e32 v31, s3, v5
	v_mul_f32_e32 v5, s2, v5
	v_fma_f32 v28, v4, s2, -v31
	v_fmac_f32_e32 v5, s3, v4
	v_add_f32_e32 v4, v30, v28
	v_add_f32_e32 v5, v29, v5
	v_mul_f32_e32 v28, s15, v27
	v_mul_f32_e32 v27, s14, v27
	flat_store_dwordx2 v[2:3], v[4:5] offset:128
	flat_load_dwordx2 v[4:5], v[6:7] offset:256
	v_fma_f32 v28, v26, s14, -v28
	v_fmac_f32_e32 v27, s15, v26
	s_waitcnt vmcnt(0) lgkmcnt(0)
	v_mul_f32_e32 v29, s3, v5
	v_mul_f32_e32 v5, s2, v5
	v_fma_f32 v26, v4, s2, -v29
	v_fmac_f32_e32 v5, s3, v4
	v_add_f32_e32 v4, v28, v26
	v_add_f32_e32 v5, v27, v5
	flat_store_dwordx2 v[2:3], v[4:5] offset:256
	flat_load_dwordx2 v[4:5], v[6:7] offset:384
	v_mul_f32_e32 v6, s15, v25
	v_mul_f32_e32 v7, s14, v25
	v_fma_f32 v6, v24, s14, -v6
	v_fmac_f32_e32 v7, s15, v24
	s_waitcnt vmcnt(0) lgkmcnt(0)
	v_mul_f32_e32 v25, s3, v5
	v_mul_f32_e32 v5, s2, v5
	v_fma_f32 v24, v4, s2, -v25
	v_add_co_u32 v25, vcc_lo, v33, s0
	v_fmac_f32_e32 v5, s3, v4
	v_add_co_ci_u32_e64 v26, null, s1, v34, vcc_lo
	v_add_f32_e32 v4, v6, v24
	v_add_co_u32 v6, vcc_lo, v25, v0
	v_add_f32_e32 v5, v7, v5
	v_add_co_ci_u32_e64 v7, null, v26, v1, vcc_lo
	v_add_co_u32 v24, vcc_lo, v32, s4
	flat_store_dwordx2 v[2:3], v[4:5] offset:384
	flat_load_dwordx2 v[2:3], v[6:7]
	v_mul_f32_e32 v4, s15, v23
	v_mul_f32_e32 v5, s14, v23
	v_add_co_ci_u32_e64 v27, null, s5, v35, vcc_lo
	v_fma_f32 v4, v22, s14, -v4
	v_fmac_f32_e32 v5, s15, v22
	s_waitcnt vmcnt(0) lgkmcnt(0)
	v_mul_f32_e32 v22, s3, v3
	v_mul_f32_e32 v23, s2, v3
	v_fma_f32 v22, v2, s2, -v22
	v_fmac_f32_e32 v23, s3, v2
	v_add_co_u32 v2, vcc_lo, v24, v0
	v_add_co_ci_u32_e64 v3, null, v27, v1, vcc_lo
	v_add_f32_e32 v4, v4, v22
	v_add_f32_e32 v5, v5, v23
	v_mul_f32_e32 v22, s15, v21
	v_mul_f32_e32 v21, s14, v21
	flat_store_dwordx2 v[2:3], v[4:5]
	flat_load_dwordx2 v[4:5], v[6:7] offset:128
	v_fma_f32 v22, v20, s14, -v22
	v_fmac_f32_e32 v21, s15, v20
	s_waitcnt vmcnt(0) lgkmcnt(0)
	v_mul_f32_e32 v23, s3, v5
	v_mul_f32_e32 v5, s2, v5
	v_fma_f32 v20, v4, s2, -v23
	v_fmac_f32_e32 v5, s3, v4
	v_add_f32_e32 v4, v22, v20
	v_add_f32_e32 v5, v21, v5
	v_mul_f32_e32 v20, s15, v19
	v_mul_f32_e32 v19, s14, v19
	flat_store_dwordx2 v[2:3], v[4:5] offset:128
	flat_load_dwordx2 v[4:5], v[6:7] offset:256
	v_fma_f32 v20, v18, s14, -v20
	v_fmac_f32_e32 v19, s15, v18
	s_waitcnt vmcnt(0) lgkmcnt(0)
	v_mul_f32_e32 v21, s3, v5
	v_mul_f32_e32 v5, s2, v5
	v_fma_f32 v18, v4, s2, -v21
	v_fmac_f32_e32 v5, s3, v4
	v_add_f32_e32 v4, v20, v18
	v_add_f32_e32 v5, v19, v5
	flat_store_dwordx2 v[2:3], v[4:5] offset:256
	flat_load_dwordx2 v[4:5], v[6:7] offset:384
	v_mul_f32_e32 v6, s15, v17
	v_mul_f32_e32 v7, s14, v17
	v_fma_f32 v6, v16, s14, -v6
	v_fmac_f32_e32 v7, s15, v16
	s_waitcnt vmcnt(0) lgkmcnt(0)
	v_mul_f32_e32 v17, s3, v5
	v_mul_f32_e32 v5, s2, v5
	v_fma_f32 v16, v4, s2, -v17
	v_add_co_u32 v17, vcc_lo, v25, s0
	v_fmac_f32_e32 v5, s3, v4
	v_add_co_ci_u32_e64 v18, null, s1, v26, vcc_lo
	v_add_f32_e32 v4, v6, v16
	v_add_co_u32 v6, vcc_lo, v17, v0
	v_add_f32_e32 v5, v7, v5
	v_add_co_ci_u32_e64 v7, null, v18, v1, vcc_lo
	flat_store_dwordx2 v[2:3], v[4:5] offset:384
	flat_load_dwordx2 v[2:3], v[6:7]
	v_mul_f32_e32 v4, s15, v15
	v_mul_f32_e32 v5, s14, v15
	v_add_co_u32 v15, vcc_lo, v24, s4
	v_add_co_ci_u32_e64 v16, null, s5, v27, vcc_lo
	v_fma_f32 v4, v14, s14, -v4
	v_fmac_f32_e32 v5, s15, v14
	v_add_co_u32 v0, vcc_lo, v15, v0
	v_add_co_ci_u32_e64 v1, null, v16, v1, vcc_lo
	s_waitcnt vmcnt(0) lgkmcnt(0)
	v_mul_f32_e32 v14, s3, v3
	v_mul_f32_e32 v3, s2, v3
	v_fma_f32 v14, v2, s2, -v14
	v_fmac_f32_e32 v3, s3, v2
	v_add_f32_e32 v2, v4, v14
	v_add_f32_e32 v3, v5, v3
	v_mul_f32_e32 v4, s15, v13
	v_mul_f32_e32 v5, s14, v13
	flat_store_dwordx2 v[0:1], v[2:3]
	flat_load_dwordx2 v[2:3], v[6:7] offset:128
	v_fma_f32 v4, v12, s14, -v4
	v_fmac_f32_e32 v5, s15, v12
	s_waitcnt vmcnt(0) lgkmcnt(0)
	v_mul_f32_e32 v13, s3, v3
	v_mul_f32_e32 v3, s2, v3
	v_fma_f32 v12, v2, s2, -v13
	v_fmac_f32_e32 v3, s3, v2
	v_add_f32_e32 v2, v4, v12
	v_add_f32_e32 v3, v5, v3
	v_mul_f32_e32 v4, s15, v11
	v_mul_f32_e32 v5, s14, v11
	flat_store_dwordx2 v[0:1], v[2:3] offset:128
	flat_load_dwordx2 v[2:3], v[6:7] offset:256
	v_fma_f32 v4, v10, s14, -v4
	v_fmac_f32_e32 v5, s15, v10
	s_waitcnt vmcnt(0) lgkmcnt(0)
	v_mul_f32_e32 v11, s3, v3
	v_mul_f32_e32 v3, s2, v3
	v_fma_f32 v10, v2, s2, -v11
	v_fmac_f32_e32 v3, s3, v2
	v_add_f32_e32 v2, v4, v10
	v_add_f32_e32 v3, v5, v3
	v_mul_f32_e32 v4, s15, v8
	v_mul_f32_e32 v5, s14, v8
	flat_store_dwordx2 v[0:1], v[2:3] offset:256
	flat_load_dwordx2 v[2:3], v[6:7] offset:384
	v_fma_f32 v4, v9, s14, -v4
	v_fmac_f32_e32 v5, s15, v9
	s_waitcnt vmcnt(0) lgkmcnt(0)
	v_mul_f32_e32 v6, s3, v3
	v_mul_f32_e32 v3, s2, v3
	v_fma_f32 v6, v2, s2, -v6
	v_fmac_f32_e32 v3, s3, v2
	v_add_co_u32 v2, vcc_lo, 0x180, v0
	v_add_f32_e32 v4, v4, v6
	v_add_f32_e32 v6, v5, v3
	v_add_co_ci_u32_e64 v3, null, 0, v1, vcc_lo
	flat_store_dword v[0:1], v4 offset:384
.LBB234_7:
	flat_store_dword v[2:3], v6 offset:4
	s_endpgm
	.section	.rodata,"a",@progbits
	.p2align	6, 0x0
	.amdhsa_kernel _ZN12_GLOBAL__N_127rocblas_gemm_batched_kernelI19rocblas_complex_numIfELi16ELi16ELi64ELi64ELi4ELi64ELi4ELi4ELi64ELc78ELc78EKPKS2_S5_KPS2_EEvlllT_PT11_llSA_llS8_PT12_llPT13_lli
		.amdhsa_group_segment_fixed_size 4096
		.amdhsa_private_segment_fixed_size 0
		.amdhsa_kernarg_size 140
		.amdhsa_user_sgpr_count 6
		.amdhsa_user_sgpr_private_segment_buffer 1
		.amdhsa_user_sgpr_dispatch_ptr 0
		.amdhsa_user_sgpr_queue_ptr 0
		.amdhsa_user_sgpr_kernarg_segment_ptr 1
		.amdhsa_user_sgpr_dispatch_id 0
		.amdhsa_user_sgpr_flat_scratch_init 0
		.amdhsa_user_sgpr_private_segment_size 0
		.amdhsa_wavefront_size32 1
		.amdhsa_uses_dynamic_stack 0
		.amdhsa_system_sgpr_private_segment_wavefront_offset 0
		.amdhsa_system_sgpr_workgroup_id_x 1
		.amdhsa_system_sgpr_workgroup_id_y 1
		.amdhsa_system_sgpr_workgroup_id_z 1
		.amdhsa_system_sgpr_workgroup_info 0
		.amdhsa_system_vgpr_workitem_id 1
		.amdhsa_next_free_vgpr 188
		.amdhsa_next_free_sgpr 44
		.amdhsa_reserve_vcc 1
		.amdhsa_reserve_flat_scratch 0
		.amdhsa_float_round_mode_32 0
		.amdhsa_float_round_mode_16_64 0
		.amdhsa_float_denorm_mode_32 3
		.amdhsa_float_denorm_mode_16_64 3
		.amdhsa_dx10_clamp 1
		.amdhsa_ieee_mode 1
		.amdhsa_fp16_overflow 0
		.amdhsa_workgroup_processor_mode 1
		.amdhsa_memory_ordered 1
		.amdhsa_forward_progress 1
		.amdhsa_shared_vgpr_count 0
		.amdhsa_exception_fp_ieee_invalid_op 0
		.amdhsa_exception_fp_denorm_src 0
		.amdhsa_exception_fp_ieee_div_zero 0
		.amdhsa_exception_fp_ieee_overflow 0
		.amdhsa_exception_fp_ieee_underflow 0
		.amdhsa_exception_fp_ieee_inexact 0
		.amdhsa_exception_int_div_zero 0
	.end_amdhsa_kernel
	.section	.text._ZN12_GLOBAL__N_127rocblas_gemm_batched_kernelI19rocblas_complex_numIfELi16ELi16ELi64ELi64ELi4ELi64ELi4ELi4ELi64ELc78ELc78EKPKS2_S5_KPS2_EEvlllT_PT11_llSA_llS8_PT12_llPT13_lli,"axG",@progbits,_ZN12_GLOBAL__N_127rocblas_gemm_batched_kernelI19rocblas_complex_numIfELi16ELi16ELi64ELi64ELi4ELi64ELi4ELi4ELi64ELc78ELc78EKPKS2_S5_KPS2_EEvlllT_PT11_llSA_llS8_PT12_llPT13_lli,comdat
.Lfunc_end234:
	.size	_ZN12_GLOBAL__N_127rocblas_gemm_batched_kernelI19rocblas_complex_numIfELi16ELi16ELi64ELi64ELi4ELi64ELi4ELi4ELi64ELc78ELc78EKPKS2_S5_KPS2_EEvlllT_PT11_llSA_llS8_PT12_llPT13_lli, .Lfunc_end234-_ZN12_GLOBAL__N_127rocblas_gemm_batched_kernelI19rocblas_complex_numIfELi16ELi16ELi64ELi64ELi4ELi64ELi4ELi4ELi64ELc78ELc78EKPKS2_S5_KPS2_EEvlllT_PT11_llSA_llS8_PT12_llPT13_lli
                                        ; -- End function
	.set _ZN12_GLOBAL__N_127rocblas_gemm_batched_kernelI19rocblas_complex_numIfELi16ELi16ELi64ELi64ELi4ELi64ELi4ELi4ELi64ELc78ELc78EKPKS2_S5_KPS2_EEvlllT_PT11_llSA_llS8_PT12_llPT13_lli.num_vgpr, 188
	.set _ZN12_GLOBAL__N_127rocblas_gemm_batched_kernelI19rocblas_complex_numIfELi16ELi16ELi64ELi64ELi4ELi64ELi4ELi4ELi64ELc78ELc78EKPKS2_S5_KPS2_EEvlllT_PT11_llSA_llS8_PT12_llPT13_lli.num_agpr, 0
	.set _ZN12_GLOBAL__N_127rocblas_gemm_batched_kernelI19rocblas_complex_numIfELi16ELi16ELi64ELi64ELi4ELi64ELi4ELi4ELi64ELc78ELc78EKPKS2_S5_KPS2_EEvlllT_PT11_llSA_llS8_PT12_llPT13_lli.numbered_sgpr, 44
	.set _ZN12_GLOBAL__N_127rocblas_gemm_batched_kernelI19rocblas_complex_numIfELi16ELi16ELi64ELi64ELi4ELi64ELi4ELi4ELi64ELc78ELc78EKPKS2_S5_KPS2_EEvlllT_PT11_llSA_llS8_PT12_llPT13_lli.num_named_barrier, 0
	.set _ZN12_GLOBAL__N_127rocblas_gemm_batched_kernelI19rocblas_complex_numIfELi16ELi16ELi64ELi64ELi4ELi64ELi4ELi4ELi64ELc78ELc78EKPKS2_S5_KPS2_EEvlllT_PT11_llSA_llS8_PT12_llPT13_lli.private_seg_size, 0
	.set _ZN12_GLOBAL__N_127rocblas_gemm_batched_kernelI19rocblas_complex_numIfELi16ELi16ELi64ELi64ELi4ELi64ELi4ELi4ELi64ELc78ELc78EKPKS2_S5_KPS2_EEvlllT_PT11_llSA_llS8_PT12_llPT13_lli.uses_vcc, 1
	.set _ZN12_GLOBAL__N_127rocblas_gemm_batched_kernelI19rocblas_complex_numIfELi16ELi16ELi64ELi64ELi4ELi64ELi4ELi4ELi64ELc78ELc78EKPKS2_S5_KPS2_EEvlllT_PT11_llSA_llS8_PT12_llPT13_lli.uses_flat_scratch, 0
	.set _ZN12_GLOBAL__N_127rocblas_gemm_batched_kernelI19rocblas_complex_numIfELi16ELi16ELi64ELi64ELi4ELi64ELi4ELi4ELi64ELc78ELc78EKPKS2_S5_KPS2_EEvlllT_PT11_llSA_llS8_PT12_llPT13_lli.has_dyn_sized_stack, 0
	.set _ZN12_GLOBAL__N_127rocblas_gemm_batched_kernelI19rocblas_complex_numIfELi16ELi16ELi64ELi64ELi4ELi64ELi4ELi4ELi64ELc78ELc78EKPKS2_S5_KPS2_EEvlllT_PT11_llSA_llS8_PT12_llPT13_lli.has_recursion, 0
	.set _ZN12_GLOBAL__N_127rocblas_gemm_batched_kernelI19rocblas_complex_numIfELi16ELi16ELi64ELi64ELi4ELi64ELi4ELi4ELi64ELc78ELc78EKPKS2_S5_KPS2_EEvlllT_PT11_llSA_llS8_PT12_llPT13_lli.has_indirect_call, 0
	.section	.AMDGPU.csdata,"",@progbits
; Kernel info:
; codeLenInByte = 4928
; TotalNumSgprs: 46
; NumVgprs: 188
; ScratchSize: 0
; MemoryBound: 0
; FloatMode: 240
; IeeeMode: 1
; LDSByteSize: 4096 bytes/workgroup (compile time only)
; SGPRBlocks: 0
; VGPRBlocks: 23
; NumSGPRsForWavesPerEU: 46
; NumVGPRsForWavesPerEU: 188
; Occupancy: 5
; WaveLimiterHint : 1
; COMPUTE_PGM_RSRC2:SCRATCH_EN: 0
; COMPUTE_PGM_RSRC2:USER_SGPR: 6
; COMPUTE_PGM_RSRC2:TRAP_HANDLER: 0
; COMPUTE_PGM_RSRC2:TGID_X_EN: 1
; COMPUTE_PGM_RSRC2:TGID_Y_EN: 1
; COMPUTE_PGM_RSRC2:TGID_Z_EN: 1
; COMPUTE_PGM_RSRC2:TIDIG_COMP_CNT: 1
	.section	.text._ZN12_GLOBAL__N_127rocblas_gemm_batched_kernelI19rocblas_complex_numIfELi16ELi16ELi64ELi64ELi4ELi64ELi4ELi4ELi64ELc84ELc78EKPKS2_S5_KPS2_EEvlllT_PT11_llSA_llS8_PT12_llPT13_lli,"axG",@progbits,_ZN12_GLOBAL__N_127rocblas_gemm_batched_kernelI19rocblas_complex_numIfELi16ELi16ELi64ELi64ELi4ELi64ELi4ELi4ELi64ELc84ELc78EKPKS2_S5_KPS2_EEvlllT_PT11_llSA_llS8_PT12_llPT13_lli,comdat
	.globl	_ZN12_GLOBAL__N_127rocblas_gemm_batched_kernelI19rocblas_complex_numIfELi16ELi16ELi64ELi64ELi4ELi64ELi4ELi4ELi64ELc84ELc78EKPKS2_S5_KPS2_EEvlllT_PT11_llSA_llS8_PT12_llPT13_lli ; -- Begin function _ZN12_GLOBAL__N_127rocblas_gemm_batched_kernelI19rocblas_complex_numIfELi16ELi16ELi64ELi64ELi4ELi64ELi4ELi4ELi64ELc84ELc78EKPKS2_S5_KPS2_EEvlllT_PT11_llSA_llS8_PT12_llPT13_lli
	.p2align	8
	.type	_ZN12_GLOBAL__N_127rocblas_gemm_batched_kernelI19rocblas_complex_numIfELi16ELi16ELi64ELi64ELi4ELi64ELi4ELi4ELi64ELc84ELc78EKPKS2_S5_KPS2_EEvlllT_PT11_llSA_llS8_PT12_llPT13_lli,@function
_ZN12_GLOBAL__N_127rocblas_gemm_batched_kernelI19rocblas_complex_numIfELi16ELi16ELi64ELi64ELi4ELi64ELi4ELi4ELi64ELc84ELc78EKPKS2_S5_KPS2_EEvlllT_PT11_llSA_llS8_PT12_llPT13_lli: ; @_ZN12_GLOBAL__N_127rocblas_gemm_batched_kernelI19rocblas_complex_numIfELi16ELi16ELi64ELi64ELi4ELi64ELi4ELi4ELi64ELc84ELc78EKPKS2_S5_KPS2_EEvlllT_PT11_llSA_llS8_PT12_llPT13_lli
; %bb.0:
	s_clause 0x1
	s_load_dwordx8 s[36:43], s[4:5], 0x58
	s_load_dwordx16 s[12:27], s[4:5], 0x10
	s_mov_b32 s9, 0
	s_clause 0x1
	s_load_dwordx4 s[28:31], s[4:5], 0x78
	s_load_dwordx2 s[2:3], s[4:5], 0x50
	s_lshl_b64 s[0:1], s[8:9], 3
	s_mov_b32 s10, s7
	v_mov_b32_e32 v38, 0
	v_mov_b32_e32 v39, 0
	;; [unrolled: 1-line block ×13, first 2 shown]
	s_waitcnt lgkmcnt(0)
	s_add_u32 s4, s36, s0
	s_addc_u32 s5, s37, s1
	s_add_u32 s8, s42, s0
	s_addc_u32 s9, s43, s1
	s_load_dwordx2 s[4:5], s[4:5], 0x0
	s_load_dwordx2 s[8:9], s[8:9], 0x0
	v_cmp_lt_i64_e64 s33, s[12:13], 1
	v_mov_b32_e32 v27, 0
	v_mov_b32_e32 v24, 0
	;; [unrolled: 1-line block ×19, first 2 shown]
	s_ashr_i32 s7, s6, 31
	s_ashr_i32 s11, s10, 31
	s_lshl_b64 s[6:7], s[6:7], 6
	s_and_b32 vcc_lo, exec_lo, s33
	s_lshl_b64 s[10:11], s[10:11], 6
	s_cbranch_vccnz .LBB235_3
; %bb.1:
	v_lshl_add_u32 v2, v1, 4, v0
	s_add_u32 s16, s16, s0
	s_addc_u32 s17, s17, s1
	s_add_u32 s0, s22, s0
	v_and_b32_e32 v3, 3, v0
	v_and_b32_e32 v6, 63, v2
	v_lshrrev_b32_e32 v7, 2, v2
	v_lshrrev_b32_e32 v10, 6, v2
	s_load_dwordx2 s[16:17], s[16:17], 0x0
	v_lshlrev_b32_e32 v11, 3, v3
	v_add_co_u32 v4, s22, s6, v6
	v_add_co_ci_u32_e64 v5, null, s7, 0, s22
	v_add_co_u32 v8, s22, v7, s10
	v_add_co_ci_u32_e64 v9, null, 0, s11, s22
	v_mul_lo_u32 v12, s19, v4
	v_mul_lo_u32 v13, s18, v5
	v_mad_u64_u32 v[2:3], null, s18, v4, 0
	v_mul_lo_u32 v14, s25, v8
	v_mul_lo_u32 v9, s24, v9
	v_mad_u64_u32 v[4:5], null, s24, v8, 0
	s_addc_u32 s1, s23, s1
	v_lshlrev_b32_e32 v6, 3, v6
	v_add3_u32 v3, v3, v13, v12
	s_load_dwordx2 s[0:1], s[0:1], 0x0
	s_lshl_b64 s[18:19], s[20:21], 3
	v_lshl_or_b32 v7, v7, 5, v11
	v_add3_u32 v5, v5, v9, v14
	v_lshlrev_b64 v[2:3], 3, v[2:3]
	v_lshl_or_b32 v40, v10, 9, v6
	v_lshlrev_b32_e32 v6, 3, v10
	v_mov_b32_e32 v8, 0
	v_lshlrev_b64 v[4:5], 3, v[4:5]
	v_add_nc_u32_e32 v41, 0x800, v7
	v_add_co_u32 v2, vcc_lo, v2, s18
	v_add_co_ci_u32_e64 v3, null, s19, v3, vcc_lo
	s_lshl_b64 s[18:19], s[26:27], 3
	v_lshlrev_b32_e32 v42, 3, v0
	v_add_co_u32 v4, vcc_lo, v4, s18
	v_add_co_ci_u32_e64 v5, null, s19, v5, vcc_lo
	v_add_co_u32 v2, vcc_lo, v2, v6
	v_add_co_ci_u32_e64 v3, null, 0, v3, vcc_lo
	;; [unrolled: 2-line block ×3, first 2 shown]
	s_waitcnt lgkmcnt(0)
	v_add_co_u32 v2, vcc_lo, s16, v2
	v_add_co_ci_u32_e64 v3, null, s17, v3, vcc_lo
	v_add_co_u32 v4, vcc_lo, s0, v4
	v_lshl_add_u32 v43, v1, 5, 0x800
	v_add_co_ci_u32_e64 v5, null, s1, v5, vcc_lo
	v_mov_b32_e32 v9, 0
	v_mov_b32_e32 v11, 0
	;; [unrolled: 1-line block ×31, first 2 shown]
	s_mov_b64 s[16:17], 0
.LBB235_2:                              ; =>This Inner Loop Header: Depth=1
	flat_load_dwordx2 v[6:7], v[2:3]
	s_add_u32 s16, s16, 4
	s_addc_u32 s17, s17, 0
	v_add_co_u32 v2, vcc_lo, v2, 32
	v_cmp_lt_i64_e64 s0, s[16:17], s[12:13]
	v_add_co_ci_u32_e64 v3, null, 0, v3, vcc_lo
	s_and_b32 vcc_lo, exec_lo, s0
	s_waitcnt vmcnt(0) lgkmcnt(0)
	ds_write_b64 v40, v[6:7]
	flat_load_dwordx2 v[6:7], v[4:5]
	v_add_co_u32 v4, s0, v4, 32
	v_add_co_ci_u32_e64 v5, null, 0, v5, s0
	s_waitcnt vmcnt(0) lgkmcnt(0)
	ds_write_b64 v41, v[6:7]
	s_waitcnt lgkmcnt(0)
	s_barrier
	buffer_gl0_inv
	ds_read_b128 v[44:47], v43
	ds_read2_b64 v[48:51], v42 offset1:16
	ds_read_b128 v[52:55], v43 offset:512
	ds_read_b128 v[56:59], v43 offset:16
	;; [unrolled: 1-line block ×7, first 2 shown]
	ds_read2_b64 v[80:83], v42 offset0:32 offset1:48
	ds_read2_b64 v[84:87], v42 offset0:64 offset1:80
	;; [unrolled: 1-line block ×7, first 2 shown]
	s_waitcnt lgkmcnt(0)
	s_barrier
	buffer_gl0_inv
	v_mul_f32_e32 v6, v45, v49
	v_mul_f32_e32 v7, v44, v49
	;; [unrolled: 1-line block ×64, first 2 shown]
	v_fma_f32 v6, v44, v48, -v6
	v_fmac_f32_e32 v7, v45, v48
	v_fma_f32 v108, v44, v50, -v108
	v_fmac_f32_e32 v109, v45, v50
	;; [unrolled: 2-line block ×16, first 2 shown]
	v_mul_f32_e32 v162, v57, v93
	v_mul_f32_e32 v163, v56, v93
	;; [unrolled: 1-line block ×28, first 2 shown]
	v_fma_f32 v124, v46, v84, -v134
	v_fmac_f32_e32 v135, v47, v84
	v_fma_f32 v126, v46, v86, -v136
	v_fmac_f32_e32 v137, v47, v86
	;; [unrolled: 2-line block ×4, first 2 shown]
	v_mul_f32_e32 v47, v77, v97
	v_mul_f32_e32 v97, v76, v97
	;; [unrolled: 1-line block ×4, first 2 shown]
	v_fma_f32 v132, v54, v84, -v142
	v_fmac_f32_e32 v143, v55, v84
	v_fma_f32 v133, v54, v86, -v144
	v_fmac_f32_e32 v145, v55, v86
	;; [unrolled: 2-line block ×4, first 2 shown]
	v_mul_f32_e32 v136, v58, v101
	v_mul_f32_e32 v140, v58, v103
	v_fma_f32 v142, v66, v84, -v150
	v_fmac_f32_e32 v151, v67, v84
	v_fma_f32 v144, v66, v86, -v152
	v_fmac_f32_e32 v153, v67, v86
	;; [unrolled: 2-line block ×4, first 2 shown]
	v_mul_f32_e32 v148, v58, v105
	v_mul_f32_e32 v152, v58, v107
	v_fma_f32 v154, v74, v84, -v158
	v_fmac_f32_e32 v85, v75, v84
	v_fma_f32 v84, v74, v86, -v159
	v_fmac_f32_e32 v87, v75, v86
	;; [unrolled: 2-line block ×4, first 2 shown]
	v_add_f32_e32 v6, v38, v6
	v_add_f32_e32 v7, v39, v7
	;; [unrolled: 1-line block ×32, first 2 shown]
	v_mul_f32_e32 v55, v59, v101
	v_mul_f32_e32 v138, v59, v103
	;; [unrolled: 1-line block ×16, first 2 shown]
	v_fma_f32 v162, v56, v92, -v162
	v_fmac_f32_e32 v163, v57, v92
	v_fma_f32 v164, v56, v94, -v164
	v_fmac_f32_e32 v165, v57, v94
	;; [unrolled: 2-line block ×8, first 2 shown]
	v_mul_f32_e32 v94, v71, v105
	v_mul_f32_e32 v175, v70, v105
	;; [unrolled: 1-line block ×4, first 2 shown]
	v_fma_f32 v176, v56, v96, -v176
	v_fmac_f32_e32 v177, v57, v96
	v_fma_f32 v56, v56, v98, -v178
	v_fmac_f32_e32 v179, v57, v98
	;; [unrolled: 2-line block ×8, first 2 shown]
	v_mul_f32_e32 v69, v79, v101
	v_mul_f32_e32 v73, v78, v101
	;; [unrolled: 1-line block ×4, first 2 shown]
	v_fmac_f32_e32 v136, v59, v100
	v_fmac_f32_e32 v140, v59, v102
	;; [unrolled: 1-line block ×4, first 2 shown]
	v_mul_f32_e32 v59, v79, v105
	v_mul_f32_e32 v96, v78, v105
	v_mul_f32_e32 v98, v79, v107
	v_mul_f32_e32 v101, v78, v107
	v_add_f32_e32 v6, v6, v124
	v_add_f32_e32 v7, v7, v135
	;; [unrolled: 1-line block ×32, first 2 shown]
	v_fma_f32 v55, v58, v100, -v55
	v_fma_f32 v82, v58, v102, -v138
	;; [unrolled: 1-line block ×5, first 2 shown]
	v_fmac_f32_e32 v156, v63, v100
	v_fma_f32 v103, v62, v102, -v158
	v_fmac_f32_e32 v159, v63, v102
	v_fma_f32 v75, v62, v104, -v75
	;; [unrolled: 2-line block ×11, first 2 shown]
	v_fmac_f32_e32 v101, v79, v106
	v_add_f32_e32 v6, v6, v162
	v_add_f32_e32 v7, v7, v163
	v_add_f32_e32 v36, v36, v164
	v_add_f32_e32 v37, v37, v165
	v_add_f32_e32 v34, v34, v176
	v_add_f32_e32 v35, v35, v177
	v_add_f32_e32 v32, v32, v56
	v_add_f32_e32 v33, v33, v179
	v_add_f32_e32 v30, v30, v166
	v_add_f32_e32 v31, v31, v167
	v_add_f32_e32 v28, v28, v168
	v_add_f32_e32 v29, v29, v169
	v_add_f32_e32 v26, v26, v50
	v_add_f32_e32 v27, v27, v119
	v_add_f32_e32 v24, v24, v57
	v_add_f32_e32 v25, v25, v181
	v_add_f32_e32 v22, v22, v170
	v_add_f32_e32 v23, v23, v171
	v_add_f32_e32 v20, v20, v172
	v_add_f32_e32 v21, v21, v173
	v_add_f32_e32 v18, v18, v60
	v_add_f32_e32 v19, v19, v80
	v_add_f32_e32 v16, v16, v61
	v_add_f32_e32 v17, v17, v122
	v_add_f32_e32 v14, v14, v174
	v_add_f32_e32 v15, v15, v93
	v_add_f32_e32 v12, v12, v92
	v_add_f32_e32 v13, v13, v95
	v_add_f32_e32 v10, v10, v47
	v_add_f32_e32 v11, v11, v97
	v_add_f32_e32 v9, v9, v68
	v_add_f32_e32 v8, v8, v99
	v_add_f32_e32 v38, v6, v55
	v_add_f32_e32 v39, v7, v136
	v_add_f32_e32 v36, v36, v82
	v_add_f32_e32 v37, v37, v140
	v_add_f32_e32 v34, v34, v67
	v_add_f32_e32 v35, v35, v148
	v_add_f32_e32 v32, v32, v58
	v_add_f32_e32 v33, v33, v152
	v_add_f32_e32 v30, v30, v86
	v_add_f32_e32 v31, v31, v156
	v_add_f32_e32 v28, v28, v103
	v_add_f32_e32 v29, v29, v159
	v_add_f32_e32 v26, v26, v75
	v_add_f32_e32 v27, v27, v88
	v_add_f32_e32 v24, v24, v62
	v_add_f32_e32 v25, v25, v161
	v_add_f32_e32 v22, v22, v63
	v_add_f32_e32 v23, v23, v183
	v_add_f32_e32 v20, v20, v90
	v_add_f32_e32 v21, v21, v185
	v_add_f32_e32 v18, v18, v94
	v_add_f32_e32 v19, v19, v175
	v_add_f32_e32 v16, v16, v70
	v_add_f32_e32 v17, v17, v187
	v_add_f32_e32 v14, v14, v69
	v_add_f32_e32 v15, v15, v73
	v_add_f32_e32 v12, v12, v71
	v_add_f32_e32 v13, v13, v77
	v_add_f32_e32 v10, v10, v59
	v_add_f32_e32 v11, v11, v96
	v_add_f32_e32 v9, v9, v76
	v_add_f32_e32 v8, v8, v101
	s_cbranch_vccnz .LBB235_2
.LBB235_3:
	s_lshl_b64 s[0:1], s[30:31], 3
	s_waitcnt lgkmcnt(0)
	s_add_u32 s8, s8, s0
	s_addc_u32 s9, s9, s1
	v_add_co_u32 v4, s1, s10, v1
	v_add_co_ci_u32_e64 v5, null, s11, 0, s1
	v_add_co_u32 v0, s1, s6, v0
	s_or_b32 s0, s2, s3
	v_add_co_ci_u32_e64 v1, null, s7, 0, s1
	s_bitset0_b32 s0, 31
	s_mov_b32 s6, 0
	s_cmp_lg_u32 s0, 0
	s_cbranch_scc1 .LBB235_5
; %bb.4:
	v_mul_lo_u32 v6, v5, s28
	v_mul_lo_u32 v40, v4, s29
	v_mad_u64_u32 v[2:3], null, v4, s28, 0
	v_mul_f32_e32 v42, s15, v39
	v_mul_f32_e32 v7, s14, v39
	;; [unrolled: 1-line block ×6, first 2 shown]
	v_add3_u32 v3, v3, v40, v6
	v_lshlrev_b64 v[40:41], 3, v[0:1]
	v_mul_f32_e32 v48, s15, v33
	v_mul_f32_e32 v47, s14, v33
	v_fma_f32 v6, v38, s14, -v42
	v_lshlrev_b64 v[2:3], 3, v[2:3]
	v_fmac_f32_e32 v7, s15, v38
	v_fma_f32 v42, v36, s14, -v44
	v_fmac_f32_e32 v43, s15, v36
	s_lshl_b64 s[0:1], s[28:29], 7
	v_fma_f32 v44, v34, s14, -v46
	v_add_co_u32 v49, vcc_lo, s8, v2
	v_add_co_ci_u32_e64 v50, null, s9, v3, vcc_lo
	v_fmac_f32_e32 v45, s15, v34
	v_add_co_u32 v2, vcc_lo, v49, v40
	v_add_co_ci_u32_e64 v3, null, v50, v41, vcc_lo
	v_fma_f32 v46, v32, s14, -v48
	v_fmac_f32_e32 v47, s15, v32
	v_add_co_u32 v48, vcc_lo, v49, s0
	flat_store_dwordx2 v[2:3], v[6:7]
	flat_store_dwordx2 v[2:3], v[42:43] offset:128
	flat_store_dwordx2 v[2:3], v[44:45] offset:256
	;; [unrolled: 1-line block ×3, first 2 shown]
	v_mul_f32_e32 v2, s15, v31
	v_mul_f32_e32 v3, s14, v31
	v_add_co_ci_u32_e64 v49, null, s1, v50, vcc_lo
	v_mul_f32_e32 v6, s15, v29
	v_mul_f32_e32 v7, s14, v29
	;; [unrolled: 1-line block ×4, first 2 shown]
	v_add_co_u32 v44, vcc_lo, v48, v40
	v_fma_f32 v2, v30, s14, -v2
	v_fmac_f32_e32 v3, s15, v30
	v_add_co_ci_u32_e64 v45, null, v49, v41, vcc_lo
	v_fma_f32 v6, v28, s14, -v6
	v_fmac_f32_e32 v7, s15, v28
	v_fma_f32 v42, v26, s14, -v42
	v_fmac_f32_e32 v43, s15, v26
	v_add_co_u32 v52, vcc_lo, v48, s0
	v_mul_f32_e32 v46, s15, v25
	v_mul_f32_e32 v47, s14, v25
	flat_store_dwordx2 v[44:45], v[2:3]
	flat_store_dwordx2 v[44:45], v[6:7] offset:128
	flat_store_dwordx2 v[44:45], v[42:43] offset:256
	v_mul_f32_e32 v2, s15, v23
	v_mul_f32_e32 v3, s14, v23
	v_add_co_ci_u32_e64 v53, null, s1, v49, vcc_lo
	v_mul_f32_e32 v42, s15, v21
	v_mul_f32_e32 v43, s14, v21
	;; [unrolled: 1-line block ×4, first 2 shown]
	v_add_co_u32 v6, vcc_lo, v52, v40
	v_mul_f32_e32 v50, s15, v17
	v_mul_f32_e32 v51, s14, v17
	v_fma_f32 v46, v24, s14, -v46
	v_fmac_f32_e32 v47, s15, v24
	v_fma_f32 v2, v22, s14, -v2
	v_fmac_f32_e32 v3, s15, v22
	v_add_co_ci_u32_e64 v7, null, v53, v41, vcc_lo
	v_fma_f32 v42, v20, s14, -v42
	v_fmac_f32_e32 v43, s15, v20
	v_fma_f32 v48, v18, s14, -v48
	v_fmac_f32_e32 v49, s15, v18
	;; [unrolled: 2-line block ×3, first 2 shown]
	flat_store_dwordx2 v[44:45], v[46:47] offset:384
	flat_store_dwordx2 v[6:7], v[2:3]
	flat_store_dwordx2 v[6:7], v[42:43] offset:128
	flat_store_dwordx2 v[6:7], v[48:49] offset:256
	flat_store_dwordx2 v[6:7], v[50:51] offset:384
	v_mul_f32_e32 v2, s15, v15
	v_add_co_u32 v3, vcc_lo, v52, s0
	v_add_co_ci_u32_e64 v6, null, s1, v53, vcc_lo
	v_fma_f32 v42, v14, s14, -v2
	v_mul_f32_e32 v2, s15, v13
	v_add_co_u32 v40, vcc_lo, v3, v40
	v_mul_f32_e32 v43, s14, v15
	v_add_co_ci_u32_e64 v41, null, v6, v41, vcc_lo
	v_fma_f32 v44, v12, s14, -v2
	v_mul_f32_e32 v2, s15, v11
	v_mul_f32_e32 v3, s15, v8
	;; [unrolled: 1-line block ×5, first 2 shown]
	v_fma_f32 v46, v10, s14, -v2
	v_add_co_u32 v2, vcc_lo, 0x180, v40
	v_fmac_f32_e32 v43, s15, v14
	v_fma_f32 v7, v9, s14, -v3
	v_fmac_f32_e32 v6, s15, v9
	v_add_co_ci_u32_e64 v3, null, 0, v41, vcc_lo
	v_fmac_f32_e32 v45, s15, v12
	v_fmac_f32_e32 v47, s15, v10
	flat_store_dwordx2 v[40:41], v[42:43]
	flat_store_dwordx2 v[40:41], v[44:45] offset:128
	flat_store_dwordx2 v[40:41], v[46:47] offset:256
	flat_store_dword v[40:41], v7 offset:384
	s_andn2_b32 vcc_lo, exec_lo, s6
	s_cbranch_vccz .LBB235_6
	s_branch .LBB235_7
.LBB235_5:
                                        ; implicit-def: $vgpr6
                                        ; implicit-def: $vgpr2_vgpr3
.LBB235_6:
	v_mul_lo_u32 v6, v5, s38
	v_mul_lo_u32 v7, v4, s39
	v_mad_u64_u32 v[2:3], null, v4, s38, 0
	s_lshl_b64 s[0:1], s[40:41], 3
	v_lshlrev_b64 v[0:1], 3, v[0:1]
	s_add_u32 s0, s4, s0
	s_addc_u32 s1, s5, s1
	v_mul_lo_u32 v42, v5, s28
	v_mul_lo_u32 v43, v4, s29
	v_add3_u32 v3, v3, v7, v6
	v_mad_u64_u32 v[4:5], null, v4, s28, 0
	s_lshl_b64 s[4:5], s[28:29], 7
	v_lshlrev_b64 v[2:3], 3, v[2:3]
	v_add3_u32 v5, v5, v43, v42
	v_mul_f32_e32 v42, s15, v39
	v_add_co_u32 v40, vcc_lo, s0, v2
	v_add_co_ci_u32_e64 v41, null, s1, v3, vcc_lo
	v_mul_f32_e32 v39, s14, v39
	v_add_co_u32 v2, vcc_lo, v40, v0
	v_add_co_ci_u32_e64 v3, null, v41, v1, vcc_lo
	v_lshlrev_b64 v[4:5], 3, v[4:5]
	v_fma_f32 v42, v38, s14, -v42
	v_fmac_f32_e32 v39, s15, v38
	flat_load_dwordx2 v[6:7], v[2:3]
	s_lshl_b64 s[0:1], s[38:39], 7
	v_add_co_u32 v43, vcc_lo, s8, v4
	v_add_co_ci_u32_e64 v44, null, s9, v5, vcc_lo
	v_add_co_u32 v4, vcc_lo, v43, v0
	v_add_co_ci_u32_e64 v5, null, v44, v1, vcc_lo
	s_waitcnt vmcnt(0) lgkmcnt(0)
	v_mul_f32_e32 v38, s3, v7
	v_mul_f32_e32 v7, s2, v7
	v_fma_f32 v38, v6, s2, -v38
	v_fmac_f32_e32 v7, s3, v6
	v_add_f32_e32 v6, v42, v38
	v_add_f32_e32 v7, v39, v7
	v_mul_f32_e32 v38, s15, v37
	v_mul_f32_e32 v37, s14, v37
	flat_store_dwordx2 v[4:5], v[6:7]
	flat_load_dwordx2 v[6:7], v[2:3] offset:128
	v_fma_f32 v38, v36, s14, -v38
	v_fmac_f32_e32 v37, s15, v36
	s_waitcnt vmcnt(0) lgkmcnt(0)
	v_mul_f32_e32 v39, s3, v7
	v_mul_f32_e32 v7, s2, v7
	v_fma_f32 v36, v6, s2, -v39
	v_fmac_f32_e32 v7, s3, v6
	v_add_f32_e32 v6, v38, v36
	v_add_f32_e32 v7, v37, v7
	v_mul_f32_e32 v36, s15, v35
	v_mul_f32_e32 v35, s14, v35
	flat_store_dwordx2 v[4:5], v[6:7] offset:128
	flat_load_dwordx2 v[6:7], v[2:3] offset:256
	v_fma_f32 v36, v34, s14, -v36
	v_fmac_f32_e32 v35, s15, v34
	s_waitcnt vmcnt(0) lgkmcnt(0)
	v_mul_f32_e32 v37, s3, v7
	v_mul_f32_e32 v7, s2, v7
	v_fma_f32 v34, v6, s2, -v37
	v_fmac_f32_e32 v7, s3, v6
	v_add_f32_e32 v6, v36, v34
	v_add_f32_e32 v7, v35, v7
	flat_store_dwordx2 v[4:5], v[6:7] offset:256
	flat_load_dwordx2 v[2:3], v[2:3] offset:384
	v_mul_f32_e32 v6, s15, v33
	v_mul_f32_e32 v7, s14, v33
	v_fma_f32 v6, v32, s14, -v6
	v_fmac_f32_e32 v7, s15, v32
	s_waitcnt vmcnt(0) lgkmcnt(0)
	v_mul_f32_e32 v33, s3, v3
	v_mul_f32_e32 v3, s2, v3
	v_fma_f32 v32, v2, s2, -v33
	v_add_co_u32 v33, vcc_lo, v40, s0
	v_fmac_f32_e32 v3, s3, v2
	v_add_co_ci_u32_e64 v34, null, s1, v41, vcc_lo
	v_add_f32_e32 v2, v6, v32
	v_add_co_u32 v6, vcc_lo, v33, v0
	v_add_f32_e32 v3, v7, v3
	v_add_co_ci_u32_e64 v7, null, v34, v1, vcc_lo
	v_add_co_u32 v32, vcc_lo, v43, s4
	flat_store_dwordx2 v[4:5], v[2:3] offset:384
	flat_load_dwordx2 v[2:3], v[6:7]
	v_mul_f32_e32 v4, s15, v31
	v_mul_f32_e32 v5, s14, v31
	v_add_co_ci_u32_e64 v35, null, s5, v44, vcc_lo
	v_fma_f32 v4, v30, s14, -v4
	v_fmac_f32_e32 v5, s15, v30
	s_waitcnt vmcnt(0) lgkmcnt(0)
	v_mul_f32_e32 v30, s3, v3
	v_mul_f32_e32 v31, s2, v3
	v_fma_f32 v30, v2, s2, -v30
	v_fmac_f32_e32 v31, s3, v2
	v_add_co_u32 v2, vcc_lo, v32, v0
	v_add_co_ci_u32_e64 v3, null, v35, v1, vcc_lo
	v_add_f32_e32 v4, v4, v30
	v_add_f32_e32 v5, v5, v31
	v_mul_f32_e32 v30, s15, v29
	v_mul_f32_e32 v29, s14, v29
	flat_store_dwordx2 v[2:3], v[4:5]
	flat_load_dwordx2 v[4:5], v[6:7] offset:128
	v_fma_f32 v30, v28, s14, -v30
	v_fmac_f32_e32 v29, s15, v28
	s_waitcnt vmcnt(0) lgkmcnt(0)
	v_mul_f32_e32 v31, s3, v5
	v_mul_f32_e32 v5, s2, v5
	v_fma_f32 v28, v4, s2, -v31
	v_fmac_f32_e32 v5, s3, v4
	v_add_f32_e32 v4, v30, v28
	v_add_f32_e32 v5, v29, v5
	v_mul_f32_e32 v28, s15, v27
	v_mul_f32_e32 v27, s14, v27
	flat_store_dwordx2 v[2:3], v[4:5] offset:128
	flat_load_dwordx2 v[4:5], v[6:7] offset:256
	v_fma_f32 v28, v26, s14, -v28
	v_fmac_f32_e32 v27, s15, v26
	s_waitcnt vmcnt(0) lgkmcnt(0)
	v_mul_f32_e32 v29, s3, v5
	v_mul_f32_e32 v5, s2, v5
	v_fma_f32 v26, v4, s2, -v29
	v_fmac_f32_e32 v5, s3, v4
	v_add_f32_e32 v4, v28, v26
	v_add_f32_e32 v5, v27, v5
	flat_store_dwordx2 v[2:3], v[4:5] offset:256
	flat_load_dwordx2 v[4:5], v[6:7] offset:384
	v_mul_f32_e32 v6, s15, v25
	v_mul_f32_e32 v7, s14, v25
	v_fma_f32 v6, v24, s14, -v6
	v_fmac_f32_e32 v7, s15, v24
	s_waitcnt vmcnt(0) lgkmcnt(0)
	v_mul_f32_e32 v25, s3, v5
	v_mul_f32_e32 v5, s2, v5
	v_fma_f32 v24, v4, s2, -v25
	v_add_co_u32 v25, vcc_lo, v33, s0
	v_fmac_f32_e32 v5, s3, v4
	v_add_co_ci_u32_e64 v26, null, s1, v34, vcc_lo
	v_add_f32_e32 v4, v6, v24
	v_add_co_u32 v6, vcc_lo, v25, v0
	v_add_f32_e32 v5, v7, v5
	v_add_co_ci_u32_e64 v7, null, v26, v1, vcc_lo
	v_add_co_u32 v24, vcc_lo, v32, s4
	flat_store_dwordx2 v[2:3], v[4:5] offset:384
	flat_load_dwordx2 v[2:3], v[6:7]
	v_mul_f32_e32 v4, s15, v23
	v_mul_f32_e32 v5, s14, v23
	v_add_co_ci_u32_e64 v27, null, s5, v35, vcc_lo
	v_fma_f32 v4, v22, s14, -v4
	v_fmac_f32_e32 v5, s15, v22
	s_waitcnt vmcnt(0) lgkmcnt(0)
	v_mul_f32_e32 v22, s3, v3
	v_mul_f32_e32 v23, s2, v3
	v_fma_f32 v22, v2, s2, -v22
	v_fmac_f32_e32 v23, s3, v2
	v_add_co_u32 v2, vcc_lo, v24, v0
	v_add_co_ci_u32_e64 v3, null, v27, v1, vcc_lo
	v_add_f32_e32 v4, v4, v22
	v_add_f32_e32 v5, v5, v23
	v_mul_f32_e32 v22, s15, v21
	v_mul_f32_e32 v21, s14, v21
	flat_store_dwordx2 v[2:3], v[4:5]
	flat_load_dwordx2 v[4:5], v[6:7] offset:128
	v_fma_f32 v22, v20, s14, -v22
	v_fmac_f32_e32 v21, s15, v20
	s_waitcnt vmcnt(0) lgkmcnt(0)
	v_mul_f32_e32 v23, s3, v5
	v_mul_f32_e32 v5, s2, v5
	v_fma_f32 v20, v4, s2, -v23
	v_fmac_f32_e32 v5, s3, v4
	v_add_f32_e32 v4, v22, v20
	v_add_f32_e32 v5, v21, v5
	v_mul_f32_e32 v20, s15, v19
	v_mul_f32_e32 v19, s14, v19
	flat_store_dwordx2 v[2:3], v[4:5] offset:128
	flat_load_dwordx2 v[4:5], v[6:7] offset:256
	v_fma_f32 v20, v18, s14, -v20
	v_fmac_f32_e32 v19, s15, v18
	s_waitcnt vmcnt(0) lgkmcnt(0)
	v_mul_f32_e32 v21, s3, v5
	v_mul_f32_e32 v5, s2, v5
	v_fma_f32 v18, v4, s2, -v21
	v_fmac_f32_e32 v5, s3, v4
	v_add_f32_e32 v4, v20, v18
	v_add_f32_e32 v5, v19, v5
	flat_store_dwordx2 v[2:3], v[4:5] offset:256
	flat_load_dwordx2 v[4:5], v[6:7] offset:384
	v_mul_f32_e32 v6, s15, v17
	v_mul_f32_e32 v7, s14, v17
	v_fma_f32 v6, v16, s14, -v6
	v_fmac_f32_e32 v7, s15, v16
	s_waitcnt vmcnt(0) lgkmcnt(0)
	v_mul_f32_e32 v17, s3, v5
	v_mul_f32_e32 v5, s2, v5
	v_fma_f32 v16, v4, s2, -v17
	v_add_co_u32 v17, vcc_lo, v25, s0
	v_fmac_f32_e32 v5, s3, v4
	v_add_co_ci_u32_e64 v18, null, s1, v26, vcc_lo
	v_add_f32_e32 v4, v6, v16
	v_add_co_u32 v6, vcc_lo, v17, v0
	v_add_f32_e32 v5, v7, v5
	v_add_co_ci_u32_e64 v7, null, v18, v1, vcc_lo
	flat_store_dwordx2 v[2:3], v[4:5] offset:384
	flat_load_dwordx2 v[2:3], v[6:7]
	v_mul_f32_e32 v4, s15, v15
	v_mul_f32_e32 v5, s14, v15
	v_add_co_u32 v15, vcc_lo, v24, s4
	v_add_co_ci_u32_e64 v16, null, s5, v27, vcc_lo
	v_fma_f32 v4, v14, s14, -v4
	v_fmac_f32_e32 v5, s15, v14
	v_add_co_u32 v0, vcc_lo, v15, v0
	v_add_co_ci_u32_e64 v1, null, v16, v1, vcc_lo
	s_waitcnt vmcnt(0) lgkmcnt(0)
	v_mul_f32_e32 v14, s3, v3
	v_mul_f32_e32 v3, s2, v3
	v_fma_f32 v14, v2, s2, -v14
	v_fmac_f32_e32 v3, s3, v2
	v_add_f32_e32 v2, v4, v14
	v_add_f32_e32 v3, v5, v3
	v_mul_f32_e32 v4, s15, v13
	v_mul_f32_e32 v5, s14, v13
	flat_store_dwordx2 v[0:1], v[2:3]
	flat_load_dwordx2 v[2:3], v[6:7] offset:128
	v_fma_f32 v4, v12, s14, -v4
	v_fmac_f32_e32 v5, s15, v12
	s_waitcnt vmcnt(0) lgkmcnt(0)
	v_mul_f32_e32 v13, s3, v3
	v_mul_f32_e32 v3, s2, v3
	v_fma_f32 v12, v2, s2, -v13
	v_fmac_f32_e32 v3, s3, v2
	v_add_f32_e32 v2, v4, v12
	v_add_f32_e32 v3, v5, v3
	v_mul_f32_e32 v4, s15, v11
	v_mul_f32_e32 v5, s14, v11
	flat_store_dwordx2 v[0:1], v[2:3] offset:128
	flat_load_dwordx2 v[2:3], v[6:7] offset:256
	v_fma_f32 v4, v10, s14, -v4
	v_fmac_f32_e32 v5, s15, v10
	s_waitcnt vmcnt(0) lgkmcnt(0)
	v_mul_f32_e32 v11, s3, v3
	v_mul_f32_e32 v3, s2, v3
	v_fma_f32 v10, v2, s2, -v11
	v_fmac_f32_e32 v3, s3, v2
	v_add_f32_e32 v2, v4, v10
	v_add_f32_e32 v3, v5, v3
	v_mul_f32_e32 v4, s15, v8
	v_mul_f32_e32 v5, s14, v8
	flat_store_dwordx2 v[0:1], v[2:3] offset:256
	flat_load_dwordx2 v[2:3], v[6:7] offset:384
	v_fma_f32 v4, v9, s14, -v4
	v_fmac_f32_e32 v5, s15, v9
	s_waitcnt vmcnt(0) lgkmcnt(0)
	v_mul_f32_e32 v6, s3, v3
	v_mul_f32_e32 v3, s2, v3
	v_fma_f32 v6, v2, s2, -v6
	v_fmac_f32_e32 v3, s3, v2
	v_add_co_u32 v2, vcc_lo, 0x180, v0
	v_add_f32_e32 v4, v4, v6
	v_add_f32_e32 v6, v5, v3
	v_add_co_ci_u32_e64 v3, null, 0, v1, vcc_lo
	flat_store_dword v[0:1], v4 offset:384
.LBB235_7:
	flat_store_dword v[2:3], v6 offset:4
	s_endpgm
	.section	.rodata,"a",@progbits
	.p2align	6, 0x0
	.amdhsa_kernel _ZN12_GLOBAL__N_127rocblas_gemm_batched_kernelI19rocblas_complex_numIfELi16ELi16ELi64ELi64ELi4ELi64ELi4ELi4ELi64ELc84ELc78EKPKS2_S5_KPS2_EEvlllT_PT11_llSA_llS8_PT12_llPT13_lli
		.amdhsa_group_segment_fixed_size 4096
		.amdhsa_private_segment_fixed_size 0
		.amdhsa_kernarg_size 140
		.amdhsa_user_sgpr_count 6
		.amdhsa_user_sgpr_private_segment_buffer 1
		.amdhsa_user_sgpr_dispatch_ptr 0
		.amdhsa_user_sgpr_queue_ptr 0
		.amdhsa_user_sgpr_kernarg_segment_ptr 1
		.amdhsa_user_sgpr_dispatch_id 0
		.amdhsa_user_sgpr_flat_scratch_init 0
		.amdhsa_user_sgpr_private_segment_size 0
		.amdhsa_wavefront_size32 1
		.amdhsa_uses_dynamic_stack 0
		.amdhsa_system_sgpr_private_segment_wavefront_offset 0
		.amdhsa_system_sgpr_workgroup_id_x 1
		.amdhsa_system_sgpr_workgroup_id_y 1
		.amdhsa_system_sgpr_workgroup_id_z 1
		.amdhsa_system_sgpr_workgroup_info 0
		.amdhsa_system_vgpr_workitem_id 1
		.amdhsa_next_free_vgpr 188
		.amdhsa_next_free_sgpr 44
		.amdhsa_reserve_vcc 1
		.amdhsa_reserve_flat_scratch 0
		.amdhsa_float_round_mode_32 0
		.amdhsa_float_round_mode_16_64 0
		.amdhsa_float_denorm_mode_32 3
		.amdhsa_float_denorm_mode_16_64 3
		.amdhsa_dx10_clamp 1
		.amdhsa_ieee_mode 1
		.amdhsa_fp16_overflow 0
		.amdhsa_workgroup_processor_mode 1
		.amdhsa_memory_ordered 1
		.amdhsa_forward_progress 1
		.amdhsa_shared_vgpr_count 0
		.amdhsa_exception_fp_ieee_invalid_op 0
		.amdhsa_exception_fp_denorm_src 0
		.amdhsa_exception_fp_ieee_div_zero 0
		.amdhsa_exception_fp_ieee_overflow 0
		.amdhsa_exception_fp_ieee_underflow 0
		.amdhsa_exception_fp_ieee_inexact 0
		.amdhsa_exception_int_div_zero 0
	.end_amdhsa_kernel
	.section	.text._ZN12_GLOBAL__N_127rocblas_gemm_batched_kernelI19rocblas_complex_numIfELi16ELi16ELi64ELi64ELi4ELi64ELi4ELi4ELi64ELc84ELc78EKPKS2_S5_KPS2_EEvlllT_PT11_llSA_llS8_PT12_llPT13_lli,"axG",@progbits,_ZN12_GLOBAL__N_127rocblas_gemm_batched_kernelI19rocblas_complex_numIfELi16ELi16ELi64ELi64ELi4ELi64ELi4ELi4ELi64ELc84ELc78EKPKS2_S5_KPS2_EEvlllT_PT11_llSA_llS8_PT12_llPT13_lli,comdat
.Lfunc_end235:
	.size	_ZN12_GLOBAL__N_127rocblas_gemm_batched_kernelI19rocblas_complex_numIfELi16ELi16ELi64ELi64ELi4ELi64ELi4ELi4ELi64ELc84ELc78EKPKS2_S5_KPS2_EEvlllT_PT11_llSA_llS8_PT12_llPT13_lli, .Lfunc_end235-_ZN12_GLOBAL__N_127rocblas_gemm_batched_kernelI19rocblas_complex_numIfELi16ELi16ELi64ELi64ELi4ELi64ELi4ELi4ELi64ELc84ELc78EKPKS2_S5_KPS2_EEvlllT_PT11_llSA_llS8_PT12_llPT13_lli
                                        ; -- End function
	.set _ZN12_GLOBAL__N_127rocblas_gemm_batched_kernelI19rocblas_complex_numIfELi16ELi16ELi64ELi64ELi4ELi64ELi4ELi4ELi64ELc84ELc78EKPKS2_S5_KPS2_EEvlllT_PT11_llSA_llS8_PT12_llPT13_lli.num_vgpr, 188
	.set _ZN12_GLOBAL__N_127rocblas_gemm_batched_kernelI19rocblas_complex_numIfELi16ELi16ELi64ELi64ELi4ELi64ELi4ELi4ELi64ELc84ELc78EKPKS2_S5_KPS2_EEvlllT_PT11_llSA_llS8_PT12_llPT13_lli.num_agpr, 0
	.set _ZN12_GLOBAL__N_127rocblas_gemm_batched_kernelI19rocblas_complex_numIfELi16ELi16ELi64ELi64ELi4ELi64ELi4ELi4ELi64ELc84ELc78EKPKS2_S5_KPS2_EEvlllT_PT11_llSA_llS8_PT12_llPT13_lli.numbered_sgpr, 44
	.set _ZN12_GLOBAL__N_127rocblas_gemm_batched_kernelI19rocblas_complex_numIfELi16ELi16ELi64ELi64ELi4ELi64ELi4ELi4ELi64ELc84ELc78EKPKS2_S5_KPS2_EEvlllT_PT11_llSA_llS8_PT12_llPT13_lli.num_named_barrier, 0
	.set _ZN12_GLOBAL__N_127rocblas_gemm_batched_kernelI19rocblas_complex_numIfELi16ELi16ELi64ELi64ELi4ELi64ELi4ELi4ELi64ELc84ELc78EKPKS2_S5_KPS2_EEvlllT_PT11_llSA_llS8_PT12_llPT13_lli.private_seg_size, 0
	.set _ZN12_GLOBAL__N_127rocblas_gemm_batched_kernelI19rocblas_complex_numIfELi16ELi16ELi64ELi64ELi4ELi64ELi4ELi4ELi64ELc84ELc78EKPKS2_S5_KPS2_EEvlllT_PT11_llSA_llS8_PT12_llPT13_lli.uses_vcc, 1
	.set _ZN12_GLOBAL__N_127rocblas_gemm_batched_kernelI19rocblas_complex_numIfELi16ELi16ELi64ELi64ELi4ELi64ELi4ELi4ELi64ELc84ELc78EKPKS2_S5_KPS2_EEvlllT_PT11_llSA_llS8_PT12_llPT13_lli.uses_flat_scratch, 0
	.set _ZN12_GLOBAL__N_127rocblas_gemm_batched_kernelI19rocblas_complex_numIfELi16ELi16ELi64ELi64ELi4ELi64ELi4ELi4ELi64ELc84ELc78EKPKS2_S5_KPS2_EEvlllT_PT11_llSA_llS8_PT12_llPT13_lli.has_dyn_sized_stack, 0
	.set _ZN12_GLOBAL__N_127rocblas_gemm_batched_kernelI19rocblas_complex_numIfELi16ELi16ELi64ELi64ELi4ELi64ELi4ELi4ELi64ELc84ELc78EKPKS2_S5_KPS2_EEvlllT_PT11_llSA_llS8_PT12_llPT13_lli.has_recursion, 0
	.set _ZN12_GLOBAL__N_127rocblas_gemm_batched_kernelI19rocblas_complex_numIfELi16ELi16ELi64ELi64ELi4ELi64ELi4ELi4ELi64ELc84ELc78EKPKS2_S5_KPS2_EEvlllT_PT11_llSA_llS8_PT12_llPT13_lli.has_indirect_call, 0
	.section	.AMDGPU.csdata,"",@progbits
; Kernel info:
; codeLenInByte = 4968
; TotalNumSgprs: 46
; NumVgprs: 188
; ScratchSize: 0
; MemoryBound: 0
; FloatMode: 240
; IeeeMode: 1
; LDSByteSize: 4096 bytes/workgroup (compile time only)
; SGPRBlocks: 0
; VGPRBlocks: 23
; NumSGPRsForWavesPerEU: 46
; NumVGPRsForWavesPerEU: 188
; Occupancy: 5
; WaveLimiterHint : 1
; COMPUTE_PGM_RSRC2:SCRATCH_EN: 0
; COMPUTE_PGM_RSRC2:USER_SGPR: 6
; COMPUTE_PGM_RSRC2:TRAP_HANDLER: 0
; COMPUTE_PGM_RSRC2:TGID_X_EN: 1
; COMPUTE_PGM_RSRC2:TGID_Y_EN: 1
; COMPUTE_PGM_RSRC2:TGID_Z_EN: 1
; COMPUTE_PGM_RSRC2:TIDIG_COMP_CNT: 1
	.section	.text._ZN12_GLOBAL__N_127rocblas_gemm_batched_kernelI19rocblas_complex_numIfELi16ELi16ELi64ELi64ELi4ELi64ELi4ELi4ELi64ELc78ELc84EKPKS2_S5_KPS2_EEvlllT_PT11_llSA_llS8_PT12_llPT13_lli,"axG",@progbits,_ZN12_GLOBAL__N_127rocblas_gemm_batched_kernelI19rocblas_complex_numIfELi16ELi16ELi64ELi64ELi4ELi64ELi4ELi4ELi64ELc78ELc84EKPKS2_S5_KPS2_EEvlllT_PT11_llSA_llS8_PT12_llPT13_lli,comdat
	.globl	_ZN12_GLOBAL__N_127rocblas_gemm_batched_kernelI19rocblas_complex_numIfELi16ELi16ELi64ELi64ELi4ELi64ELi4ELi4ELi64ELc78ELc84EKPKS2_S5_KPS2_EEvlllT_PT11_llSA_llS8_PT12_llPT13_lli ; -- Begin function _ZN12_GLOBAL__N_127rocblas_gemm_batched_kernelI19rocblas_complex_numIfELi16ELi16ELi64ELi64ELi4ELi64ELi4ELi4ELi64ELc78ELc84EKPKS2_S5_KPS2_EEvlllT_PT11_llSA_llS8_PT12_llPT13_lli
	.p2align	8
	.type	_ZN12_GLOBAL__N_127rocblas_gemm_batched_kernelI19rocblas_complex_numIfELi16ELi16ELi64ELi64ELi4ELi64ELi4ELi4ELi64ELc78ELc84EKPKS2_S5_KPS2_EEvlllT_PT11_llSA_llS8_PT12_llPT13_lli,@function
_ZN12_GLOBAL__N_127rocblas_gemm_batched_kernelI19rocblas_complex_numIfELi16ELi16ELi64ELi64ELi4ELi64ELi4ELi4ELi64ELc78ELc84EKPKS2_S5_KPS2_EEvlllT_PT11_llSA_llS8_PT12_llPT13_lli: ; @_ZN12_GLOBAL__N_127rocblas_gemm_batched_kernelI19rocblas_complex_numIfELi16ELi16ELi64ELi64ELi4ELi64ELi4ELi4ELi64ELc78ELc84EKPKS2_S5_KPS2_EEvlllT_PT11_llSA_llS8_PT12_llPT13_lli
; %bb.0:
	s_clause 0x1
	s_load_dwordx8 s[36:43], s[4:5], 0x58
	s_load_dwordx16 s[12:27], s[4:5], 0x10
	s_mov_b32 s9, 0
	s_clause 0x1
	s_load_dwordx4 s[28:31], s[4:5], 0x78
	s_load_dwordx2 s[2:3], s[4:5], 0x50
	s_lshl_b64 s[0:1], s[8:9], 3
	s_mov_b32 s10, s7
	v_mov_b32_e32 v38, 0
	v_mov_b32_e32 v39, 0
	;; [unrolled: 1-line block ×13, first 2 shown]
	s_waitcnt lgkmcnt(0)
	s_add_u32 s4, s36, s0
	s_addc_u32 s5, s37, s1
	s_add_u32 s8, s42, s0
	s_addc_u32 s9, s43, s1
	s_load_dwordx2 s[4:5], s[4:5], 0x0
	s_load_dwordx2 s[8:9], s[8:9], 0x0
	v_cmp_lt_i64_e64 s33, s[12:13], 1
	v_mov_b32_e32 v27, 0
	v_mov_b32_e32 v24, 0
	;; [unrolled: 1-line block ×19, first 2 shown]
	s_ashr_i32 s7, s6, 31
	s_ashr_i32 s11, s10, 31
	s_lshl_b64 s[6:7], s[6:7], 6
	s_and_b32 vcc_lo, exec_lo, s33
	s_lshl_b64 s[10:11], s[10:11], 6
	s_cbranch_vccnz .LBB236_3
; %bb.1:
	v_lshl_add_u32 v9, v1, 4, v0
	v_and_b32_e32 v12, 3, v0
	s_add_u32 s16, s16, s0
	s_addc_u32 s17, s17, s1
	s_add_u32 s0, s22, s0
	v_lshrrev_b32_e32 v11, 2, v9
	v_lshrrev_b32_e32 v13, 6, v9
	s_addc_u32 s1, s23, s1
	s_load_dwordx2 s[16:17], s[16:17], 0x0
	s_load_dwordx2 s[0:1], s[0:1], 0x0
	s_lshl_b64 s[20:21], s[20:21], 3
	v_add_co_u32 v2, s33, v11, s10
	v_add_co_ci_u32_e64 v3, null, 0, s11, s33
	v_mad_u64_u32 v[4:5], null, s18, v13, s[6:7]
	v_lshlrev_b32_e32 v14, 3, v12
	v_mad_u64_u32 v[6:7], null, s24, v12, v[2:3]
	v_mov_b32_e32 v8, 0
	v_lshlrev_b32_e32 v40, 3, v0
	v_lshl_add_u32 v43, v1, 5, 0x800
	v_mov_b32_e32 v2, v5
	v_and_b32_e32 v5, 63, v9
	v_mov_b32_e32 v15, 0
	v_mov_b32_e32 v3, v7
	;; [unrolled: 1-line block ×3, first 2 shown]
	s_waitcnt lgkmcnt(0)
	s_add_u32 s16, s16, s20
	v_lshlrev_b32_e32 v7, 3, v5
	s_addc_u32 s17, s17, s21
	v_mad_u64_u32 v[9:10], null, s19, v13, v[2:3]
	v_mad_u64_u32 v[2:3], null, s25, v12, v[3:4]
	v_add_co_u32 v3, vcc_lo, v4, v5
	v_lshl_or_b32 v41, v13, 9, v7
	s_lshl_b64 s[20:21], s[26:27], 3
	v_add_co_ci_u32_e64 v4, null, 0, v9, vcc_lo
	v_mov_b32_e32 v7, v2
	v_lshl_or_b32 v10, v11, 5, v14
	v_mov_b32_e32 v9, 0
	v_lshlrev_b64 v[2:3], 3, v[3:4]
	v_mov_b32_e32 v11, 0
	v_lshlrev_b64 v[4:5], 3, v[6:7]
	v_add_nc_u32_e32 v42, 0x800, v10
	v_mov_b32_e32 v10, 0
	v_mov_b32_e32 v13, 0
	v_add_co_u32 v2, vcc_lo, s16, v2
	v_add_co_ci_u32_e64 v3, null, s17, v3, vcc_lo
	s_lshl_b64 s[16:17], s[18:19], 5
	s_add_u32 s0, s0, s20
	s_addc_u32 s1, s1, s21
	v_add_co_u32 v4, vcc_lo, s0, v4
	v_add_co_ci_u32_e64 v5, null, s1, v5, vcc_lo
	v_mov_b32_e32 v12, 0
	v_mov_b32_e32 v14, 0
	;; [unrolled: 1-line block ×25, first 2 shown]
	s_lshl_b64 s[18:19], s[24:25], 5
	s_mov_b64 s[20:21], 0
.LBB236_2:                              ; =>This Inner Loop Header: Depth=1
	flat_load_dwordx2 v[6:7], v[2:3]
	s_add_u32 s20, s20, 4
	s_addc_u32 s21, s21, 0
	v_add_co_u32 v2, vcc_lo, v2, s16
	v_cmp_lt_i64_e64 s0, s[20:21], s[12:13]
	v_add_co_ci_u32_e64 v3, null, s17, v3, vcc_lo
	s_and_b32 vcc_lo, exec_lo, s0
	s_waitcnt vmcnt(0) lgkmcnt(0)
	ds_write_b64 v41, v[6:7]
	flat_load_dwordx2 v[6:7], v[4:5]
	v_add_co_u32 v4, s0, v4, s18
	v_add_co_ci_u32_e64 v5, null, s19, v5, s0
	s_waitcnt vmcnt(0) lgkmcnt(0)
	ds_write_b64 v42, v[6:7]
	s_waitcnt lgkmcnt(0)
	s_barrier
	buffer_gl0_inv
	ds_read_b128 v[44:47], v43
	ds_read2_b64 v[48:51], v40 offset1:16
	ds_read_b128 v[52:55], v43 offset:512
	ds_read_b128 v[56:59], v43 offset:16
	ds_read_b128 v[60:63], v43 offset:528
	ds_read_b128 v[64:67], v43 offset:1024
	ds_read_b128 v[68:71], v43 offset:1040
	ds_read_b128 v[72:75], v43 offset:1536
	ds_read_b128 v[76:79], v43 offset:1552
	ds_read2_b64 v[80:83], v40 offset0:32 offset1:48
	ds_read2_b64 v[84:87], v40 offset0:64 offset1:80
	;; [unrolled: 1-line block ×7, first 2 shown]
	s_waitcnt lgkmcnt(0)
	s_barrier
	buffer_gl0_inv
	v_mul_f32_e32 v6, v45, v49
	v_mul_f32_e32 v7, v44, v49
	;; [unrolled: 1-line block ×64, first 2 shown]
	v_fma_f32 v6, v44, v48, -v6
	v_fmac_f32_e32 v7, v45, v48
	v_fma_f32 v108, v44, v50, -v108
	v_fmac_f32_e32 v109, v45, v50
	;; [unrolled: 2-line block ×16, first 2 shown]
	v_mul_f32_e32 v162, v57, v93
	v_mul_f32_e32 v163, v56, v93
	;; [unrolled: 1-line block ×28, first 2 shown]
	v_fma_f32 v124, v46, v84, -v134
	v_fmac_f32_e32 v135, v47, v84
	v_fma_f32 v126, v46, v86, -v136
	v_fmac_f32_e32 v137, v47, v86
	;; [unrolled: 2-line block ×4, first 2 shown]
	v_mul_f32_e32 v47, v77, v97
	v_mul_f32_e32 v97, v76, v97
	v_mul_f32_e32 v130, v77, v99
	v_mul_f32_e32 v99, v76, v99
	v_fma_f32 v132, v54, v84, -v142
	v_fmac_f32_e32 v143, v55, v84
	v_fma_f32 v133, v54, v86, -v144
	v_fmac_f32_e32 v145, v55, v86
	;; [unrolled: 2-line block ×4, first 2 shown]
	v_mul_f32_e32 v136, v58, v101
	v_mul_f32_e32 v140, v58, v103
	v_fma_f32 v142, v66, v84, -v150
	v_fmac_f32_e32 v151, v67, v84
	v_fma_f32 v144, v66, v86, -v152
	v_fmac_f32_e32 v153, v67, v86
	;; [unrolled: 2-line block ×4, first 2 shown]
	v_mul_f32_e32 v148, v58, v105
	v_mul_f32_e32 v152, v58, v107
	v_fma_f32 v154, v74, v84, -v158
	v_fmac_f32_e32 v85, v75, v84
	v_fma_f32 v84, v74, v86, -v159
	v_fmac_f32_e32 v87, v75, v86
	;; [unrolled: 2-line block ×4, first 2 shown]
	v_add_f32_e32 v6, v38, v6
	v_add_f32_e32 v7, v39, v7
	;; [unrolled: 1-line block ×32, first 2 shown]
	v_mul_f32_e32 v55, v59, v101
	v_mul_f32_e32 v138, v59, v103
	;; [unrolled: 1-line block ×16, first 2 shown]
	v_fma_f32 v162, v56, v92, -v162
	v_fmac_f32_e32 v163, v57, v92
	v_fma_f32 v164, v56, v94, -v164
	v_fmac_f32_e32 v165, v57, v94
	;; [unrolled: 2-line block ×8, first 2 shown]
	v_mul_f32_e32 v94, v71, v105
	v_mul_f32_e32 v175, v70, v105
	;; [unrolled: 1-line block ×4, first 2 shown]
	v_fma_f32 v176, v56, v96, -v176
	v_fmac_f32_e32 v177, v57, v96
	v_fma_f32 v56, v56, v98, -v178
	v_fmac_f32_e32 v179, v57, v98
	;; [unrolled: 2-line block ×8, first 2 shown]
	v_mul_f32_e32 v69, v79, v101
	v_mul_f32_e32 v73, v78, v101
	;; [unrolled: 1-line block ×4, first 2 shown]
	v_fmac_f32_e32 v136, v59, v100
	v_fmac_f32_e32 v140, v59, v102
	;; [unrolled: 1-line block ×4, first 2 shown]
	v_mul_f32_e32 v59, v79, v105
	v_mul_f32_e32 v96, v78, v105
	;; [unrolled: 1-line block ×4, first 2 shown]
	v_add_f32_e32 v6, v6, v124
	v_add_f32_e32 v7, v7, v135
	v_add_f32_e32 v36, v36, v126
	v_add_f32_e32 v37, v37, v137
	v_add_f32_e32 v34, v34, v128
	v_add_f32_e32 v35, v35, v139
	v_add_f32_e32 v32, v32, v46
	v_add_f32_e32 v33, v33, v141
	v_add_f32_e32 v30, v30, v132
	v_add_f32_e32 v31, v31, v143
	v_add_f32_e32 v28, v28, v133
	v_add_f32_e32 v29, v29, v145
	v_add_f32_e32 v26, v26, v134
	v_add_f32_e32 v27, v27, v147
	v_add_f32_e32 v24, v24, v54
	v_add_f32_e32 v25, v25, v149
	v_add_f32_e32 v22, v22, v142
	v_add_f32_e32 v23, v23, v151
	v_add_f32_e32 v20, v20, v144
	v_add_f32_e32 v21, v21, v153
	v_add_f32_e32 v18, v18, v146
	v_add_f32_e32 v19, v19, v155
	v_add_f32_e32 v16, v16, v66
	v_add_f32_e32 v17, v17, v157
	v_add_f32_e32 v14, v14, v154
	v_add_f32_e32 v15, v15, v85
	v_add_f32_e32 v12, v12, v84
	v_add_f32_e32 v13, v13, v87
	v_add_f32_e32 v10, v10, v160
	v_add_f32_e32 v11, v11, v89
	v_add_f32_e32 v9, v9, v74
	v_add_f32_e32 v8, v8, v91
	v_fma_f32 v55, v58, v100, -v55
	v_fma_f32 v82, v58, v102, -v138
	;; [unrolled: 1-line block ×5, first 2 shown]
	v_fmac_f32_e32 v156, v63, v100
	v_fma_f32 v103, v62, v102, -v158
	v_fmac_f32_e32 v159, v63, v102
	v_fma_f32 v75, v62, v104, -v75
	;; [unrolled: 2-line block ×11, first 2 shown]
	v_fmac_f32_e32 v101, v79, v106
	v_add_f32_e32 v6, v6, v162
	v_add_f32_e32 v7, v7, v163
	v_add_f32_e32 v36, v36, v164
	v_add_f32_e32 v37, v37, v165
	v_add_f32_e32 v34, v34, v176
	v_add_f32_e32 v35, v35, v177
	v_add_f32_e32 v32, v32, v56
	v_add_f32_e32 v33, v33, v179
	v_add_f32_e32 v30, v30, v166
	v_add_f32_e32 v31, v31, v167
	v_add_f32_e32 v28, v28, v168
	v_add_f32_e32 v29, v29, v169
	v_add_f32_e32 v26, v26, v50
	v_add_f32_e32 v27, v27, v119
	v_add_f32_e32 v24, v24, v57
	v_add_f32_e32 v25, v25, v181
	v_add_f32_e32 v22, v22, v170
	v_add_f32_e32 v23, v23, v171
	v_add_f32_e32 v20, v20, v172
	v_add_f32_e32 v21, v21, v173
	v_add_f32_e32 v18, v18, v60
	v_add_f32_e32 v19, v19, v80
	v_add_f32_e32 v16, v16, v61
	v_add_f32_e32 v17, v17, v122
	v_add_f32_e32 v14, v14, v174
	v_add_f32_e32 v15, v15, v93
	v_add_f32_e32 v12, v12, v92
	v_add_f32_e32 v13, v13, v95
	v_add_f32_e32 v10, v10, v47
	v_add_f32_e32 v11, v11, v97
	v_add_f32_e32 v9, v9, v68
	v_add_f32_e32 v8, v8, v99
	v_add_f32_e32 v38, v6, v55
	v_add_f32_e32 v39, v7, v136
	v_add_f32_e32 v36, v36, v82
	v_add_f32_e32 v37, v37, v140
	v_add_f32_e32 v34, v34, v67
	v_add_f32_e32 v35, v35, v148
	v_add_f32_e32 v32, v32, v58
	v_add_f32_e32 v33, v33, v152
	v_add_f32_e32 v30, v30, v86
	v_add_f32_e32 v31, v31, v156
	v_add_f32_e32 v28, v28, v103
	v_add_f32_e32 v29, v29, v159
	v_add_f32_e32 v26, v26, v75
	v_add_f32_e32 v27, v27, v88
	v_add_f32_e32 v24, v24, v62
	v_add_f32_e32 v25, v25, v161
	v_add_f32_e32 v22, v22, v63
	v_add_f32_e32 v23, v23, v183
	v_add_f32_e32 v20, v20, v90
	v_add_f32_e32 v21, v21, v185
	v_add_f32_e32 v18, v18, v94
	v_add_f32_e32 v19, v19, v175
	v_add_f32_e32 v16, v16, v70
	v_add_f32_e32 v17, v17, v187
	v_add_f32_e32 v14, v14, v69
	v_add_f32_e32 v15, v15, v73
	v_add_f32_e32 v12, v12, v71
	v_add_f32_e32 v13, v13, v77
	v_add_f32_e32 v10, v10, v59
	v_add_f32_e32 v11, v11, v96
	v_add_f32_e32 v9, v9, v76
	v_add_f32_e32 v8, v8, v101
	s_cbranch_vccnz .LBB236_2
.LBB236_3:
	s_lshl_b64 s[0:1], s[30:31], 3
	s_waitcnt lgkmcnt(0)
	s_add_u32 s8, s8, s0
	s_addc_u32 s9, s9, s1
	v_add_co_u32 v4, s1, s10, v1
	v_add_co_ci_u32_e64 v5, null, s11, 0, s1
	v_add_co_u32 v0, s1, s6, v0
	s_or_b32 s0, s2, s3
	v_add_co_ci_u32_e64 v1, null, s7, 0, s1
	s_bitset0_b32 s0, 31
	s_mov_b32 s6, 0
	s_cmp_lg_u32 s0, 0
	s_cbranch_scc1 .LBB236_5
; %bb.4:
	v_mul_lo_u32 v6, v5, s28
	v_mul_lo_u32 v40, v4, s29
	v_mad_u64_u32 v[2:3], null, v4, s28, 0
	v_mul_f32_e32 v42, s15, v39
	v_mul_f32_e32 v7, s14, v39
	;; [unrolled: 1-line block ×6, first 2 shown]
	v_add3_u32 v3, v3, v40, v6
	v_lshlrev_b64 v[40:41], 3, v[0:1]
	v_mul_f32_e32 v48, s15, v33
	v_mul_f32_e32 v47, s14, v33
	v_fma_f32 v6, v38, s14, -v42
	v_lshlrev_b64 v[2:3], 3, v[2:3]
	v_fmac_f32_e32 v7, s15, v38
	v_fma_f32 v42, v36, s14, -v44
	v_fmac_f32_e32 v43, s15, v36
	s_lshl_b64 s[0:1], s[28:29], 7
	v_fma_f32 v44, v34, s14, -v46
	v_add_co_u32 v49, vcc_lo, s8, v2
	v_add_co_ci_u32_e64 v50, null, s9, v3, vcc_lo
	v_fmac_f32_e32 v45, s15, v34
	v_add_co_u32 v2, vcc_lo, v49, v40
	v_add_co_ci_u32_e64 v3, null, v50, v41, vcc_lo
	v_fma_f32 v46, v32, s14, -v48
	v_fmac_f32_e32 v47, s15, v32
	v_add_co_u32 v48, vcc_lo, v49, s0
	flat_store_dwordx2 v[2:3], v[6:7]
	flat_store_dwordx2 v[2:3], v[42:43] offset:128
	flat_store_dwordx2 v[2:3], v[44:45] offset:256
	;; [unrolled: 1-line block ×3, first 2 shown]
	v_mul_f32_e32 v2, s15, v31
	v_mul_f32_e32 v3, s14, v31
	v_add_co_ci_u32_e64 v49, null, s1, v50, vcc_lo
	v_mul_f32_e32 v6, s15, v29
	v_mul_f32_e32 v7, s14, v29
	;; [unrolled: 1-line block ×4, first 2 shown]
	v_add_co_u32 v44, vcc_lo, v48, v40
	v_fma_f32 v2, v30, s14, -v2
	v_fmac_f32_e32 v3, s15, v30
	v_add_co_ci_u32_e64 v45, null, v49, v41, vcc_lo
	v_fma_f32 v6, v28, s14, -v6
	v_fmac_f32_e32 v7, s15, v28
	v_fma_f32 v42, v26, s14, -v42
	v_fmac_f32_e32 v43, s15, v26
	v_add_co_u32 v52, vcc_lo, v48, s0
	v_mul_f32_e32 v46, s15, v25
	v_mul_f32_e32 v47, s14, v25
	flat_store_dwordx2 v[44:45], v[2:3]
	flat_store_dwordx2 v[44:45], v[6:7] offset:128
	flat_store_dwordx2 v[44:45], v[42:43] offset:256
	v_mul_f32_e32 v2, s15, v23
	v_mul_f32_e32 v3, s14, v23
	v_add_co_ci_u32_e64 v53, null, s1, v49, vcc_lo
	v_mul_f32_e32 v42, s15, v21
	v_mul_f32_e32 v43, s14, v21
	;; [unrolled: 1-line block ×4, first 2 shown]
	v_add_co_u32 v6, vcc_lo, v52, v40
	v_mul_f32_e32 v50, s15, v17
	v_mul_f32_e32 v51, s14, v17
	v_fma_f32 v46, v24, s14, -v46
	v_fmac_f32_e32 v47, s15, v24
	v_fma_f32 v2, v22, s14, -v2
	v_fmac_f32_e32 v3, s15, v22
	v_add_co_ci_u32_e64 v7, null, v53, v41, vcc_lo
	v_fma_f32 v42, v20, s14, -v42
	v_fmac_f32_e32 v43, s15, v20
	v_fma_f32 v48, v18, s14, -v48
	v_fmac_f32_e32 v49, s15, v18
	v_fma_f32 v50, v16, s14, -v50
	v_fmac_f32_e32 v51, s15, v16
	flat_store_dwordx2 v[44:45], v[46:47] offset:384
	flat_store_dwordx2 v[6:7], v[2:3]
	flat_store_dwordx2 v[6:7], v[42:43] offset:128
	flat_store_dwordx2 v[6:7], v[48:49] offset:256
	;; [unrolled: 1-line block ×3, first 2 shown]
	v_mul_f32_e32 v2, s15, v15
	v_add_co_u32 v3, vcc_lo, v52, s0
	v_add_co_ci_u32_e64 v6, null, s1, v53, vcc_lo
	v_fma_f32 v42, v14, s14, -v2
	v_mul_f32_e32 v2, s15, v13
	v_add_co_u32 v40, vcc_lo, v3, v40
	v_mul_f32_e32 v43, s14, v15
	v_add_co_ci_u32_e64 v41, null, v6, v41, vcc_lo
	v_fma_f32 v44, v12, s14, -v2
	v_mul_f32_e32 v2, s15, v11
	v_mul_f32_e32 v3, s15, v8
	;; [unrolled: 1-line block ×5, first 2 shown]
	v_fma_f32 v46, v10, s14, -v2
	v_add_co_u32 v2, vcc_lo, 0x180, v40
	v_fmac_f32_e32 v43, s15, v14
	v_fma_f32 v7, v9, s14, -v3
	v_fmac_f32_e32 v6, s15, v9
	v_add_co_ci_u32_e64 v3, null, 0, v41, vcc_lo
	v_fmac_f32_e32 v45, s15, v12
	v_fmac_f32_e32 v47, s15, v10
	flat_store_dwordx2 v[40:41], v[42:43]
	flat_store_dwordx2 v[40:41], v[44:45] offset:128
	flat_store_dwordx2 v[40:41], v[46:47] offset:256
	flat_store_dword v[40:41], v7 offset:384
	s_andn2_b32 vcc_lo, exec_lo, s6
	s_cbranch_vccz .LBB236_6
	s_branch .LBB236_7
.LBB236_5:
                                        ; implicit-def: $vgpr6
                                        ; implicit-def: $vgpr2_vgpr3
.LBB236_6:
	v_mul_lo_u32 v6, v5, s38
	v_mul_lo_u32 v7, v4, s39
	v_mad_u64_u32 v[2:3], null, v4, s38, 0
	s_lshl_b64 s[0:1], s[40:41], 3
	v_lshlrev_b64 v[0:1], 3, v[0:1]
	s_add_u32 s0, s4, s0
	s_addc_u32 s1, s5, s1
	v_mul_lo_u32 v42, v5, s28
	v_mul_lo_u32 v43, v4, s29
	v_add3_u32 v3, v3, v7, v6
	v_mad_u64_u32 v[4:5], null, v4, s28, 0
	s_lshl_b64 s[4:5], s[28:29], 7
	v_lshlrev_b64 v[2:3], 3, v[2:3]
	v_add3_u32 v5, v5, v43, v42
	v_mul_f32_e32 v42, s15, v39
	v_add_co_u32 v40, vcc_lo, s0, v2
	v_add_co_ci_u32_e64 v41, null, s1, v3, vcc_lo
	v_mul_f32_e32 v39, s14, v39
	v_add_co_u32 v2, vcc_lo, v40, v0
	v_add_co_ci_u32_e64 v3, null, v41, v1, vcc_lo
	v_lshlrev_b64 v[4:5], 3, v[4:5]
	v_fma_f32 v42, v38, s14, -v42
	v_fmac_f32_e32 v39, s15, v38
	flat_load_dwordx2 v[6:7], v[2:3]
	s_lshl_b64 s[0:1], s[38:39], 7
	v_add_co_u32 v43, vcc_lo, s8, v4
	v_add_co_ci_u32_e64 v44, null, s9, v5, vcc_lo
	v_add_co_u32 v4, vcc_lo, v43, v0
	v_add_co_ci_u32_e64 v5, null, v44, v1, vcc_lo
	s_waitcnt vmcnt(0) lgkmcnt(0)
	v_mul_f32_e32 v38, s3, v7
	v_mul_f32_e32 v7, s2, v7
	v_fma_f32 v38, v6, s2, -v38
	v_fmac_f32_e32 v7, s3, v6
	v_add_f32_e32 v6, v42, v38
	v_add_f32_e32 v7, v39, v7
	v_mul_f32_e32 v38, s15, v37
	v_mul_f32_e32 v37, s14, v37
	flat_store_dwordx2 v[4:5], v[6:7]
	flat_load_dwordx2 v[6:7], v[2:3] offset:128
	v_fma_f32 v38, v36, s14, -v38
	v_fmac_f32_e32 v37, s15, v36
	s_waitcnt vmcnt(0) lgkmcnt(0)
	v_mul_f32_e32 v39, s3, v7
	v_mul_f32_e32 v7, s2, v7
	v_fma_f32 v36, v6, s2, -v39
	v_fmac_f32_e32 v7, s3, v6
	v_add_f32_e32 v6, v38, v36
	v_add_f32_e32 v7, v37, v7
	v_mul_f32_e32 v36, s15, v35
	v_mul_f32_e32 v35, s14, v35
	flat_store_dwordx2 v[4:5], v[6:7] offset:128
	flat_load_dwordx2 v[6:7], v[2:3] offset:256
	v_fma_f32 v36, v34, s14, -v36
	v_fmac_f32_e32 v35, s15, v34
	s_waitcnt vmcnt(0) lgkmcnt(0)
	v_mul_f32_e32 v37, s3, v7
	v_mul_f32_e32 v7, s2, v7
	v_fma_f32 v34, v6, s2, -v37
	v_fmac_f32_e32 v7, s3, v6
	v_add_f32_e32 v6, v36, v34
	v_add_f32_e32 v7, v35, v7
	flat_store_dwordx2 v[4:5], v[6:7] offset:256
	flat_load_dwordx2 v[2:3], v[2:3] offset:384
	v_mul_f32_e32 v6, s15, v33
	v_mul_f32_e32 v7, s14, v33
	v_fma_f32 v6, v32, s14, -v6
	v_fmac_f32_e32 v7, s15, v32
	s_waitcnt vmcnt(0) lgkmcnt(0)
	v_mul_f32_e32 v33, s3, v3
	v_mul_f32_e32 v3, s2, v3
	v_fma_f32 v32, v2, s2, -v33
	v_add_co_u32 v33, vcc_lo, v40, s0
	v_fmac_f32_e32 v3, s3, v2
	v_add_co_ci_u32_e64 v34, null, s1, v41, vcc_lo
	v_add_f32_e32 v2, v6, v32
	v_add_co_u32 v6, vcc_lo, v33, v0
	v_add_f32_e32 v3, v7, v3
	v_add_co_ci_u32_e64 v7, null, v34, v1, vcc_lo
	v_add_co_u32 v32, vcc_lo, v43, s4
	flat_store_dwordx2 v[4:5], v[2:3] offset:384
	flat_load_dwordx2 v[2:3], v[6:7]
	v_mul_f32_e32 v4, s15, v31
	v_mul_f32_e32 v5, s14, v31
	v_add_co_ci_u32_e64 v35, null, s5, v44, vcc_lo
	v_fma_f32 v4, v30, s14, -v4
	v_fmac_f32_e32 v5, s15, v30
	s_waitcnt vmcnt(0) lgkmcnt(0)
	v_mul_f32_e32 v30, s3, v3
	v_mul_f32_e32 v31, s2, v3
	v_fma_f32 v30, v2, s2, -v30
	v_fmac_f32_e32 v31, s3, v2
	v_add_co_u32 v2, vcc_lo, v32, v0
	v_add_co_ci_u32_e64 v3, null, v35, v1, vcc_lo
	v_add_f32_e32 v4, v4, v30
	v_add_f32_e32 v5, v5, v31
	v_mul_f32_e32 v30, s15, v29
	v_mul_f32_e32 v29, s14, v29
	flat_store_dwordx2 v[2:3], v[4:5]
	flat_load_dwordx2 v[4:5], v[6:7] offset:128
	v_fma_f32 v30, v28, s14, -v30
	v_fmac_f32_e32 v29, s15, v28
	s_waitcnt vmcnt(0) lgkmcnt(0)
	v_mul_f32_e32 v31, s3, v5
	v_mul_f32_e32 v5, s2, v5
	v_fma_f32 v28, v4, s2, -v31
	v_fmac_f32_e32 v5, s3, v4
	v_add_f32_e32 v4, v30, v28
	v_add_f32_e32 v5, v29, v5
	v_mul_f32_e32 v28, s15, v27
	v_mul_f32_e32 v27, s14, v27
	flat_store_dwordx2 v[2:3], v[4:5] offset:128
	flat_load_dwordx2 v[4:5], v[6:7] offset:256
	v_fma_f32 v28, v26, s14, -v28
	v_fmac_f32_e32 v27, s15, v26
	s_waitcnt vmcnt(0) lgkmcnt(0)
	v_mul_f32_e32 v29, s3, v5
	v_mul_f32_e32 v5, s2, v5
	v_fma_f32 v26, v4, s2, -v29
	v_fmac_f32_e32 v5, s3, v4
	v_add_f32_e32 v4, v28, v26
	v_add_f32_e32 v5, v27, v5
	flat_store_dwordx2 v[2:3], v[4:5] offset:256
	flat_load_dwordx2 v[4:5], v[6:7] offset:384
	v_mul_f32_e32 v6, s15, v25
	v_mul_f32_e32 v7, s14, v25
	v_fma_f32 v6, v24, s14, -v6
	v_fmac_f32_e32 v7, s15, v24
	s_waitcnt vmcnt(0) lgkmcnt(0)
	v_mul_f32_e32 v25, s3, v5
	v_mul_f32_e32 v5, s2, v5
	v_fma_f32 v24, v4, s2, -v25
	v_add_co_u32 v25, vcc_lo, v33, s0
	v_fmac_f32_e32 v5, s3, v4
	v_add_co_ci_u32_e64 v26, null, s1, v34, vcc_lo
	v_add_f32_e32 v4, v6, v24
	v_add_co_u32 v6, vcc_lo, v25, v0
	v_add_f32_e32 v5, v7, v5
	v_add_co_ci_u32_e64 v7, null, v26, v1, vcc_lo
	v_add_co_u32 v24, vcc_lo, v32, s4
	flat_store_dwordx2 v[2:3], v[4:5] offset:384
	flat_load_dwordx2 v[2:3], v[6:7]
	v_mul_f32_e32 v4, s15, v23
	v_mul_f32_e32 v5, s14, v23
	v_add_co_ci_u32_e64 v27, null, s5, v35, vcc_lo
	v_fma_f32 v4, v22, s14, -v4
	v_fmac_f32_e32 v5, s15, v22
	s_waitcnt vmcnt(0) lgkmcnt(0)
	v_mul_f32_e32 v22, s3, v3
	v_mul_f32_e32 v23, s2, v3
	v_fma_f32 v22, v2, s2, -v22
	v_fmac_f32_e32 v23, s3, v2
	v_add_co_u32 v2, vcc_lo, v24, v0
	v_add_co_ci_u32_e64 v3, null, v27, v1, vcc_lo
	v_add_f32_e32 v4, v4, v22
	v_add_f32_e32 v5, v5, v23
	v_mul_f32_e32 v22, s15, v21
	v_mul_f32_e32 v21, s14, v21
	flat_store_dwordx2 v[2:3], v[4:5]
	flat_load_dwordx2 v[4:5], v[6:7] offset:128
	v_fma_f32 v22, v20, s14, -v22
	v_fmac_f32_e32 v21, s15, v20
	s_waitcnt vmcnt(0) lgkmcnt(0)
	v_mul_f32_e32 v23, s3, v5
	v_mul_f32_e32 v5, s2, v5
	v_fma_f32 v20, v4, s2, -v23
	v_fmac_f32_e32 v5, s3, v4
	v_add_f32_e32 v4, v22, v20
	v_add_f32_e32 v5, v21, v5
	v_mul_f32_e32 v20, s15, v19
	v_mul_f32_e32 v19, s14, v19
	flat_store_dwordx2 v[2:3], v[4:5] offset:128
	flat_load_dwordx2 v[4:5], v[6:7] offset:256
	v_fma_f32 v20, v18, s14, -v20
	v_fmac_f32_e32 v19, s15, v18
	s_waitcnt vmcnt(0) lgkmcnt(0)
	v_mul_f32_e32 v21, s3, v5
	v_mul_f32_e32 v5, s2, v5
	v_fma_f32 v18, v4, s2, -v21
	v_fmac_f32_e32 v5, s3, v4
	v_add_f32_e32 v4, v20, v18
	v_add_f32_e32 v5, v19, v5
	flat_store_dwordx2 v[2:3], v[4:5] offset:256
	flat_load_dwordx2 v[4:5], v[6:7] offset:384
	v_mul_f32_e32 v6, s15, v17
	v_mul_f32_e32 v7, s14, v17
	v_fma_f32 v6, v16, s14, -v6
	v_fmac_f32_e32 v7, s15, v16
	s_waitcnt vmcnt(0) lgkmcnt(0)
	v_mul_f32_e32 v17, s3, v5
	v_mul_f32_e32 v5, s2, v5
	v_fma_f32 v16, v4, s2, -v17
	v_add_co_u32 v17, vcc_lo, v25, s0
	v_fmac_f32_e32 v5, s3, v4
	v_add_co_ci_u32_e64 v18, null, s1, v26, vcc_lo
	v_add_f32_e32 v4, v6, v16
	v_add_co_u32 v6, vcc_lo, v17, v0
	v_add_f32_e32 v5, v7, v5
	v_add_co_ci_u32_e64 v7, null, v18, v1, vcc_lo
	flat_store_dwordx2 v[2:3], v[4:5] offset:384
	flat_load_dwordx2 v[2:3], v[6:7]
	v_mul_f32_e32 v4, s15, v15
	v_mul_f32_e32 v5, s14, v15
	v_add_co_u32 v15, vcc_lo, v24, s4
	v_add_co_ci_u32_e64 v16, null, s5, v27, vcc_lo
	v_fma_f32 v4, v14, s14, -v4
	v_fmac_f32_e32 v5, s15, v14
	v_add_co_u32 v0, vcc_lo, v15, v0
	v_add_co_ci_u32_e64 v1, null, v16, v1, vcc_lo
	s_waitcnt vmcnt(0) lgkmcnt(0)
	v_mul_f32_e32 v14, s3, v3
	v_mul_f32_e32 v3, s2, v3
	v_fma_f32 v14, v2, s2, -v14
	v_fmac_f32_e32 v3, s3, v2
	v_add_f32_e32 v2, v4, v14
	v_add_f32_e32 v3, v5, v3
	v_mul_f32_e32 v4, s15, v13
	v_mul_f32_e32 v5, s14, v13
	flat_store_dwordx2 v[0:1], v[2:3]
	flat_load_dwordx2 v[2:3], v[6:7] offset:128
	v_fma_f32 v4, v12, s14, -v4
	v_fmac_f32_e32 v5, s15, v12
	s_waitcnt vmcnt(0) lgkmcnt(0)
	v_mul_f32_e32 v13, s3, v3
	v_mul_f32_e32 v3, s2, v3
	v_fma_f32 v12, v2, s2, -v13
	v_fmac_f32_e32 v3, s3, v2
	v_add_f32_e32 v2, v4, v12
	v_add_f32_e32 v3, v5, v3
	v_mul_f32_e32 v4, s15, v11
	v_mul_f32_e32 v5, s14, v11
	flat_store_dwordx2 v[0:1], v[2:3] offset:128
	flat_load_dwordx2 v[2:3], v[6:7] offset:256
	v_fma_f32 v4, v10, s14, -v4
	v_fmac_f32_e32 v5, s15, v10
	s_waitcnt vmcnt(0) lgkmcnt(0)
	v_mul_f32_e32 v11, s3, v3
	v_mul_f32_e32 v3, s2, v3
	v_fma_f32 v10, v2, s2, -v11
	v_fmac_f32_e32 v3, s3, v2
	v_add_f32_e32 v2, v4, v10
	v_add_f32_e32 v3, v5, v3
	v_mul_f32_e32 v4, s15, v8
	v_mul_f32_e32 v5, s14, v8
	flat_store_dwordx2 v[0:1], v[2:3] offset:256
	flat_load_dwordx2 v[2:3], v[6:7] offset:384
	v_fma_f32 v4, v9, s14, -v4
	v_fmac_f32_e32 v5, s15, v9
	s_waitcnt vmcnt(0) lgkmcnt(0)
	v_mul_f32_e32 v6, s3, v3
	v_mul_f32_e32 v3, s2, v3
	v_fma_f32 v6, v2, s2, -v6
	v_fmac_f32_e32 v3, s3, v2
	v_add_co_u32 v2, vcc_lo, 0x180, v0
	v_add_f32_e32 v4, v4, v6
	v_add_f32_e32 v6, v5, v3
	v_add_co_ci_u32_e64 v3, null, 0, v1, vcc_lo
	flat_store_dword v[0:1], v4 offset:384
.LBB236_7:
	flat_store_dword v[2:3], v6 offset:4
	s_endpgm
	.section	.rodata,"a",@progbits
	.p2align	6, 0x0
	.amdhsa_kernel _ZN12_GLOBAL__N_127rocblas_gemm_batched_kernelI19rocblas_complex_numIfELi16ELi16ELi64ELi64ELi4ELi64ELi4ELi4ELi64ELc78ELc84EKPKS2_S5_KPS2_EEvlllT_PT11_llSA_llS8_PT12_llPT13_lli
		.amdhsa_group_segment_fixed_size 4096
		.amdhsa_private_segment_fixed_size 0
		.amdhsa_kernarg_size 140
		.amdhsa_user_sgpr_count 6
		.amdhsa_user_sgpr_private_segment_buffer 1
		.amdhsa_user_sgpr_dispatch_ptr 0
		.amdhsa_user_sgpr_queue_ptr 0
		.amdhsa_user_sgpr_kernarg_segment_ptr 1
		.amdhsa_user_sgpr_dispatch_id 0
		.amdhsa_user_sgpr_flat_scratch_init 0
		.amdhsa_user_sgpr_private_segment_size 0
		.amdhsa_wavefront_size32 1
		.amdhsa_uses_dynamic_stack 0
		.amdhsa_system_sgpr_private_segment_wavefront_offset 0
		.amdhsa_system_sgpr_workgroup_id_x 1
		.amdhsa_system_sgpr_workgroup_id_y 1
		.amdhsa_system_sgpr_workgroup_id_z 1
		.amdhsa_system_sgpr_workgroup_info 0
		.amdhsa_system_vgpr_workitem_id 1
		.amdhsa_next_free_vgpr 188
		.amdhsa_next_free_sgpr 44
		.amdhsa_reserve_vcc 1
		.amdhsa_reserve_flat_scratch 0
		.amdhsa_float_round_mode_32 0
		.amdhsa_float_round_mode_16_64 0
		.amdhsa_float_denorm_mode_32 3
		.amdhsa_float_denorm_mode_16_64 3
		.amdhsa_dx10_clamp 1
		.amdhsa_ieee_mode 1
		.amdhsa_fp16_overflow 0
		.amdhsa_workgroup_processor_mode 1
		.amdhsa_memory_ordered 1
		.amdhsa_forward_progress 1
		.amdhsa_shared_vgpr_count 0
		.amdhsa_exception_fp_ieee_invalid_op 0
		.amdhsa_exception_fp_denorm_src 0
		.amdhsa_exception_fp_ieee_div_zero 0
		.amdhsa_exception_fp_ieee_overflow 0
		.amdhsa_exception_fp_ieee_underflow 0
		.amdhsa_exception_fp_ieee_inexact 0
		.amdhsa_exception_int_div_zero 0
	.end_amdhsa_kernel
	.section	.text._ZN12_GLOBAL__N_127rocblas_gemm_batched_kernelI19rocblas_complex_numIfELi16ELi16ELi64ELi64ELi4ELi64ELi4ELi4ELi64ELc78ELc84EKPKS2_S5_KPS2_EEvlllT_PT11_llSA_llS8_PT12_llPT13_lli,"axG",@progbits,_ZN12_GLOBAL__N_127rocblas_gemm_batched_kernelI19rocblas_complex_numIfELi16ELi16ELi64ELi64ELi4ELi64ELi4ELi4ELi64ELc78ELc84EKPKS2_S5_KPS2_EEvlllT_PT11_llSA_llS8_PT12_llPT13_lli,comdat
.Lfunc_end236:
	.size	_ZN12_GLOBAL__N_127rocblas_gemm_batched_kernelI19rocblas_complex_numIfELi16ELi16ELi64ELi64ELi4ELi64ELi4ELi4ELi64ELc78ELc84EKPKS2_S5_KPS2_EEvlllT_PT11_llSA_llS8_PT12_llPT13_lli, .Lfunc_end236-_ZN12_GLOBAL__N_127rocblas_gemm_batched_kernelI19rocblas_complex_numIfELi16ELi16ELi64ELi64ELi4ELi64ELi4ELi4ELi64ELc78ELc84EKPKS2_S5_KPS2_EEvlllT_PT11_llSA_llS8_PT12_llPT13_lli
                                        ; -- End function
	.set _ZN12_GLOBAL__N_127rocblas_gemm_batched_kernelI19rocblas_complex_numIfELi16ELi16ELi64ELi64ELi4ELi64ELi4ELi4ELi64ELc78ELc84EKPKS2_S5_KPS2_EEvlllT_PT11_llSA_llS8_PT12_llPT13_lli.num_vgpr, 188
	.set _ZN12_GLOBAL__N_127rocblas_gemm_batched_kernelI19rocblas_complex_numIfELi16ELi16ELi64ELi64ELi4ELi64ELi4ELi4ELi64ELc78ELc84EKPKS2_S5_KPS2_EEvlllT_PT11_llSA_llS8_PT12_llPT13_lli.num_agpr, 0
	.set _ZN12_GLOBAL__N_127rocblas_gemm_batched_kernelI19rocblas_complex_numIfELi16ELi16ELi64ELi64ELi4ELi64ELi4ELi4ELi64ELc78ELc84EKPKS2_S5_KPS2_EEvlllT_PT11_llSA_llS8_PT12_llPT13_lli.numbered_sgpr, 44
	.set _ZN12_GLOBAL__N_127rocblas_gemm_batched_kernelI19rocblas_complex_numIfELi16ELi16ELi64ELi64ELi4ELi64ELi4ELi4ELi64ELc78ELc84EKPKS2_S5_KPS2_EEvlllT_PT11_llSA_llS8_PT12_llPT13_lli.num_named_barrier, 0
	.set _ZN12_GLOBAL__N_127rocblas_gemm_batched_kernelI19rocblas_complex_numIfELi16ELi16ELi64ELi64ELi4ELi64ELi4ELi4ELi64ELc78ELc84EKPKS2_S5_KPS2_EEvlllT_PT11_llSA_llS8_PT12_llPT13_lli.private_seg_size, 0
	.set _ZN12_GLOBAL__N_127rocblas_gemm_batched_kernelI19rocblas_complex_numIfELi16ELi16ELi64ELi64ELi4ELi64ELi4ELi4ELi64ELc78ELc84EKPKS2_S5_KPS2_EEvlllT_PT11_llSA_llS8_PT12_llPT13_lli.uses_vcc, 1
	.set _ZN12_GLOBAL__N_127rocblas_gemm_batched_kernelI19rocblas_complex_numIfELi16ELi16ELi64ELi64ELi4ELi64ELi4ELi4ELi64ELc78ELc84EKPKS2_S5_KPS2_EEvlllT_PT11_llSA_llS8_PT12_llPT13_lli.uses_flat_scratch, 0
	.set _ZN12_GLOBAL__N_127rocblas_gemm_batched_kernelI19rocblas_complex_numIfELi16ELi16ELi64ELi64ELi4ELi64ELi4ELi4ELi64ELc78ELc84EKPKS2_S5_KPS2_EEvlllT_PT11_llSA_llS8_PT12_llPT13_lli.has_dyn_sized_stack, 0
	.set _ZN12_GLOBAL__N_127rocblas_gemm_batched_kernelI19rocblas_complex_numIfELi16ELi16ELi64ELi64ELi4ELi64ELi4ELi4ELi64ELc78ELc84EKPKS2_S5_KPS2_EEvlllT_PT11_llSA_llS8_PT12_llPT13_lli.has_recursion, 0
	.set _ZN12_GLOBAL__N_127rocblas_gemm_batched_kernelI19rocblas_complex_numIfELi16ELi16ELi64ELi64ELi4ELi64ELi4ELi4ELi64ELc78ELc84EKPKS2_S5_KPS2_EEvlllT_PT11_llSA_llS8_PT12_llPT13_lli.has_indirect_call, 0
	.section	.AMDGPU.csdata,"",@progbits
; Kernel info:
; codeLenInByte = 4904
; TotalNumSgprs: 46
; NumVgprs: 188
; ScratchSize: 0
; MemoryBound: 0
; FloatMode: 240
; IeeeMode: 1
; LDSByteSize: 4096 bytes/workgroup (compile time only)
; SGPRBlocks: 0
; VGPRBlocks: 23
; NumSGPRsForWavesPerEU: 46
; NumVGPRsForWavesPerEU: 188
; Occupancy: 5
; WaveLimiterHint : 1
; COMPUTE_PGM_RSRC2:SCRATCH_EN: 0
; COMPUTE_PGM_RSRC2:USER_SGPR: 6
; COMPUTE_PGM_RSRC2:TRAP_HANDLER: 0
; COMPUTE_PGM_RSRC2:TGID_X_EN: 1
; COMPUTE_PGM_RSRC2:TGID_Y_EN: 1
; COMPUTE_PGM_RSRC2:TGID_Z_EN: 1
; COMPUTE_PGM_RSRC2:TIDIG_COMP_CNT: 1
	.section	.text._ZN12_GLOBAL__N_127rocblas_gemm_batched_kernelI19rocblas_complex_numIfELi16ELi16ELi64ELi64ELi4ELi64ELi4ELi4ELi64ELc84ELc84EKPKS2_S5_KPS2_EEvlllT_PT11_llSA_llS8_PT12_llPT13_lli,"axG",@progbits,_ZN12_GLOBAL__N_127rocblas_gemm_batched_kernelI19rocblas_complex_numIfELi16ELi16ELi64ELi64ELi4ELi64ELi4ELi4ELi64ELc84ELc84EKPKS2_S5_KPS2_EEvlllT_PT11_llSA_llS8_PT12_llPT13_lli,comdat
	.globl	_ZN12_GLOBAL__N_127rocblas_gemm_batched_kernelI19rocblas_complex_numIfELi16ELi16ELi64ELi64ELi4ELi64ELi4ELi4ELi64ELc84ELc84EKPKS2_S5_KPS2_EEvlllT_PT11_llSA_llS8_PT12_llPT13_lli ; -- Begin function _ZN12_GLOBAL__N_127rocblas_gemm_batched_kernelI19rocblas_complex_numIfELi16ELi16ELi64ELi64ELi4ELi64ELi4ELi4ELi64ELc84ELc84EKPKS2_S5_KPS2_EEvlllT_PT11_llSA_llS8_PT12_llPT13_lli
	.p2align	8
	.type	_ZN12_GLOBAL__N_127rocblas_gemm_batched_kernelI19rocblas_complex_numIfELi16ELi16ELi64ELi64ELi4ELi64ELi4ELi4ELi64ELc84ELc84EKPKS2_S5_KPS2_EEvlllT_PT11_llSA_llS8_PT12_llPT13_lli,@function
_ZN12_GLOBAL__N_127rocblas_gemm_batched_kernelI19rocblas_complex_numIfELi16ELi16ELi64ELi64ELi4ELi64ELi4ELi4ELi64ELc84ELc84EKPKS2_S5_KPS2_EEvlllT_PT11_llSA_llS8_PT12_llPT13_lli: ; @_ZN12_GLOBAL__N_127rocblas_gemm_batched_kernelI19rocblas_complex_numIfELi16ELi16ELi64ELi64ELi4ELi64ELi4ELi4ELi64ELc84ELc84EKPKS2_S5_KPS2_EEvlllT_PT11_llSA_llS8_PT12_llPT13_lli
; %bb.0:
	s_clause 0x1
	s_load_dwordx8 s[36:43], s[4:5], 0x58
	s_load_dwordx16 s[12:27], s[4:5], 0x10
	s_mov_b32 s9, 0
	s_clause 0x1
	s_load_dwordx4 s[28:31], s[4:5], 0x78
	s_load_dwordx2 s[2:3], s[4:5], 0x50
	s_lshl_b64 s[0:1], s[8:9], 3
	s_mov_b32 s10, s7
	v_mov_b32_e32 v38, 0
	v_mov_b32_e32 v39, 0
	v_mov_b32_e32 v36, 0
	v_mov_b32_e32 v37, 0
	v_mov_b32_e32 v34, 0
	v_mov_b32_e32 v35, 0
	v_mov_b32_e32 v32, 0
	v_mov_b32_e32 v33, 0
	v_mov_b32_e32 v30, 0
	v_mov_b32_e32 v31, 0
	v_mov_b32_e32 v28, 0
	v_mov_b32_e32 v29, 0
	v_mov_b32_e32 v26, 0
	s_waitcnt lgkmcnt(0)
	s_add_u32 s4, s36, s0
	s_addc_u32 s5, s37, s1
	s_add_u32 s8, s42, s0
	s_addc_u32 s9, s43, s1
	s_load_dwordx2 s[4:5], s[4:5], 0x0
	s_load_dwordx2 s[8:9], s[8:9], 0x0
	v_cmp_lt_i64_e64 s33, s[12:13], 1
	v_mov_b32_e32 v27, 0
	v_mov_b32_e32 v24, 0
	;; [unrolled: 1-line block ×19, first 2 shown]
	s_ashr_i32 s7, s6, 31
	s_ashr_i32 s11, s10, 31
	s_lshl_b64 s[6:7], s[6:7], 6
	s_and_b32 vcc_lo, exec_lo, s33
	s_lshl_b64 s[10:11], s[10:11], 6
	s_cbranch_vccnz .LBB237_3
; %bb.1:
	v_lshl_add_u32 v6, v1, 4, v0
	v_and_b32_e32 v7, 3, v0
	s_add_u32 s16, s16, s0
	s_addc_u32 s17, s17, s1
	s_add_u32 s0, s22, s0
	v_lshrrev_b32_e32 v9, 2, v6
	v_and_b32_e32 v10, 63, v6
	s_addc_u32 s1, s23, s1
	v_lshlrev_b32_e32 v13, 3, v7
	s_load_dwordx2 s[16:17], s[16:17], 0x0
	s_load_dwordx2 s[0:1], s[0:1], 0x0
	v_add_co_u32 v2, s33, v9, s10
	v_add_co_ci_u32_e64 v3, null, 0, s11, s33
	v_add_co_u32 v4, s33, s6, v10
	v_add_co_ci_u32_e64 v5, null, s7, 0, s33
	v_mad_u64_u32 v[2:3], null, s24, v7, v[2:3]
	v_mul_lo_u32 v11, s19, v4
	v_mul_lo_u32 v12, s18, v5
	v_mad_u64_u32 v[4:5], null, s18, v4, 0
	v_lshrrev_b32_e32 v14, 6, v6
	s_lshl_b64 s[18:19], s[20:21], 3
	v_lshlrev_b32_e32 v10, 3, v10
	v_mov_b32_e32 v8, 0
	v_lshlrev_b32_e32 v42, 3, v0
	v_lshl_add_u32 v43, v1, 5, 0x800
	v_add3_u32 v5, v5, v12, v11
	v_mad_u64_u32 v[6:7], null, s25, v7, v[3:4]
	v_lshl_or_b32 v3, v9, 5, v13
	v_lshl_or_b32 v40, v14, 9, v10
	v_lshlrev_b64 v[4:5], 3, v[4:5]
	v_mov_b32_e32 v9, 0
	v_mov_b32_e32 v11, 0
	v_add_nc_u32_e32 v41, 0x800, v3
	v_mov_b32_e32 v3, v6
	v_lshlrev_b32_e32 v6, 3, v14
	v_add_co_u32 v4, vcc_lo, v4, s18
	v_add_co_ci_u32_e64 v5, null, s19, v5, vcc_lo
	s_lshl_b64 s[18:19], s[26:27], 3
	v_add_co_u32 v6, vcc_lo, v4, v6
	v_add_co_ci_u32_e64 v7, null, 0, v5, vcc_lo
	v_lshlrev_b64 v[4:5], 3, v[2:3]
	s_waitcnt lgkmcnt(0)
	v_add_co_u32 v2, vcc_lo, s16, v6
	s_add_u32 s0, s0, s18
	v_add_co_ci_u32_e64 v3, null, s17, v7, vcc_lo
	s_addc_u32 s1, s1, s19
	v_add_co_u32 v4, vcc_lo, s0, v4
	v_add_co_ci_u32_e64 v5, null, s1, v5, vcc_lo
	v_mov_b32_e32 v10, 0
	v_mov_b32_e32 v13, 0
	;; [unrolled: 1-line block ×29, first 2 shown]
	s_lshl_b64 s[16:17], s[24:25], 5
	s_mov_b64 s[18:19], 0
.LBB237_2:                              ; =>This Inner Loop Header: Depth=1
	flat_load_dwordx2 v[6:7], v[2:3]
	s_add_u32 s18, s18, 4
	s_addc_u32 s19, s19, 0
	v_add_co_u32 v2, vcc_lo, v2, 32
	v_cmp_lt_i64_e64 s0, s[18:19], s[12:13]
	v_add_co_ci_u32_e64 v3, null, 0, v3, vcc_lo
	s_and_b32 vcc_lo, exec_lo, s0
	s_waitcnt vmcnt(0) lgkmcnt(0)
	ds_write_b64 v40, v[6:7]
	flat_load_dwordx2 v[6:7], v[4:5]
	v_add_co_u32 v4, s0, v4, s16
	v_add_co_ci_u32_e64 v5, null, s17, v5, s0
	s_waitcnt vmcnt(0) lgkmcnt(0)
	ds_write_b64 v41, v[6:7]
	s_waitcnt lgkmcnt(0)
	s_barrier
	buffer_gl0_inv
	ds_read_b128 v[44:47], v43
	ds_read2_b64 v[48:51], v42 offset1:16
	ds_read_b128 v[52:55], v43 offset:512
	ds_read_b128 v[56:59], v43 offset:16
	;; [unrolled: 1-line block ×7, first 2 shown]
	ds_read2_b64 v[80:83], v42 offset0:32 offset1:48
	ds_read2_b64 v[84:87], v42 offset0:64 offset1:80
	ds_read2_b64 v[88:91], v42 offset0:96 offset1:112
	ds_read2_b64 v[92:95], v42 offset0:128 offset1:144
	ds_read2_b64 v[96:99], v42 offset0:160 offset1:176
	ds_read2_b64 v[100:103], v42 offset0:192 offset1:208
	ds_read2_b64 v[104:107], v42 offset0:224 offset1:240
	s_waitcnt lgkmcnt(0)
	s_barrier
	buffer_gl0_inv
	v_mul_f32_e32 v6, v45, v49
	v_mul_f32_e32 v7, v44, v49
	v_mul_f32_e32 v108, v45, v51
	v_mul_f32_e32 v109, v44, v51
	v_mul_f32_e32 v110, v53, v49
	v_mul_f32_e32 v111, v52, v49
	v_mul_f32_e32 v112, v53, v51
	v_mul_f32_e32 v113, v52, v51
	v_mul_f32_e32 v114, v65, v49
	v_mul_f32_e32 v115, v64, v49
	v_mul_f32_e32 v116, v65, v51
	v_mul_f32_e32 v117, v64, v51
	v_mul_f32_e32 v118, v73, v49
	v_mul_f32_e32 v49, v72, v49
	v_mul_f32_e32 v119, v73, v51
	v_mul_f32_e32 v51, v72, v51
	v_mul_f32_e32 v120, v45, v81
	v_mul_f32_e32 v121, v44, v81
	v_mul_f32_e32 v122, v45, v83
	v_mul_f32_e32 v123, v44, v83
	v_mul_f32_e32 v124, v53, v81
	v_mul_f32_e32 v125, v52, v81
	v_mul_f32_e32 v126, v53, v83
	v_mul_f32_e32 v127, v52, v83
	v_mul_f32_e32 v128, v65, v81
	v_mul_f32_e32 v129, v64, v81
	v_mul_f32_e32 v130, v65, v83
	v_mul_f32_e32 v131, v64, v83
	v_mul_f32_e32 v132, v73, v81
	v_mul_f32_e32 v81, v72, v81
	v_mul_f32_e32 v133, v73, v83
	v_mul_f32_e32 v83, v72, v83
	v_mul_f32_e32 v134, v47, v85
	v_mul_f32_e32 v135, v46, v85
	v_mul_f32_e32 v136, v47, v87
	v_mul_f32_e32 v137, v46, v87
	v_mul_f32_e32 v138, v47, v89
	v_mul_f32_e32 v139, v46, v89
	v_mul_f32_e32 v140, v47, v91
	v_mul_f32_e32 v141, v46, v91
	v_mul_f32_e32 v142, v55, v85
	v_mul_f32_e32 v143, v54, v85
	v_mul_f32_e32 v144, v55, v87
	v_mul_f32_e32 v145, v54, v87
	v_mul_f32_e32 v146, v55, v89
	v_mul_f32_e32 v147, v54, v89
	v_mul_f32_e32 v148, v55, v91
	v_mul_f32_e32 v149, v54, v91
	v_mul_f32_e32 v150, v67, v85
	v_mul_f32_e32 v151, v66, v85
	v_mul_f32_e32 v152, v67, v87
	v_mul_f32_e32 v153, v66, v87
	v_mul_f32_e32 v154, v67, v89
	v_mul_f32_e32 v155, v66, v89
	v_mul_f32_e32 v156, v67, v91
	v_mul_f32_e32 v157, v66, v91
	v_mul_f32_e32 v158, v75, v85
	v_mul_f32_e32 v85, v74, v85
	v_mul_f32_e32 v159, v75, v87
	v_mul_f32_e32 v87, v74, v87
	v_mul_f32_e32 v160, v75, v89
	v_mul_f32_e32 v89, v74, v89
	v_mul_f32_e32 v161, v75, v91
	v_mul_f32_e32 v91, v74, v91
	v_fma_f32 v6, v44, v48, -v6
	v_fmac_f32_e32 v7, v45, v48
	v_fma_f32 v108, v44, v50, -v108
	v_fmac_f32_e32 v109, v45, v50
	;; [unrolled: 2-line block ×16, first 2 shown]
	v_mul_f32_e32 v162, v57, v93
	v_mul_f32_e32 v163, v56, v93
	;; [unrolled: 1-line block ×28, first 2 shown]
	v_fma_f32 v124, v46, v84, -v134
	v_fmac_f32_e32 v135, v47, v84
	v_fma_f32 v126, v46, v86, -v136
	v_fmac_f32_e32 v137, v47, v86
	;; [unrolled: 2-line block ×4, first 2 shown]
	v_mul_f32_e32 v47, v77, v97
	v_mul_f32_e32 v97, v76, v97
	;; [unrolled: 1-line block ×4, first 2 shown]
	v_fma_f32 v132, v54, v84, -v142
	v_fmac_f32_e32 v143, v55, v84
	v_fma_f32 v133, v54, v86, -v144
	v_fmac_f32_e32 v145, v55, v86
	;; [unrolled: 2-line block ×4, first 2 shown]
	v_mul_f32_e32 v136, v58, v101
	v_mul_f32_e32 v140, v58, v103
	v_fma_f32 v142, v66, v84, -v150
	v_fmac_f32_e32 v151, v67, v84
	v_fma_f32 v144, v66, v86, -v152
	v_fmac_f32_e32 v153, v67, v86
	;; [unrolled: 2-line block ×4, first 2 shown]
	v_mul_f32_e32 v148, v58, v105
	v_mul_f32_e32 v152, v58, v107
	v_fma_f32 v154, v74, v84, -v158
	v_fmac_f32_e32 v85, v75, v84
	v_fma_f32 v84, v74, v86, -v159
	v_fmac_f32_e32 v87, v75, v86
	;; [unrolled: 2-line block ×4, first 2 shown]
	v_add_f32_e32 v6, v38, v6
	v_add_f32_e32 v7, v39, v7
	;; [unrolled: 1-line block ×32, first 2 shown]
	v_mul_f32_e32 v55, v59, v101
	v_mul_f32_e32 v138, v59, v103
	;; [unrolled: 1-line block ×16, first 2 shown]
	v_fma_f32 v162, v56, v92, -v162
	v_fmac_f32_e32 v163, v57, v92
	v_fma_f32 v164, v56, v94, -v164
	v_fmac_f32_e32 v165, v57, v94
	v_fma_f32 v166, v60, v92, -v166
	v_fmac_f32_e32 v167, v61, v92
	v_fma_f32 v168, v60, v94, -v168
	v_fmac_f32_e32 v169, v61, v94
	v_fma_f32 v170, v68, v92, -v170
	v_fmac_f32_e32 v171, v69, v92
	v_fma_f32 v172, v68, v94, -v172
	v_fmac_f32_e32 v173, v69, v94
	v_fma_f32 v174, v76, v92, -v174
	v_fmac_f32_e32 v93, v77, v92
	v_fma_f32 v92, v76, v94, -v175
	v_fmac_f32_e32 v95, v77, v94
	v_mul_f32_e32 v94, v71, v105
	v_mul_f32_e32 v175, v70, v105
	;; [unrolled: 1-line block ×4, first 2 shown]
	v_fma_f32 v176, v56, v96, -v176
	v_fmac_f32_e32 v177, v57, v96
	v_fma_f32 v56, v56, v98, -v178
	v_fmac_f32_e32 v179, v57, v98
	;; [unrolled: 2-line block ×8, first 2 shown]
	v_mul_f32_e32 v69, v79, v101
	v_mul_f32_e32 v73, v78, v101
	;; [unrolled: 1-line block ×4, first 2 shown]
	v_fmac_f32_e32 v136, v59, v100
	v_fmac_f32_e32 v140, v59, v102
	;; [unrolled: 1-line block ×4, first 2 shown]
	v_mul_f32_e32 v59, v79, v105
	v_mul_f32_e32 v96, v78, v105
	;; [unrolled: 1-line block ×4, first 2 shown]
	v_add_f32_e32 v6, v6, v124
	v_add_f32_e32 v7, v7, v135
	v_add_f32_e32 v36, v36, v126
	v_add_f32_e32 v37, v37, v137
	v_add_f32_e32 v34, v34, v128
	v_add_f32_e32 v35, v35, v139
	v_add_f32_e32 v32, v32, v46
	v_add_f32_e32 v33, v33, v141
	v_add_f32_e32 v30, v30, v132
	v_add_f32_e32 v31, v31, v143
	v_add_f32_e32 v28, v28, v133
	v_add_f32_e32 v29, v29, v145
	v_add_f32_e32 v26, v26, v134
	v_add_f32_e32 v27, v27, v147
	v_add_f32_e32 v24, v24, v54
	v_add_f32_e32 v25, v25, v149
	v_add_f32_e32 v22, v22, v142
	v_add_f32_e32 v23, v23, v151
	v_add_f32_e32 v20, v20, v144
	v_add_f32_e32 v21, v21, v153
	v_add_f32_e32 v18, v18, v146
	v_add_f32_e32 v19, v19, v155
	v_add_f32_e32 v16, v16, v66
	v_add_f32_e32 v17, v17, v157
	v_add_f32_e32 v14, v14, v154
	v_add_f32_e32 v15, v15, v85
	v_add_f32_e32 v12, v12, v84
	v_add_f32_e32 v13, v13, v87
	v_add_f32_e32 v10, v10, v160
	v_add_f32_e32 v11, v11, v89
	v_add_f32_e32 v9, v9, v74
	v_add_f32_e32 v8, v8, v91
	v_fma_f32 v55, v58, v100, -v55
	v_fma_f32 v82, v58, v102, -v138
	;; [unrolled: 1-line block ×5, first 2 shown]
	v_fmac_f32_e32 v156, v63, v100
	v_fma_f32 v103, v62, v102, -v158
	v_fmac_f32_e32 v159, v63, v102
	v_fma_f32 v75, v62, v104, -v75
	;; [unrolled: 2-line block ×11, first 2 shown]
	v_fmac_f32_e32 v101, v79, v106
	v_add_f32_e32 v6, v6, v162
	v_add_f32_e32 v7, v7, v163
	;; [unrolled: 1-line block ×64, first 2 shown]
	s_cbranch_vccnz .LBB237_2
.LBB237_3:
	s_lshl_b64 s[0:1], s[30:31], 3
	s_waitcnt lgkmcnt(0)
	s_add_u32 s8, s8, s0
	s_addc_u32 s9, s9, s1
	v_add_co_u32 v4, s1, s10, v1
	v_add_co_ci_u32_e64 v5, null, s11, 0, s1
	v_add_co_u32 v0, s1, s6, v0
	s_or_b32 s0, s2, s3
	v_add_co_ci_u32_e64 v1, null, s7, 0, s1
	s_bitset0_b32 s0, 31
	s_mov_b32 s6, 0
	s_cmp_lg_u32 s0, 0
	s_cbranch_scc1 .LBB237_5
; %bb.4:
	v_mul_lo_u32 v6, v5, s28
	v_mul_lo_u32 v40, v4, s29
	v_mad_u64_u32 v[2:3], null, v4, s28, 0
	v_mul_f32_e32 v42, s15, v39
	v_mul_f32_e32 v7, s14, v39
	;; [unrolled: 1-line block ×6, first 2 shown]
	v_add3_u32 v3, v3, v40, v6
	v_lshlrev_b64 v[40:41], 3, v[0:1]
	v_mul_f32_e32 v48, s15, v33
	v_mul_f32_e32 v47, s14, v33
	v_fma_f32 v6, v38, s14, -v42
	v_lshlrev_b64 v[2:3], 3, v[2:3]
	v_fmac_f32_e32 v7, s15, v38
	v_fma_f32 v42, v36, s14, -v44
	v_fmac_f32_e32 v43, s15, v36
	s_lshl_b64 s[0:1], s[28:29], 7
	v_fma_f32 v44, v34, s14, -v46
	v_add_co_u32 v49, vcc_lo, s8, v2
	v_add_co_ci_u32_e64 v50, null, s9, v3, vcc_lo
	v_fmac_f32_e32 v45, s15, v34
	v_add_co_u32 v2, vcc_lo, v49, v40
	v_add_co_ci_u32_e64 v3, null, v50, v41, vcc_lo
	v_fma_f32 v46, v32, s14, -v48
	v_fmac_f32_e32 v47, s15, v32
	v_add_co_u32 v48, vcc_lo, v49, s0
	flat_store_dwordx2 v[2:3], v[6:7]
	flat_store_dwordx2 v[2:3], v[42:43] offset:128
	flat_store_dwordx2 v[2:3], v[44:45] offset:256
	;; [unrolled: 1-line block ×3, first 2 shown]
	v_mul_f32_e32 v2, s15, v31
	v_mul_f32_e32 v3, s14, v31
	v_add_co_ci_u32_e64 v49, null, s1, v50, vcc_lo
	v_mul_f32_e32 v6, s15, v29
	v_mul_f32_e32 v7, s14, v29
	;; [unrolled: 1-line block ×4, first 2 shown]
	v_add_co_u32 v44, vcc_lo, v48, v40
	v_fma_f32 v2, v30, s14, -v2
	v_fmac_f32_e32 v3, s15, v30
	v_add_co_ci_u32_e64 v45, null, v49, v41, vcc_lo
	v_fma_f32 v6, v28, s14, -v6
	v_fmac_f32_e32 v7, s15, v28
	v_fma_f32 v42, v26, s14, -v42
	v_fmac_f32_e32 v43, s15, v26
	v_add_co_u32 v52, vcc_lo, v48, s0
	v_mul_f32_e32 v46, s15, v25
	v_mul_f32_e32 v47, s14, v25
	flat_store_dwordx2 v[44:45], v[2:3]
	flat_store_dwordx2 v[44:45], v[6:7] offset:128
	flat_store_dwordx2 v[44:45], v[42:43] offset:256
	v_mul_f32_e32 v2, s15, v23
	v_mul_f32_e32 v3, s14, v23
	v_add_co_ci_u32_e64 v53, null, s1, v49, vcc_lo
	v_mul_f32_e32 v42, s15, v21
	v_mul_f32_e32 v43, s14, v21
	v_mul_f32_e32 v48, s15, v19
	v_mul_f32_e32 v49, s14, v19
	v_add_co_u32 v6, vcc_lo, v52, v40
	v_mul_f32_e32 v50, s15, v17
	v_mul_f32_e32 v51, s14, v17
	v_fma_f32 v46, v24, s14, -v46
	v_fmac_f32_e32 v47, s15, v24
	v_fma_f32 v2, v22, s14, -v2
	v_fmac_f32_e32 v3, s15, v22
	v_add_co_ci_u32_e64 v7, null, v53, v41, vcc_lo
	v_fma_f32 v42, v20, s14, -v42
	v_fmac_f32_e32 v43, s15, v20
	v_fma_f32 v48, v18, s14, -v48
	v_fmac_f32_e32 v49, s15, v18
	;; [unrolled: 2-line block ×3, first 2 shown]
	flat_store_dwordx2 v[44:45], v[46:47] offset:384
	flat_store_dwordx2 v[6:7], v[2:3]
	flat_store_dwordx2 v[6:7], v[42:43] offset:128
	flat_store_dwordx2 v[6:7], v[48:49] offset:256
	;; [unrolled: 1-line block ×3, first 2 shown]
	v_mul_f32_e32 v2, s15, v15
	v_add_co_u32 v3, vcc_lo, v52, s0
	v_add_co_ci_u32_e64 v6, null, s1, v53, vcc_lo
	v_fma_f32 v42, v14, s14, -v2
	v_mul_f32_e32 v2, s15, v13
	v_add_co_u32 v40, vcc_lo, v3, v40
	v_mul_f32_e32 v43, s14, v15
	v_add_co_ci_u32_e64 v41, null, v6, v41, vcc_lo
	v_fma_f32 v44, v12, s14, -v2
	v_mul_f32_e32 v2, s15, v11
	v_mul_f32_e32 v3, s15, v8
	;; [unrolled: 1-line block ×5, first 2 shown]
	v_fma_f32 v46, v10, s14, -v2
	v_add_co_u32 v2, vcc_lo, 0x180, v40
	v_fmac_f32_e32 v43, s15, v14
	v_fma_f32 v7, v9, s14, -v3
	v_fmac_f32_e32 v6, s15, v9
	v_add_co_ci_u32_e64 v3, null, 0, v41, vcc_lo
	v_fmac_f32_e32 v45, s15, v12
	v_fmac_f32_e32 v47, s15, v10
	flat_store_dwordx2 v[40:41], v[42:43]
	flat_store_dwordx2 v[40:41], v[44:45] offset:128
	flat_store_dwordx2 v[40:41], v[46:47] offset:256
	flat_store_dword v[40:41], v7 offset:384
	s_andn2_b32 vcc_lo, exec_lo, s6
	s_cbranch_vccz .LBB237_6
	s_branch .LBB237_7
.LBB237_5:
                                        ; implicit-def: $vgpr6
                                        ; implicit-def: $vgpr2_vgpr3
.LBB237_6:
	v_mul_lo_u32 v6, v5, s38
	v_mul_lo_u32 v7, v4, s39
	v_mad_u64_u32 v[2:3], null, v4, s38, 0
	s_lshl_b64 s[0:1], s[40:41], 3
	v_lshlrev_b64 v[0:1], 3, v[0:1]
	s_add_u32 s0, s4, s0
	s_addc_u32 s1, s5, s1
	v_mul_lo_u32 v42, v5, s28
	v_mul_lo_u32 v43, v4, s29
	v_add3_u32 v3, v3, v7, v6
	v_mad_u64_u32 v[4:5], null, v4, s28, 0
	s_lshl_b64 s[4:5], s[28:29], 7
	v_lshlrev_b64 v[2:3], 3, v[2:3]
	v_add3_u32 v5, v5, v43, v42
	v_mul_f32_e32 v42, s15, v39
	v_add_co_u32 v40, vcc_lo, s0, v2
	v_add_co_ci_u32_e64 v41, null, s1, v3, vcc_lo
	v_mul_f32_e32 v39, s14, v39
	v_add_co_u32 v2, vcc_lo, v40, v0
	v_add_co_ci_u32_e64 v3, null, v41, v1, vcc_lo
	v_lshlrev_b64 v[4:5], 3, v[4:5]
	v_fma_f32 v42, v38, s14, -v42
	v_fmac_f32_e32 v39, s15, v38
	flat_load_dwordx2 v[6:7], v[2:3]
	s_lshl_b64 s[0:1], s[38:39], 7
	v_add_co_u32 v43, vcc_lo, s8, v4
	v_add_co_ci_u32_e64 v44, null, s9, v5, vcc_lo
	v_add_co_u32 v4, vcc_lo, v43, v0
	v_add_co_ci_u32_e64 v5, null, v44, v1, vcc_lo
	s_waitcnt vmcnt(0) lgkmcnt(0)
	v_mul_f32_e32 v38, s3, v7
	v_mul_f32_e32 v7, s2, v7
	v_fma_f32 v38, v6, s2, -v38
	v_fmac_f32_e32 v7, s3, v6
	v_add_f32_e32 v6, v42, v38
	v_add_f32_e32 v7, v39, v7
	v_mul_f32_e32 v38, s15, v37
	v_mul_f32_e32 v37, s14, v37
	flat_store_dwordx2 v[4:5], v[6:7]
	flat_load_dwordx2 v[6:7], v[2:3] offset:128
	v_fma_f32 v38, v36, s14, -v38
	v_fmac_f32_e32 v37, s15, v36
	s_waitcnt vmcnt(0) lgkmcnt(0)
	v_mul_f32_e32 v39, s3, v7
	v_mul_f32_e32 v7, s2, v7
	v_fma_f32 v36, v6, s2, -v39
	v_fmac_f32_e32 v7, s3, v6
	v_add_f32_e32 v6, v38, v36
	v_add_f32_e32 v7, v37, v7
	v_mul_f32_e32 v36, s15, v35
	v_mul_f32_e32 v35, s14, v35
	flat_store_dwordx2 v[4:5], v[6:7] offset:128
	flat_load_dwordx2 v[6:7], v[2:3] offset:256
	v_fma_f32 v36, v34, s14, -v36
	v_fmac_f32_e32 v35, s15, v34
	s_waitcnt vmcnt(0) lgkmcnt(0)
	v_mul_f32_e32 v37, s3, v7
	v_mul_f32_e32 v7, s2, v7
	v_fma_f32 v34, v6, s2, -v37
	v_fmac_f32_e32 v7, s3, v6
	v_add_f32_e32 v6, v36, v34
	v_add_f32_e32 v7, v35, v7
	flat_store_dwordx2 v[4:5], v[6:7] offset:256
	flat_load_dwordx2 v[2:3], v[2:3] offset:384
	v_mul_f32_e32 v6, s15, v33
	v_mul_f32_e32 v7, s14, v33
	v_fma_f32 v6, v32, s14, -v6
	v_fmac_f32_e32 v7, s15, v32
	s_waitcnt vmcnt(0) lgkmcnt(0)
	v_mul_f32_e32 v33, s3, v3
	v_mul_f32_e32 v3, s2, v3
	v_fma_f32 v32, v2, s2, -v33
	v_add_co_u32 v33, vcc_lo, v40, s0
	v_fmac_f32_e32 v3, s3, v2
	v_add_co_ci_u32_e64 v34, null, s1, v41, vcc_lo
	v_add_f32_e32 v2, v6, v32
	v_add_co_u32 v6, vcc_lo, v33, v0
	v_add_f32_e32 v3, v7, v3
	v_add_co_ci_u32_e64 v7, null, v34, v1, vcc_lo
	v_add_co_u32 v32, vcc_lo, v43, s4
	flat_store_dwordx2 v[4:5], v[2:3] offset:384
	flat_load_dwordx2 v[2:3], v[6:7]
	v_mul_f32_e32 v4, s15, v31
	v_mul_f32_e32 v5, s14, v31
	v_add_co_ci_u32_e64 v35, null, s5, v44, vcc_lo
	v_fma_f32 v4, v30, s14, -v4
	v_fmac_f32_e32 v5, s15, v30
	s_waitcnt vmcnt(0) lgkmcnt(0)
	v_mul_f32_e32 v30, s3, v3
	v_mul_f32_e32 v31, s2, v3
	v_fma_f32 v30, v2, s2, -v30
	v_fmac_f32_e32 v31, s3, v2
	v_add_co_u32 v2, vcc_lo, v32, v0
	v_add_co_ci_u32_e64 v3, null, v35, v1, vcc_lo
	v_add_f32_e32 v4, v4, v30
	v_add_f32_e32 v5, v5, v31
	v_mul_f32_e32 v30, s15, v29
	v_mul_f32_e32 v29, s14, v29
	flat_store_dwordx2 v[2:3], v[4:5]
	flat_load_dwordx2 v[4:5], v[6:7] offset:128
	v_fma_f32 v30, v28, s14, -v30
	v_fmac_f32_e32 v29, s15, v28
	s_waitcnt vmcnt(0) lgkmcnt(0)
	v_mul_f32_e32 v31, s3, v5
	v_mul_f32_e32 v5, s2, v5
	v_fma_f32 v28, v4, s2, -v31
	v_fmac_f32_e32 v5, s3, v4
	v_add_f32_e32 v4, v30, v28
	v_add_f32_e32 v5, v29, v5
	v_mul_f32_e32 v28, s15, v27
	v_mul_f32_e32 v27, s14, v27
	flat_store_dwordx2 v[2:3], v[4:5] offset:128
	flat_load_dwordx2 v[4:5], v[6:7] offset:256
	v_fma_f32 v28, v26, s14, -v28
	v_fmac_f32_e32 v27, s15, v26
	s_waitcnt vmcnt(0) lgkmcnt(0)
	v_mul_f32_e32 v29, s3, v5
	v_mul_f32_e32 v5, s2, v5
	v_fma_f32 v26, v4, s2, -v29
	v_fmac_f32_e32 v5, s3, v4
	v_add_f32_e32 v4, v28, v26
	v_add_f32_e32 v5, v27, v5
	flat_store_dwordx2 v[2:3], v[4:5] offset:256
	flat_load_dwordx2 v[4:5], v[6:7] offset:384
	v_mul_f32_e32 v6, s15, v25
	v_mul_f32_e32 v7, s14, v25
	v_fma_f32 v6, v24, s14, -v6
	v_fmac_f32_e32 v7, s15, v24
	s_waitcnt vmcnt(0) lgkmcnt(0)
	v_mul_f32_e32 v25, s3, v5
	v_mul_f32_e32 v5, s2, v5
	v_fma_f32 v24, v4, s2, -v25
	v_add_co_u32 v25, vcc_lo, v33, s0
	v_fmac_f32_e32 v5, s3, v4
	v_add_co_ci_u32_e64 v26, null, s1, v34, vcc_lo
	v_add_f32_e32 v4, v6, v24
	v_add_co_u32 v6, vcc_lo, v25, v0
	v_add_f32_e32 v5, v7, v5
	v_add_co_ci_u32_e64 v7, null, v26, v1, vcc_lo
	v_add_co_u32 v24, vcc_lo, v32, s4
	flat_store_dwordx2 v[2:3], v[4:5] offset:384
	flat_load_dwordx2 v[2:3], v[6:7]
	v_mul_f32_e32 v4, s15, v23
	v_mul_f32_e32 v5, s14, v23
	v_add_co_ci_u32_e64 v27, null, s5, v35, vcc_lo
	v_fma_f32 v4, v22, s14, -v4
	v_fmac_f32_e32 v5, s15, v22
	s_waitcnt vmcnt(0) lgkmcnt(0)
	v_mul_f32_e32 v22, s3, v3
	v_mul_f32_e32 v23, s2, v3
	v_fma_f32 v22, v2, s2, -v22
	v_fmac_f32_e32 v23, s3, v2
	v_add_co_u32 v2, vcc_lo, v24, v0
	v_add_co_ci_u32_e64 v3, null, v27, v1, vcc_lo
	v_add_f32_e32 v4, v4, v22
	v_add_f32_e32 v5, v5, v23
	v_mul_f32_e32 v22, s15, v21
	v_mul_f32_e32 v21, s14, v21
	flat_store_dwordx2 v[2:3], v[4:5]
	flat_load_dwordx2 v[4:5], v[6:7] offset:128
	v_fma_f32 v22, v20, s14, -v22
	v_fmac_f32_e32 v21, s15, v20
	s_waitcnt vmcnt(0) lgkmcnt(0)
	v_mul_f32_e32 v23, s3, v5
	v_mul_f32_e32 v5, s2, v5
	v_fma_f32 v20, v4, s2, -v23
	v_fmac_f32_e32 v5, s3, v4
	v_add_f32_e32 v4, v22, v20
	v_add_f32_e32 v5, v21, v5
	v_mul_f32_e32 v20, s15, v19
	v_mul_f32_e32 v19, s14, v19
	flat_store_dwordx2 v[2:3], v[4:5] offset:128
	flat_load_dwordx2 v[4:5], v[6:7] offset:256
	v_fma_f32 v20, v18, s14, -v20
	v_fmac_f32_e32 v19, s15, v18
	s_waitcnt vmcnt(0) lgkmcnt(0)
	v_mul_f32_e32 v21, s3, v5
	v_mul_f32_e32 v5, s2, v5
	v_fma_f32 v18, v4, s2, -v21
	v_fmac_f32_e32 v5, s3, v4
	v_add_f32_e32 v4, v20, v18
	v_add_f32_e32 v5, v19, v5
	flat_store_dwordx2 v[2:3], v[4:5] offset:256
	flat_load_dwordx2 v[4:5], v[6:7] offset:384
	v_mul_f32_e32 v6, s15, v17
	v_mul_f32_e32 v7, s14, v17
	v_fma_f32 v6, v16, s14, -v6
	v_fmac_f32_e32 v7, s15, v16
	s_waitcnt vmcnt(0) lgkmcnt(0)
	v_mul_f32_e32 v17, s3, v5
	v_mul_f32_e32 v5, s2, v5
	v_fma_f32 v16, v4, s2, -v17
	v_add_co_u32 v17, vcc_lo, v25, s0
	v_fmac_f32_e32 v5, s3, v4
	v_add_co_ci_u32_e64 v18, null, s1, v26, vcc_lo
	v_add_f32_e32 v4, v6, v16
	v_add_co_u32 v6, vcc_lo, v17, v0
	v_add_f32_e32 v5, v7, v5
	v_add_co_ci_u32_e64 v7, null, v18, v1, vcc_lo
	flat_store_dwordx2 v[2:3], v[4:5] offset:384
	flat_load_dwordx2 v[2:3], v[6:7]
	v_mul_f32_e32 v4, s15, v15
	v_mul_f32_e32 v5, s14, v15
	v_add_co_u32 v15, vcc_lo, v24, s4
	v_add_co_ci_u32_e64 v16, null, s5, v27, vcc_lo
	v_fma_f32 v4, v14, s14, -v4
	v_fmac_f32_e32 v5, s15, v14
	v_add_co_u32 v0, vcc_lo, v15, v0
	v_add_co_ci_u32_e64 v1, null, v16, v1, vcc_lo
	s_waitcnt vmcnt(0) lgkmcnt(0)
	v_mul_f32_e32 v14, s3, v3
	v_mul_f32_e32 v3, s2, v3
	v_fma_f32 v14, v2, s2, -v14
	v_fmac_f32_e32 v3, s3, v2
	v_add_f32_e32 v2, v4, v14
	v_add_f32_e32 v3, v5, v3
	v_mul_f32_e32 v4, s15, v13
	v_mul_f32_e32 v5, s14, v13
	flat_store_dwordx2 v[0:1], v[2:3]
	flat_load_dwordx2 v[2:3], v[6:7] offset:128
	v_fma_f32 v4, v12, s14, -v4
	v_fmac_f32_e32 v5, s15, v12
	s_waitcnt vmcnt(0) lgkmcnt(0)
	v_mul_f32_e32 v13, s3, v3
	v_mul_f32_e32 v3, s2, v3
	v_fma_f32 v12, v2, s2, -v13
	v_fmac_f32_e32 v3, s3, v2
	v_add_f32_e32 v2, v4, v12
	v_add_f32_e32 v3, v5, v3
	v_mul_f32_e32 v4, s15, v11
	v_mul_f32_e32 v5, s14, v11
	flat_store_dwordx2 v[0:1], v[2:3] offset:128
	flat_load_dwordx2 v[2:3], v[6:7] offset:256
	v_fma_f32 v4, v10, s14, -v4
	v_fmac_f32_e32 v5, s15, v10
	s_waitcnt vmcnt(0) lgkmcnt(0)
	v_mul_f32_e32 v11, s3, v3
	v_mul_f32_e32 v3, s2, v3
	v_fma_f32 v10, v2, s2, -v11
	v_fmac_f32_e32 v3, s3, v2
	v_add_f32_e32 v2, v4, v10
	v_add_f32_e32 v3, v5, v3
	v_mul_f32_e32 v4, s15, v8
	v_mul_f32_e32 v5, s14, v8
	flat_store_dwordx2 v[0:1], v[2:3] offset:256
	flat_load_dwordx2 v[2:3], v[6:7] offset:384
	v_fma_f32 v4, v9, s14, -v4
	v_fmac_f32_e32 v5, s15, v9
	s_waitcnt vmcnt(0) lgkmcnt(0)
	v_mul_f32_e32 v6, s3, v3
	v_mul_f32_e32 v3, s2, v3
	v_fma_f32 v6, v2, s2, -v6
	v_fmac_f32_e32 v3, s3, v2
	v_add_co_u32 v2, vcc_lo, 0x180, v0
	v_add_f32_e32 v4, v4, v6
	v_add_f32_e32 v6, v5, v3
	v_add_co_ci_u32_e64 v3, null, 0, v1, vcc_lo
	flat_store_dword v[0:1], v4 offset:384
.LBB237_7:
	flat_store_dword v[2:3], v6 offset:4
	s_endpgm
	.section	.rodata,"a",@progbits
	.p2align	6, 0x0
	.amdhsa_kernel _ZN12_GLOBAL__N_127rocblas_gemm_batched_kernelI19rocblas_complex_numIfELi16ELi16ELi64ELi64ELi4ELi64ELi4ELi4ELi64ELc84ELc84EKPKS2_S5_KPS2_EEvlllT_PT11_llSA_llS8_PT12_llPT13_lli
		.amdhsa_group_segment_fixed_size 4096
		.amdhsa_private_segment_fixed_size 0
		.amdhsa_kernarg_size 140
		.amdhsa_user_sgpr_count 6
		.amdhsa_user_sgpr_private_segment_buffer 1
		.amdhsa_user_sgpr_dispatch_ptr 0
		.amdhsa_user_sgpr_queue_ptr 0
		.amdhsa_user_sgpr_kernarg_segment_ptr 1
		.amdhsa_user_sgpr_dispatch_id 0
		.amdhsa_user_sgpr_flat_scratch_init 0
		.amdhsa_user_sgpr_private_segment_size 0
		.amdhsa_wavefront_size32 1
		.amdhsa_uses_dynamic_stack 0
		.amdhsa_system_sgpr_private_segment_wavefront_offset 0
		.amdhsa_system_sgpr_workgroup_id_x 1
		.amdhsa_system_sgpr_workgroup_id_y 1
		.amdhsa_system_sgpr_workgroup_id_z 1
		.amdhsa_system_sgpr_workgroup_info 0
		.amdhsa_system_vgpr_workitem_id 1
		.amdhsa_next_free_vgpr 188
		.amdhsa_next_free_sgpr 44
		.amdhsa_reserve_vcc 1
		.amdhsa_reserve_flat_scratch 0
		.amdhsa_float_round_mode_32 0
		.amdhsa_float_round_mode_16_64 0
		.amdhsa_float_denorm_mode_32 3
		.amdhsa_float_denorm_mode_16_64 3
		.amdhsa_dx10_clamp 1
		.amdhsa_ieee_mode 1
		.amdhsa_fp16_overflow 0
		.amdhsa_workgroup_processor_mode 1
		.amdhsa_memory_ordered 1
		.amdhsa_forward_progress 1
		.amdhsa_shared_vgpr_count 0
		.amdhsa_exception_fp_ieee_invalid_op 0
		.amdhsa_exception_fp_denorm_src 0
		.amdhsa_exception_fp_ieee_div_zero 0
		.amdhsa_exception_fp_ieee_overflow 0
		.amdhsa_exception_fp_ieee_underflow 0
		.amdhsa_exception_fp_ieee_inexact 0
		.amdhsa_exception_int_div_zero 0
	.end_amdhsa_kernel
	.section	.text._ZN12_GLOBAL__N_127rocblas_gemm_batched_kernelI19rocblas_complex_numIfELi16ELi16ELi64ELi64ELi4ELi64ELi4ELi4ELi64ELc84ELc84EKPKS2_S5_KPS2_EEvlllT_PT11_llSA_llS8_PT12_llPT13_lli,"axG",@progbits,_ZN12_GLOBAL__N_127rocblas_gemm_batched_kernelI19rocblas_complex_numIfELi16ELi16ELi64ELi64ELi4ELi64ELi4ELi4ELi64ELc84ELc84EKPKS2_S5_KPS2_EEvlllT_PT11_llSA_llS8_PT12_llPT13_lli,comdat
.Lfunc_end237:
	.size	_ZN12_GLOBAL__N_127rocblas_gemm_batched_kernelI19rocblas_complex_numIfELi16ELi16ELi64ELi64ELi4ELi64ELi4ELi4ELi64ELc84ELc84EKPKS2_S5_KPS2_EEvlllT_PT11_llSA_llS8_PT12_llPT13_lli, .Lfunc_end237-_ZN12_GLOBAL__N_127rocblas_gemm_batched_kernelI19rocblas_complex_numIfELi16ELi16ELi64ELi64ELi4ELi64ELi4ELi4ELi64ELc84ELc84EKPKS2_S5_KPS2_EEvlllT_PT11_llSA_llS8_PT12_llPT13_lli
                                        ; -- End function
	.set _ZN12_GLOBAL__N_127rocblas_gemm_batched_kernelI19rocblas_complex_numIfELi16ELi16ELi64ELi64ELi4ELi64ELi4ELi4ELi64ELc84ELc84EKPKS2_S5_KPS2_EEvlllT_PT11_llSA_llS8_PT12_llPT13_lli.num_vgpr, 188
	.set _ZN12_GLOBAL__N_127rocblas_gemm_batched_kernelI19rocblas_complex_numIfELi16ELi16ELi64ELi64ELi4ELi64ELi4ELi4ELi64ELc84ELc84EKPKS2_S5_KPS2_EEvlllT_PT11_llSA_llS8_PT12_llPT13_lli.num_agpr, 0
	.set _ZN12_GLOBAL__N_127rocblas_gemm_batched_kernelI19rocblas_complex_numIfELi16ELi16ELi64ELi64ELi4ELi64ELi4ELi4ELi64ELc84ELc84EKPKS2_S5_KPS2_EEvlllT_PT11_llSA_llS8_PT12_llPT13_lli.numbered_sgpr, 44
	.set _ZN12_GLOBAL__N_127rocblas_gemm_batched_kernelI19rocblas_complex_numIfELi16ELi16ELi64ELi64ELi4ELi64ELi4ELi4ELi64ELc84ELc84EKPKS2_S5_KPS2_EEvlllT_PT11_llSA_llS8_PT12_llPT13_lli.num_named_barrier, 0
	.set _ZN12_GLOBAL__N_127rocblas_gemm_batched_kernelI19rocblas_complex_numIfELi16ELi16ELi64ELi64ELi4ELi64ELi4ELi4ELi64ELc84ELc84EKPKS2_S5_KPS2_EEvlllT_PT11_llSA_llS8_PT12_llPT13_lli.private_seg_size, 0
	.set _ZN12_GLOBAL__N_127rocblas_gemm_batched_kernelI19rocblas_complex_numIfELi16ELi16ELi64ELi64ELi4ELi64ELi4ELi4ELi64ELc84ELc84EKPKS2_S5_KPS2_EEvlllT_PT11_llSA_llS8_PT12_llPT13_lli.uses_vcc, 1
	.set _ZN12_GLOBAL__N_127rocblas_gemm_batched_kernelI19rocblas_complex_numIfELi16ELi16ELi64ELi64ELi4ELi64ELi4ELi4ELi64ELc84ELc84EKPKS2_S5_KPS2_EEvlllT_PT11_llSA_llS8_PT12_llPT13_lli.uses_flat_scratch, 0
	.set _ZN12_GLOBAL__N_127rocblas_gemm_batched_kernelI19rocblas_complex_numIfELi16ELi16ELi64ELi64ELi4ELi64ELi4ELi4ELi64ELc84ELc84EKPKS2_S5_KPS2_EEvlllT_PT11_llSA_llS8_PT12_llPT13_lli.has_dyn_sized_stack, 0
	.set _ZN12_GLOBAL__N_127rocblas_gemm_batched_kernelI19rocblas_complex_numIfELi16ELi16ELi64ELi64ELi4ELi64ELi4ELi4ELi64ELc84ELc84EKPKS2_S5_KPS2_EEvlllT_PT11_llSA_llS8_PT12_llPT13_lli.has_recursion, 0
	.set _ZN12_GLOBAL__N_127rocblas_gemm_batched_kernelI19rocblas_complex_numIfELi16ELi16ELi64ELi64ELi4ELi64ELi4ELi4ELi64ELc84ELc84EKPKS2_S5_KPS2_EEvlllT_PT11_llSA_llS8_PT12_llPT13_lli.has_indirect_call, 0
	.section	.AMDGPU.csdata,"",@progbits
; Kernel info:
; codeLenInByte = 4936
; TotalNumSgprs: 46
; NumVgprs: 188
; ScratchSize: 0
; MemoryBound: 0
; FloatMode: 240
; IeeeMode: 1
; LDSByteSize: 4096 bytes/workgroup (compile time only)
; SGPRBlocks: 0
; VGPRBlocks: 23
; NumSGPRsForWavesPerEU: 46
; NumVGPRsForWavesPerEU: 188
; Occupancy: 5
; WaveLimiterHint : 1
; COMPUTE_PGM_RSRC2:SCRATCH_EN: 0
; COMPUTE_PGM_RSRC2:USER_SGPR: 6
; COMPUTE_PGM_RSRC2:TRAP_HANDLER: 0
; COMPUTE_PGM_RSRC2:TGID_X_EN: 1
; COMPUTE_PGM_RSRC2:TGID_Y_EN: 1
; COMPUTE_PGM_RSRC2:TGID_Z_EN: 1
; COMPUTE_PGM_RSRC2:TIDIG_COMP_CNT: 1
	.section	.text._ZN12_GLOBAL__N_127rocblas_gemm_batched_kernelI19rocblas_complex_numIfELi16ELi16ELi64ELi64ELi4ELi64ELi4ELi4ELi64ELc67ELc67EKPKS2_S5_KPS2_EEvlllT_PT11_llSA_llS8_PT12_llPT13_lli,"axG",@progbits,_ZN12_GLOBAL__N_127rocblas_gemm_batched_kernelI19rocblas_complex_numIfELi16ELi16ELi64ELi64ELi4ELi64ELi4ELi4ELi64ELc67ELc67EKPKS2_S5_KPS2_EEvlllT_PT11_llSA_llS8_PT12_llPT13_lli,comdat
	.globl	_ZN12_GLOBAL__N_127rocblas_gemm_batched_kernelI19rocblas_complex_numIfELi16ELi16ELi64ELi64ELi4ELi64ELi4ELi4ELi64ELc67ELc67EKPKS2_S5_KPS2_EEvlllT_PT11_llSA_llS8_PT12_llPT13_lli ; -- Begin function _ZN12_GLOBAL__N_127rocblas_gemm_batched_kernelI19rocblas_complex_numIfELi16ELi16ELi64ELi64ELi4ELi64ELi4ELi4ELi64ELc67ELc67EKPKS2_S5_KPS2_EEvlllT_PT11_llSA_llS8_PT12_llPT13_lli
	.p2align	8
	.type	_ZN12_GLOBAL__N_127rocblas_gemm_batched_kernelI19rocblas_complex_numIfELi16ELi16ELi64ELi64ELi4ELi64ELi4ELi4ELi64ELc67ELc67EKPKS2_S5_KPS2_EEvlllT_PT11_llSA_llS8_PT12_llPT13_lli,@function
_ZN12_GLOBAL__N_127rocblas_gemm_batched_kernelI19rocblas_complex_numIfELi16ELi16ELi64ELi64ELi4ELi64ELi4ELi4ELi64ELc67ELc67EKPKS2_S5_KPS2_EEvlllT_PT11_llSA_llS8_PT12_llPT13_lli: ; @_ZN12_GLOBAL__N_127rocblas_gemm_batched_kernelI19rocblas_complex_numIfELi16ELi16ELi64ELi64ELi4ELi64ELi4ELi4ELi64ELc67ELc67EKPKS2_S5_KPS2_EEvlllT_PT11_llSA_llS8_PT12_llPT13_lli
; %bb.0:
	s_clause 0x1
	s_load_dwordx8 s[36:43], s[4:5], 0x58
	s_load_dwordx16 s[12:27], s[4:5], 0x10
	s_mov_b32 s9, 0
	s_clause 0x1
	s_load_dwordx4 s[28:31], s[4:5], 0x78
	s_load_dwordx2 s[2:3], s[4:5], 0x50
	s_lshl_b64 s[0:1], s[8:9], 3
	s_mov_b32 s10, s7
	v_mov_b32_e32 v38, 0
	v_mov_b32_e32 v39, 0
	;; [unrolled: 1-line block ×13, first 2 shown]
	s_waitcnt lgkmcnt(0)
	s_add_u32 s4, s36, s0
	s_addc_u32 s5, s37, s1
	s_add_u32 s8, s42, s0
	s_addc_u32 s9, s43, s1
	s_load_dwordx2 s[4:5], s[4:5], 0x0
	s_load_dwordx2 s[8:9], s[8:9], 0x0
	v_cmp_lt_i64_e64 s33, s[12:13], 1
	v_mov_b32_e32 v27, 0
	v_mov_b32_e32 v24, 0
	;; [unrolled: 1-line block ×19, first 2 shown]
	s_ashr_i32 s7, s6, 31
	s_ashr_i32 s11, s10, 31
	s_lshl_b64 s[6:7], s[6:7], 6
	s_and_b32 vcc_lo, exec_lo, s33
	s_lshl_b64 s[10:11], s[10:11], 6
	s_cbranch_vccnz .LBB238_3
; %bb.1:
	v_lshl_add_u32 v6, v1, 4, v0
	v_and_b32_e32 v7, 3, v0
	s_add_u32 s16, s16, s0
	s_addc_u32 s17, s17, s1
	s_add_u32 s0, s22, s0
	v_lshrrev_b32_e32 v9, 2, v6
	v_and_b32_e32 v10, 63, v6
	s_addc_u32 s1, s23, s1
	v_lshlrev_b32_e32 v13, 3, v7
	s_load_dwordx2 s[16:17], s[16:17], 0x0
	s_load_dwordx2 s[0:1], s[0:1], 0x0
	v_add_co_u32 v2, s33, v9, s10
	v_add_co_ci_u32_e64 v3, null, 0, s11, s33
	v_add_co_u32 v4, s33, s6, v10
	v_add_co_ci_u32_e64 v5, null, s7, 0, s33
	v_mad_u64_u32 v[2:3], null, s24, v7, v[2:3]
	v_mul_lo_u32 v11, s19, v4
	v_mul_lo_u32 v12, s18, v5
	v_mad_u64_u32 v[4:5], null, s18, v4, 0
	v_lshrrev_b32_e32 v14, 6, v6
	s_lshl_b64 s[18:19], s[20:21], 3
	v_lshlrev_b32_e32 v10, 3, v10
	v_mov_b32_e32 v8, 0
	v_lshlrev_b32_e32 v42, 3, v0
	v_lshl_add_u32 v43, v1, 5, 0x800
	v_add3_u32 v5, v5, v12, v11
	v_mad_u64_u32 v[6:7], null, s25, v7, v[3:4]
	v_lshl_or_b32 v3, v9, 5, v13
	v_lshl_or_b32 v40, v14, 9, v10
	v_lshlrev_b64 v[4:5], 3, v[4:5]
	v_mov_b32_e32 v9, 0
	v_mov_b32_e32 v11, 0
	v_add_nc_u32_e32 v41, 0x800, v3
	v_mov_b32_e32 v3, v6
	v_lshlrev_b32_e32 v6, 3, v14
	v_add_co_u32 v4, vcc_lo, v4, s18
	v_add_co_ci_u32_e64 v5, null, s19, v5, vcc_lo
	s_lshl_b64 s[18:19], s[26:27], 3
	v_add_co_u32 v6, vcc_lo, v4, v6
	v_add_co_ci_u32_e64 v7, null, 0, v5, vcc_lo
	v_lshlrev_b64 v[4:5], 3, v[2:3]
	s_waitcnt lgkmcnt(0)
	v_add_co_u32 v2, vcc_lo, s16, v6
	s_add_u32 s0, s0, s18
	v_add_co_ci_u32_e64 v3, null, s17, v7, vcc_lo
	s_addc_u32 s1, s1, s19
	v_add_co_u32 v4, vcc_lo, s0, v4
	v_add_co_ci_u32_e64 v5, null, s1, v5, vcc_lo
	v_mov_b32_e32 v10, 0
	v_mov_b32_e32 v13, 0
	;; [unrolled: 1-line block ×29, first 2 shown]
	s_lshl_b64 s[16:17], s[24:25], 5
	s_mov_b64 s[18:19], 0
.LBB238_2:                              ; =>This Inner Loop Header: Depth=1
	flat_load_dwordx2 v[6:7], v[2:3]
	s_add_u32 s18, s18, 4
	s_addc_u32 s19, s19, 0
	v_add_co_u32 v2, vcc_lo, v2, 32
	v_cmp_lt_i64_e64 s0, s[18:19], s[12:13]
	v_add_co_ci_u32_e64 v3, null, 0, v3, vcc_lo
	s_and_b32 vcc_lo, exec_lo, s0
	s_waitcnt vmcnt(0) lgkmcnt(0)
	v_xor_b32_e32 v7, 0x80000000, v7
	ds_write_b64 v40, v[6:7]
	flat_load_dwordx2 v[6:7], v[4:5]
	v_add_co_u32 v4, s0, v4, s16
	v_add_co_ci_u32_e64 v5, null, s17, v5, s0
	s_waitcnt vmcnt(0) lgkmcnt(0)
	v_xor_b32_e32 v7, 0x80000000, v7
	ds_write_b64 v41, v[6:7]
	s_waitcnt lgkmcnt(0)
	s_barrier
	buffer_gl0_inv
	ds_read_b128 v[44:47], v43
	ds_read2_b64 v[48:51], v42 offset1:16
	ds_read_b128 v[52:55], v43 offset:512
	ds_read_b128 v[56:59], v43 offset:16
	;; [unrolled: 1-line block ×7, first 2 shown]
	ds_read2_b64 v[80:83], v42 offset0:32 offset1:48
	ds_read2_b64 v[84:87], v42 offset0:64 offset1:80
	;; [unrolled: 1-line block ×7, first 2 shown]
	s_waitcnt lgkmcnt(0)
	s_barrier
	buffer_gl0_inv
	v_mul_f32_e32 v6, v45, v49
	v_mul_f32_e32 v7, v44, v49
	;; [unrolled: 1-line block ×64, first 2 shown]
	v_fma_f32 v6, v44, v48, -v6
	v_fmac_f32_e32 v7, v45, v48
	v_fma_f32 v108, v44, v50, -v108
	v_fmac_f32_e32 v109, v45, v50
	;; [unrolled: 2-line block ×16, first 2 shown]
	v_mul_f32_e32 v162, v57, v93
	v_mul_f32_e32 v163, v56, v93
	;; [unrolled: 1-line block ×28, first 2 shown]
	v_fma_f32 v124, v46, v84, -v134
	v_fmac_f32_e32 v135, v47, v84
	v_fma_f32 v126, v46, v86, -v136
	v_fmac_f32_e32 v137, v47, v86
	;; [unrolled: 2-line block ×4, first 2 shown]
	v_mul_f32_e32 v47, v77, v97
	v_mul_f32_e32 v97, v76, v97
	;; [unrolled: 1-line block ×4, first 2 shown]
	v_fma_f32 v132, v54, v84, -v142
	v_fmac_f32_e32 v143, v55, v84
	v_fma_f32 v133, v54, v86, -v144
	v_fmac_f32_e32 v145, v55, v86
	;; [unrolled: 2-line block ×4, first 2 shown]
	v_mul_f32_e32 v136, v58, v101
	v_mul_f32_e32 v140, v58, v103
	v_fma_f32 v142, v66, v84, -v150
	v_fmac_f32_e32 v151, v67, v84
	v_fma_f32 v144, v66, v86, -v152
	v_fmac_f32_e32 v153, v67, v86
	;; [unrolled: 2-line block ×4, first 2 shown]
	v_mul_f32_e32 v148, v58, v105
	v_mul_f32_e32 v152, v58, v107
	v_fma_f32 v154, v74, v84, -v158
	v_fmac_f32_e32 v85, v75, v84
	v_fma_f32 v84, v74, v86, -v159
	v_fmac_f32_e32 v87, v75, v86
	;; [unrolled: 2-line block ×4, first 2 shown]
	v_add_f32_e32 v6, v38, v6
	v_add_f32_e32 v7, v39, v7
	v_add_f32_e32 v36, v36, v108
	v_add_f32_e32 v37, v37, v109
	v_add_f32_e32 v34, v34, v120
	v_add_f32_e32 v35, v35, v121
	v_add_f32_e32 v32, v32, v44
	v_add_f32_e32 v33, v33, v123
	v_add_f32_e32 v30, v30, v110
	v_add_f32_e32 v31, v31, v111
	v_add_f32_e32 v28, v28, v112
	v_add_f32_e32 v29, v29, v113
	v_add_f32_e32 v26, v26, v45
	v_add_f32_e32 v27, v27, v125
	v_add_f32_e32 v24, v24, v52
	v_add_f32_e32 v25, v25, v127
	v_add_f32_e32 v22, v22, v114
	v_add_f32_e32 v23, v23, v115
	v_add_f32_e32 v20, v20, v116
	v_add_f32_e32 v21, v21, v117
	v_add_f32_e32 v18, v18, v53
	v_add_f32_e32 v19, v19, v129
	v_add_f32_e32 v16, v16, v64
	v_add_f32_e32 v17, v17, v131
	v_add_f32_e32 v14, v14, v118
	v_add_f32_e32 v15, v15, v49
	v_add_f32_e32 v12, v12, v48
	v_add_f32_e32 v13, v13, v51
	v_add_f32_e32 v10, v10, v65
	v_add_f32_e32 v11, v11, v81
	v_add_f32_e32 v9, v9, v72
	v_add_f32_e32 v8, v8, v83
	v_mul_f32_e32 v55, v59, v101
	v_mul_f32_e32 v138, v59, v103
	;; [unrolled: 1-line block ×16, first 2 shown]
	v_fma_f32 v162, v56, v92, -v162
	v_fmac_f32_e32 v163, v57, v92
	v_fma_f32 v164, v56, v94, -v164
	v_fmac_f32_e32 v165, v57, v94
	;; [unrolled: 2-line block ×8, first 2 shown]
	v_mul_f32_e32 v94, v71, v105
	v_mul_f32_e32 v175, v70, v105
	;; [unrolled: 1-line block ×4, first 2 shown]
	v_fma_f32 v176, v56, v96, -v176
	v_fmac_f32_e32 v177, v57, v96
	v_fma_f32 v56, v56, v98, -v178
	v_fmac_f32_e32 v179, v57, v98
	;; [unrolled: 2-line block ×8, first 2 shown]
	v_mul_f32_e32 v69, v79, v101
	v_mul_f32_e32 v73, v78, v101
	;; [unrolled: 1-line block ×4, first 2 shown]
	v_fmac_f32_e32 v136, v59, v100
	v_fmac_f32_e32 v140, v59, v102
	;; [unrolled: 1-line block ×4, first 2 shown]
	v_mul_f32_e32 v59, v79, v105
	v_mul_f32_e32 v96, v78, v105
	;; [unrolled: 1-line block ×4, first 2 shown]
	v_add_f32_e32 v6, v6, v124
	v_add_f32_e32 v7, v7, v135
	;; [unrolled: 1-line block ×32, first 2 shown]
	v_fma_f32 v55, v58, v100, -v55
	v_fma_f32 v82, v58, v102, -v138
	;; [unrolled: 1-line block ×5, first 2 shown]
	v_fmac_f32_e32 v156, v63, v100
	v_fma_f32 v103, v62, v102, -v158
	v_fmac_f32_e32 v159, v63, v102
	v_fma_f32 v75, v62, v104, -v75
	;; [unrolled: 2-line block ×11, first 2 shown]
	v_fmac_f32_e32 v101, v79, v106
	v_add_f32_e32 v6, v6, v162
	v_add_f32_e32 v7, v7, v163
	v_add_f32_e32 v36, v36, v164
	v_add_f32_e32 v37, v37, v165
	v_add_f32_e32 v34, v34, v176
	v_add_f32_e32 v35, v35, v177
	v_add_f32_e32 v32, v32, v56
	v_add_f32_e32 v33, v33, v179
	v_add_f32_e32 v30, v30, v166
	v_add_f32_e32 v31, v31, v167
	v_add_f32_e32 v28, v28, v168
	v_add_f32_e32 v29, v29, v169
	v_add_f32_e32 v26, v26, v50
	v_add_f32_e32 v27, v27, v119
	v_add_f32_e32 v24, v24, v57
	v_add_f32_e32 v25, v25, v181
	v_add_f32_e32 v22, v22, v170
	v_add_f32_e32 v23, v23, v171
	v_add_f32_e32 v20, v20, v172
	v_add_f32_e32 v21, v21, v173
	v_add_f32_e32 v18, v18, v60
	v_add_f32_e32 v19, v19, v80
	v_add_f32_e32 v16, v16, v61
	v_add_f32_e32 v17, v17, v122
	v_add_f32_e32 v14, v14, v174
	v_add_f32_e32 v15, v15, v93
	v_add_f32_e32 v12, v12, v92
	v_add_f32_e32 v13, v13, v95
	v_add_f32_e32 v10, v10, v47
	v_add_f32_e32 v11, v11, v97
	v_add_f32_e32 v9, v9, v68
	v_add_f32_e32 v8, v8, v99
	v_add_f32_e32 v38, v6, v55
	v_add_f32_e32 v39, v7, v136
	v_add_f32_e32 v36, v36, v82
	v_add_f32_e32 v37, v37, v140
	v_add_f32_e32 v34, v34, v67
	v_add_f32_e32 v35, v35, v148
	v_add_f32_e32 v32, v32, v58
	v_add_f32_e32 v33, v33, v152
	v_add_f32_e32 v30, v30, v86
	v_add_f32_e32 v31, v31, v156
	v_add_f32_e32 v28, v28, v103
	v_add_f32_e32 v29, v29, v159
	v_add_f32_e32 v26, v26, v75
	v_add_f32_e32 v27, v27, v88
	v_add_f32_e32 v24, v24, v62
	v_add_f32_e32 v25, v25, v161
	v_add_f32_e32 v22, v22, v63
	v_add_f32_e32 v23, v23, v183
	v_add_f32_e32 v20, v20, v90
	v_add_f32_e32 v21, v21, v185
	v_add_f32_e32 v18, v18, v94
	v_add_f32_e32 v19, v19, v175
	v_add_f32_e32 v16, v16, v70
	v_add_f32_e32 v17, v17, v187
	v_add_f32_e32 v14, v14, v69
	v_add_f32_e32 v15, v15, v73
	v_add_f32_e32 v12, v12, v71
	v_add_f32_e32 v13, v13, v77
	v_add_f32_e32 v10, v10, v59
	v_add_f32_e32 v11, v11, v96
	v_add_f32_e32 v9, v9, v76
	v_add_f32_e32 v8, v8, v101
	s_cbranch_vccnz .LBB238_2
.LBB238_3:
	s_lshl_b64 s[0:1], s[30:31], 3
	s_waitcnt lgkmcnt(0)
	s_add_u32 s8, s8, s0
	s_addc_u32 s9, s9, s1
	v_add_co_u32 v4, s1, s10, v1
	v_add_co_ci_u32_e64 v5, null, s11, 0, s1
	v_add_co_u32 v0, s1, s6, v0
	s_or_b32 s0, s2, s3
	v_add_co_ci_u32_e64 v1, null, s7, 0, s1
	s_bitset0_b32 s0, 31
	s_mov_b32 s6, 0
	s_cmp_lg_u32 s0, 0
	s_cbranch_scc1 .LBB238_5
; %bb.4:
	v_mul_lo_u32 v6, v5, s28
	v_mul_lo_u32 v40, v4, s29
	v_mad_u64_u32 v[2:3], null, v4, s28, 0
	v_mul_f32_e32 v42, s15, v39
	v_mul_f32_e32 v7, s14, v39
	;; [unrolled: 1-line block ×6, first 2 shown]
	v_add3_u32 v3, v3, v40, v6
	v_lshlrev_b64 v[40:41], 3, v[0:1]
	v_mul_f32_e32 v48, s15, v33
	v_mul_f32_e32 v47, s14, v33
	v_fma_f32 v6, v38, s14, -v42
	v_lshlrev_b64 v[2:3], 3, v[2:3]
	v_fmac_f32_e32 v7, s15, v38
	v_fma_f32 v42, v36, s14, -v44
	v_fmac_f32_e32 v43, s15, v36
	s_lshl_b64 s[0:1], s[28:29], 7
	v_fma_f32 v44, v34, s14, -v46
	v_add_co_u32 v49, vcc_lo, s8, v2
	v_add_co_ci_u32_e64 v50, null, s9, v3, vcc_lo
	v_fmac_f32_e32 v45, s15, v34
	v_add_co_u32 v2, vcc_lo, v49, v40
	v_add_co_ci_u32_e64 v3, null, v50, v41, vcc_lo
	v_fma_f32 v46, v32, s14, -v48
	v_fmac_f32_e32 v47, s15, v32
	v_add_co_u32 v48, vcc_lo, v49, s0
	flat_store_dwordx2 v[2:3], v[6:7]
	flat_store_dwordx2 v[2:3], v[42:43] offset:128
	flat_store_dwordx2 v[2:3], v[44:45] offset:256
	;; [unrolled: 1-line block ×3, first 2 shown]
	v_mul_f32_e32 v2, s15, v31
	v_mul_f32_e32 v3, s14, v31
	v_add_co_ci_u32_e64 v49, null, s1, v50, vcc_lo
	v_mul_f32_e32 v6, s15, v29
	v_mul_f32_e32 v7, s14, v29
	;; [unrolled: 1-line block ×4, first 2 shown]
	v_add_co_u32 v44, vcc_lo, v48, v40
	v_fma_f32 v2, v30, s14, -v2
	v_fmac_f32_e32 v3, s15, v30
	v_add_co_ci_u32_e64 v45, null, v49, v41, vcc_lo
	v_fma_f32 v6, v28, s14, -v6
	v_fmac_f32_e32 v7, s15, v28
	v_fma_f32 v42, v26, s14, -v42
	v_fmac_f32_e32 v43, s15, v26
	v_add_co_u32 v52, vcc_lo, v48, s0
	v_mul_f32_e32 v46, s15, v25
	v_mul_f32_e32 v47, s14, v25
	flat_store_dwordx2 v[44:45], v[2:3]
	flat_store_dwordx2 v[44:45], v[6:7] offset:128
	flat_store_dwordx2 v[44:45], v[42:43] offset:256
	v_mul_f32_e32 v2, s15, v23
	v_mul_f32_e32 v3, s14, v23
	v_add_co_ci_u32_e64 v53, null, s1, v49, vcc_lo
	v_mul_f32_e32 v42, s15, v21
	v_mul_f32_e32 v43, s14, v21
	;; [unrolled: 1-line block ×4, first 2 shown]
	v_add_co_u32 v6, vcc_lo, v52, v40
	v_mul_f32_e32 v50, s15, v17
	v_mul_f32_e32 v51, s14, v17
	v_fma_f32 v46, v24, s14, -v46
	v_fmac_f32_e32 v47, s15, v24
	v_fma_f32 v2, v22, s14, -v2
	v_fmac_f32_e32 v3, s15, v22
	v_add_co_ci_u32_e64 v7, null, v53, v41, vcc_lo
	v_fma_f32 v42, v20, s14, -v42
	v_fmac_f32_e32 v43, s15, v20
	v_fma_f32 v48, v18, s14, -v48
	v_fmac_f32_e32 v49, s15, v18
	;; [unrolled: 2-line block ×3, first 2 shown]
	flat_store_dwordx2 v[44:45], v[46:47] offset:384
	flat_store_dwordx2 v[6:7], v[2:3]
	flat_store_dwordx2 v[6:7], v[42:43] offset:128
	flat_store_dwordx2 v[6:7], v[48:49] offset:256
	;; [unrolled: 1-line block ×3, first 2 shown]
	v_mul_f32_e32 v2, s15, v15
	v_add_co_u32 v3, vcc_lo, v52, s0
	v_add_co_ci_u32_e64 v6, null, s1, v53, vcc_lo
	v_fma_f32 v42, v14, s14, -v2
	v_mul_f32_e32 v2, s15, v13
	v_add_co_u32 v40, vcc_lo, v3, v40
	v_mul_f32_e32 v43, s14, v15
	v_add_co_ci_u32_e64 v41, null, v6, v41, vcc_lo
	v_fma_f32 v44, v12, s14, -v2
	v_mul_f32_e32 v2, s15, v11
	v_mul_f32_e32 v3, s15, v8
	;; [unrolled: 1-line block ×5, first 2 shown]
	v_fma_f32 v46, v10, s14, -v2
	v_add_co_u32 v2, vcc_lo, 0x180, v40
	v_fmac_f32_e32 v43, s15, v14
	v_fma_f32 v7, v9, s14, -v3
	v_fmac_f32_e32 v6, s15, v9
	v_add_co_ci_u32_e64 v3, null, 0, v41, vcc_lo
	v_fmac_f32_e32 v45, s15, v12
	v_fmac_f32_e32 v47, s15, v10
	flat_store_dwordx2 v[40:41], v[42:43]
	flat_store_dwordx2 v[40:41], v[44:45] offset:128
	flat_store_dwordx2 v[40:41], v[46:47] offset:256
	flat_store_dword v[40:41], v7 offset:384
	s_andn2_b32 vcc_lo, exec_lo, s6
	s_cbranch_vccz .LBB238_6
	s_branch .LBB238_7
.LBB238_5:
                                        ; implicit-def: $vgpr6
                                        ; implicit-def: $vgpr2_vgpr3
.LBB238_6:
	v_mul_lo_u32 v6, v5, s38
	v_mul_lo_u32 v7, v4, s39
	v_mad_u64_u32 v[2:3], null, v4, s38, 0
	s_lshl_b64 s[0:1], s[40:41], 3
	v_lshlrev_b64 v[0:1], 3, v[0:1]
	s_add_u32 s0, s4, s0
	s_addc_u32 s1, s5, s1
	v_mul_lo_u32 v42, v5, s28
	v_mul_lo_u32 v43, v4, s29
	v_add3_u32 v3, v3, v7, v6
	v_mad_u64_u32 v[4:5], null, v4, s28, 0
	s_lshl_b64 s[4:5], s[28:29], 7
	v_lshlrev_b64 v[2:3], 3, v[2:3]
	v_add3_u32 v5, v5, v43, v42
	v_mul_f32_e32 v42, s15, v39
	v_add_co_u32 v40, vcc_lo, s0, v2
	v_add_co_ci_u32_e64 v41, null, s1, v3, vcc_lo
	v_mul_f32_e32 v39, s14, v39
	v_add_co_u32 v2, vcc_lo, v40, v0
	v_add_co_ci_u32_e64 v3, null, v41, v1, vcc_lo
	v_lshlrev_b64 v[4:5], 3, v[4:5]
	v_fma_f32 v42, v38, s14, -v42
	v_fmac_f32_e32 v39, s15, v38
	flat_load_dwordx2 v[6:7], v[2:3]
	s_lshl_b64 s[0:1], s[38:39], 7
	v_add_co_u32 v43, vcc_lo, s8, v4
	v_add_co_ci_u32_e64 v44, null, s9, v5, vcc_lo
	v_add_co_u32 v4, vcc_lo, v43, v0
	v_add_co_ci_u32_e64 v5, null, v44, v1, vcc_lo
	s_waitcnt vmcnt(0) lgkmcnt(0)
	v_mul_f32_e32 v38, s3, v7
	v_mul_f32_e32 v7, s2, v7
	v_fma_f32 v38, v6, s2, -v38
	v_fmac_f32_e32 v7, s3, v6
	v_add_f32_e32 v6, v42, v38
	v_add_f32_e32 v7, v39, v7
	v_mul_f32_e32 v38, s15, v37
	v_mul_f32_e32 v37, s14, v37
	flat_store_dwordx2 v[4:5], v[6:7]
	flat_load_dwordx2 v[6:7], v[2:3] offset:128
	v_fma_f32 v38, v36, s14, -v38
	v_fmac_f32_e32 v37, s15, v36
	s_waitcnt vmcnt(0) lgkmcnt(0)
	v_mul_f32_e32 v39, s3, v7
	v_mul_f32_e32 v7, s2, v7
	v_fma_f32 v36, v6, s2, -v39
	v_fmac_f32_e32 v7, s3, v6
	v_add_f32_e32 v6, v38, v36
	v_add_f32_e32 v7, v37, v7
	v_mul_f32_e32 v36, s15, v35
	v_mul_f32_e32 v35, s14, v35
	flat_store_dwordx2 v[4:5], v[6:7] offset:128
	flat_load_dwordx2 v[6:7], v[2:3] offset:256
	v_fma_f32 v36, v34, s14, -v36
	v_fmac_f32_e32 v35, s15, v34
	s_waitcnt vmcnt(0) lgkmcnt(0)
	v_mul_f32_e32 v37, s3, v7
	v_mul_f32_e32 v7, s2, v7
	v_fma_f32 v34, v6, s2, -v37
	v_fmac_f32_e32 v7, s3, v6
	v_add_f32_e32 v6, v36, v34
	v_add_f32_e32 v7, v35, v7
	flat_store_dwordx2 v[4:5], v[6:7] offset:256
	flat_load_dwordx2 v[2:3], v[2:3] offset:384
	v_mul_f32_e32 v6, s15, v33
	v_mul_f32_e32 v7, s14, v33
	v_fma_f32 v6, v32, s14, -v6
	v_fmac_f32_e32 v7, s15, v32
	s_waitcnt vmcnt(0) lgkmcnt(0)
	v_mul_f32_e32 v33, s3, v3
	v_mul_f32_e32 v3, s2, v3
	v_fma_f32 v32, v2, s2, -v33
	v_add_co_u32 v33, vcc_lo, v40, s0
	v_fmac_f32_e32 v3, s3, v2
	v_add_co_ci_u32_e64 v34, null, s1, v41, vcc_lo
	v_add_f32_e32 v2, v6, v32
	v_add_co_u32 v6, vcc_lo, v33, v0
	v_add_f32_e32 v3, v7, v3
	v_add_co_ci_u32_e64 v7, null, v34, v1, vcc_lo
	v_add_co_u32 v32, vcc_lo, v43, s4
	flat_store_dwordx2 v[4:5], v[2:3] offset:384
	flat_load_dwordx2 v[2:3], v[6:7]
	v_mul_f32_e32 v4, s15, v31
	v_mul_f32_e32 v5, s14, v31
	v_add_co_ci_u32_e64 v35, null, s5, v44, vcc_lo
	v_fma_f32 v4, v30, s14, -v4
	v_fmac_f32_e32 v5, s15, v30
	s_waitcnt vmcnt(0) lgkmcnt(0)
	v_mul_f32_e32 v30, s3, v3
	v_mul_f32_e32 v31, s2, v3
	v_fma_f32 v30, v2, s2, -v30
	v_fmac_f32_e32 v31, s3, v2
	v_add_co_u32 v2, vcc_lo, v32, v0
	v_add_co_ci_u32_e64 v3, null, v35, v1, vcc_lo
	v_add_f32_e32 v4, v4, v30
	v_add_f32_e32 v5, v5, v31
	v_mul_f32_e32 v30, s15, v29
	v_mul_f32_e32 v29, s14, v29
	flat_store_dwordx2 v[2:3], v[4:5]
	flat_load_dwordx2 v[4:5], v[6:7] offset:128
	v_fma_f32 v30, v28, s14, -v30
	v_fmac_f32_e32 v29, s15, v28
	s_waitcnt vmcnt(0) lgkmcnt(0)
	v_mul_f32_e32 v31, s3, v5
	v_mul_f32_e32 v5, s2, v5
	v_fma_f32 v28, v4, s2, -v31
	v_fmac_f32_e32 v5, s3, v4
	v_add_f32_e32 v4, v30, v28
	v_add_f32_e32 v5, v29, v5
	v_mul_f32_e32 v28, s15, v27
	v_mul_f32_e32 v27, s14, v27
	flat_store_dwordx2 v[2:3], v[4:5] offset:128
	flat_load_dwordx2 v[4:5], v[6:7] offset:256
	v_fma_f32 v28, v26, s14, -v28
	v_fmac_f32_e32 v27, s15, v26
	s_waitcnt vmcnt(0) lgkmcnt(0)
	v_mul_f32_e32 v29, s3, v5
	v_mul_f32_e32 v5, s2, v5
	v_fma_f32 v26, v4, s2, -v29
	v_fmac_f32_e32 v5, s3, v4
	v_add_f32_e32 v4, v28, v26
	v_add_f32_e32 v5, v27, v5
	flat_store_dwordx2 v[2:3], v[4:5] offset:256
	flat_load_dwordx2 v[4:5], v[6:7] offset:384
	v_mul_f32_e32 v6, s15, v25
	v_mul_f32_e32 v7, s14, v25
	v_fma_f32 v6, v24, s14, -v6
	v_fmac_f32_e32 v7, s15, v24
	s_waitcnt vmcnt(0) lgkmcnt(0)
	v_mul_f32_e32 v25, s3, v5
	v_mul_f32_e32 v5, s2, v5
	v_fma_f32 v24, v4, s2, -v25
	v_add_co_u32 v25, vcc_lo, v33, s0
	v_fmac_f32_e32 v5, s3, v4
	v_add_co_ci_u32_e64 v26, null, s1, v34, vcc_lo
	v_add_f32_e32 v4, v6, v24
	v_add_co_u32 v6, vcc_lo, v25, v0
	v_add_f32_e32 v5, v7, v5
	v_add_co_ci_u32_e64 v7, null, v26, v1, vcc_lo
	v_add_co_u32 v24, vcc_lo, v32, s4
	flat_store_dwordx2 v[2:3], v[4:5] offset:384
	flat_load_dwordx2 v[2:3], v[6:7]
	v_mul_f32_e32 v4, s15, v23
	v_mul_f32_e32 v5, s14, v23
	v_add_co_ci_u32_e64 v27, null, s5, v35, vcc_lo
	v_fma_f32 v4, v22, s14, -v4
	v_fmac_f32_e32 v5, s15, v22
	s_waitcnt vmcnt(0) lgkmcnt(0)
	v_mul_f32_e32 v22, s3, v3
	v_mul_f32_e32 v23, s2, v3
	v_fma_f32 v22, v2, s2, -v22
	v_fmac_f32_e32 v23, s3, v2
	v_add_co_u32 v2, vcc_lo, v24, v0
	v_add_co_ci_u32_e64 v3, null, v27, v1, vcc_lo
	v_add_f32_e32 v4, v4, v22
	v_add_f32_e32 v5, v5, v23
	v_mul_f32_e32 v22, s15, v21
	v_mul_f32_e32 v21, s14, v21
	flat_store_dwordx2 v[2:3], v[4:5]
	flat_load_dwordx2 v[4:5], v[6:7] offset:128
	v_fma_f32 v22, v20, s14, -v22
	v_fmac_f32_e32 v21, s15, v20
	s_waitcnt vmcnt(0) lgkmcnt(0)
	v_mul_f32_e32 v23, s3, v5
	v_mul_f32_e32 v5, s2, v5
	v_fma_f32 v20, v4, s2, -v23
	v_fmac_f32_e32 v5, s3, v4
	v_add_f32_e32 v4, v22, v20
	v_add_f32_e32 v5, v21, v5
	v_mul_f32_e32 v20, s15, v19
	v_mul_f32_e32 v19, s14, v19
	flat_store_dwordx2 v[2:3], v[4:5] offset:128
	flat_load_dwordx2 v[4:5], v[6:7] offset:256
	v_fma_f32 v20, v18, s14, -v20
	v_fmac_f32_e32 v19, s15, v18
	s_waitcnt vmcnt(0) lgkmcnt(0)
	v_mul_f32_e32 v21, s3, v5
	v_mul_f32_e32 v5, s2, v5
	v_fma_f32 v18, v4, s2, -v21
	v_fmac_f32_e32 v5, s3, v4
	v_add_f32_e32 v4, v20, v18
	v_add_f32_e32 v5, v19, v5
	flat_store_dwordx2 v[2:3], v[4:5] offset:256
	flat_load_dwordx2 v[4:5], v[6:7] offset:384
	v_mul_f32_e32 v6, s15, v17
	v_mul_f32_e32 v7, s14, v17
	v_fma_f32 v6, v16, s14, -v6
	v_fmac_f32_e32 v7, s15, v16
	s_waitcnt vmcnt(0) lgkmcnt(0)
	v_mul_f32_e32 v17, s3, v5
	v_mul_f32_e32 v5, s2, v5
	v_fma_f32 v16, v4, s2, -v17
	v_add_co_u32 v17, vcc_lo, v25, s0
	v_fmac_f32_e32 v5, s3, v4
	v_add_co_ci_u32_e64 v18, null, s1, v26, vcc_lo
	v_add_f32_e32 v4, v6, v16
	v_add_co_u32 v6, vcc_lo, v17, v0
	v_add_f32_e32 v5, v7, v5
	v_add_co_ci_u32_e64 v7, null, v18, v1, vcc_lo
	flat_store_dwordx2 v[2:3], v[4:5] offset:384
	flat_load_dwordx2 v[2:3], v[6:7]
	v_mul_f32_e32 v4, s15, v15
	v_mul_f32_e32 v5, s14, v15
	v_add_co_u32 v15, vcc_lo, v24, s4
	v_add_co_ci_u32_e64 v16, null, s5, v27, vcc_lo
	v_fma_f32 v4, v14, s14, -v4
	v_fmac_f32_e32 v5, s15, v14
	v_add_co_u32 v0, vcc_lo, v15, v0
	v_add_co_ci_u32_e64 v1, null, v16, v1, vcc_lo
	s_waitcnt vmcnt(0) lgkmcnt(0)
	v_mul_f32_e32 v14, s3, v3
	v_mul_f32_e32 v3, s2, v3
	v_fma_f32 v14, v2, s2, -v14
	v_fmac_f32_e32 v3, s3, v2
	v_add_f32_e32 v2, v4, v14
	v_add_f32_e32 v3, v5, v3
	v_mul_f32_e32 v4, s15, v13
	v_mul_f32_e32 v5, s14, v13
	flat_store_dwordx2 v[0:1], v[2:3]
	flat_load_dwordx2 v[2:3], v[6:7] offset:128
	v_fma_f32 v4, v12, s14, -v4
	v_fmac_f32_e32 v5, s15, v12
	s_waitcnt vmcnt(0) lgkmcnt(0)
	v_mul_f32_e32 v13, s3, v3
	v_mul_f32_e32 v3, s2, v3
	v_fma_f32 v12, v2, s2, -v13
	v_fmac_f32_e32 v3, s3, v2
	v_add_f32_e32 v2, v4, v12
	v_add_f32_e32 v3, v5, v3
	v_mul_f32_e32 v4, s15, v11
	v_mul_f32_e32 v5, s14, v11
	flat_store_dwordx2 v[0:1], v[2:3] offset:128
	flat_load_dwordx2 v[2:3], v[6:7] offset:256
	v_fma_f32 v4, v10, s14, -v4
	v_fmac_f32_e32 v5, s15, v10
	s_waitcnt vmcnt(0) lgkmcnt(0)
	v_mul_f32_e32 v11, s3, v3
	v_mul_f32_e32 v3, s2, v3
	v_fma_f32 v10, v2, s2, -v11
	v_fmac_f32_e32 v3, s3, v2
	v_add_f32_e32 v2, v4, v10
	v_add_f32_e32 v3, v5, v3
	v_mul_f32_e32 v4, s15, v8
	v_mul_f32_e32 v5, s14, v8
	flat_store_dwordx2 v[0:1], v[2:3] offset:256
	flat_load_dwordx2 v[2:3], v[6:7] offset:384
	v_fma_f32 v4, v9, s14, -v4
	v_fmac_f32_e32 v5, s15, v9
	s_waitcnt vmcnt(0) lgkmcnt(0)
	v_mul_f32_e32 v6, s3, v3
	v_mul_f32_e32 v3, s2, v3
	v_fma_f32 v6, v2, s2, -v6
	v_fmac_f32_e32 v3, s3, v2
	v_add_co_u32 v2, vcc_lo, 0x180, v0
	v_add_f32_e32 v4, v4, v6
	v_add_f32_e32 v6, v5, v3
	v_add_co_ci_u32_e64 v3, null, 0, v1, vcc_lo
	flat_store_dword v[0:1], v4 offset:384
.LBB238_7:
	flat_store_dword v[2:3], v6 offset:4
	s_endpgm
	.section	.rodata,"a",@progbits
	.p2align	6, 0x0
	.amdhsa_kernel _ZN12_GLOBAL__N_127rocblas_gemm_batched_kernelI19rocblas_complex_numIfELi16ELi16ELi64ELi64ELi4ELi64ELi4ELi4ELi64ELc67ELc67EKPKS2_S5_KPS2_EEvlllT_PT11_llSA_llS8_PT12_llPT13_lli
		.amdhsa_group_segment_fixed_size 4096
		.amdhsa_private_segment_fixed_size 0
		.amdhsa_kernarg_size 140
		.amdhsa_user_sgpr_count 6
		.amdhsa_user_sgpr_private_segment_buffer 1
		.amdhsa_user_sgpr_dispatch_ptr 0
		.amdhsa_user_sgpr_queue_ptr 0
		.amdhsa_user_sgpr_kernarg_segment_ptr 1
		.amdhsa_user_sgpr_dispatch_id 0
		.amdhsa_user_sgpr_flat_scratch_init 0
		.amdhsa_user_sgpr_private_segment_size 0
		.amdhsa_wavefront_size32 1
		.amdhsa_uses_dynamic_stack 0
		.amdhsa_system_sgpr_private_segment_wavefront_offset 0
		.amdhsa_system_sgpr_workgroup_id_x 1
		.amdhsa_system_sgpr_workgroup_id_y 1
		.amdhsa_system_sgpr_workgroup_id_z 1
		.amdhsa_system_sgpr_workgroup_info 0
		.amdhsa_system_vgpr_workitem_id 1
		.amdhsa_next_free_vgpr 188
		.amdhsa_next_free_sgpr 44
		.amdhsa_reserve_vcc 1
		.amdhsa_reserve_flat_scratch 0
		.amdhsa_float_round_mode_32 0
		.amdhsa_float_round_mode_16_64 0
		.amdhsa_float_denorm_mode_32 3
		.amdhsa_float_denorm_mode_16_64 3
		.amdhsa_dx10_clamp 1
		.amdhsa_ieee_mode 1
		.amdhsa_fp16_overflow 0
		.amdhsa_workgroup_processor_mode 1
		.amdhsa_memory_ordered 1
		.amdhsa_forward_progress 1
		.amdhsa_shared_vgpr_count 0
		.amdhsa_exception_fp_ieee_invalid_op 0
		.amdhsa_exception_fp_denorm_src 0
		.amdhsa_exception_fp_ieee_div_zero 0
		.amdhsa_exception_fp_ieee_overflow 0
		.amdhsa_exception_fp_ieee_underflow 0
		.amdhsa_exception_fp_ieee_inexact 0
		.amdhsa_exception_int_div_zero 0
	.end_amdhsa_kernel
	.section	.text._ZN12_GLOBAL__N_127rocblas_gemm_batched_kernelI19rocblas_complex_numIfELi16ELi16ELi64ELi64ELi4ELi64ELi4ELi4ELi64ELc67ELc67EKPKS2_S5_KPS2_EEvlllT_PT11_llSA_llS8_PT12_llPT13_lli,"axG",@progbits,_ZN12_GLOBAL__N_127rocblas_gemm_batched_kernelI19rocblas_complex_numIfELi16ELi16ELi64ELi64ELi4ELi64ELi4ELi4ELi64ELc67ELc67EKPKS2_S5_KPS2_EEvlllT_PT11_llSA_llS8_PT12_llPT13_lli,comdat
.Lfunc_end238:
	.size	_ZN12_GLOBAL__N_127rocblas_gemm_batched_kernelI19rocblas_complex_numIfELi16ELi16ELi64ELi64ELi4ELi64ELi4ELi4ELi64ELc67ELc67EKPKS2_S5_KPS2_EEvlllT_PT11_llSA_llS8_PT12_llPT13_lli, .Lfunc_end238-_ZN12_GLOBAL__N_127rocblas_gemm_batched_kernelI19rocblas_complex_numIfELi16ELi16ELi64ELi64ELi4ELi64ELi4ELi4ELi64ELc67ELc67EKPKS2_S5_KPS2_EEvlllT_PT11_llSA_llS8_PT12_llPT13_lli
                                        ; -- End function
	.set _ZN12_GLOBAL__N_127rocblas_gemm_batched_kernelI19rocblas_complex_numIfELi16ELi16ELi64ELi64ELi4ELi64ELi4ELi4ELi64ELc67ELc67EKPKS2_S5_KPS2_EEvlllT_PT11_llSA_llS8_PT12_llPT13_lli.num_vgpr, 188
	.set _ZN12_GLOBAL__N_127rocblas_gemm_batched_kernelI19rocblas_complex_numIfELi16ELi16ELi64ELi64ELi4ELi64ELi4ELi4ELi64ELc67ELc67EKPKS2_S5_KPS2_EEvlllT_PT11_llSA_llS8_PT12_llPT13_lli.num_agpr, 0
	.set _ZN12_GLOBAL__N_127rocblas_gemm_batched_kernelI19rocblas_complex_numIfELi16ELi16ELi64ELi64ELi4ELi64ELi4ELi4ELi64ELc67ELc67EKPKS2_S5_KPS2_EEvlllT_PT11_llSA_llS8_PT12_llPT13_lli.numbered_sgpr, 44
	.set _ZN12_GLOBAL__N_127rocblas_gemm_batched_kernelI19rocblas_complex_numIfELi16ELi16ELi64ELi64ELi4ELi64ELi4ELi4ELi64ELc67ELc67EKPKS2_S5_KPS2_EEvlllT_PT11_llSA_llS8_PT12_llPT13_lli.num_named_barrier, 0
	.set _ZN12_GLOBAL__N_127rocblas_gemm_batched_kernelI19rocblas_complex_numIfELi16ELi16ELi64ELi64ELi4ELi64ELi4ELi4ELi64ELc67ELc67EKPKS2_S5_KPS2_EEvlllT_PT11_llSA_llS8_PT12_llPT13_lli.private_seg_size, 0
	.set _ZN12_GLOBAL__N_127rocblas_gemm_batched_kernelI19rocblas_complex_numIfELi16ELi16ELi64ELi64ELi4ELi64ELi4ELi4ELi64ELc67ELc67EKPKS2_S5_KPS2_EEvlllT_PT11_llSA_llS8_PT12_llPT13_lli.uses_vcc, 1
	.set _ZN12_GLOBAL__N_127rocblas_gemm_batched_kernelI19rocblas_complex_numIfELi16ELi16ELi64ELi64ELi4ELi64ELi4ELi4ELi64ELc67ELc67EKPKS2_S5_KPS2_EEvlllT_PT11_llSA_llS8_PT12_llPT13_lli.uses_flat_scratch, 0
	.set _ZN12_GLOBAL__N_127rocblas_gemm_batched_kernelI19rocblas_complex_numIfELi16ELi16ELi64ELi64ELi4ELi64ELi4ELi4ELi64ELc67ELc67EKPKS2_S5_KPS2_EEvlllT_PT11_llSA_llS8_PT12_llPT13_lli.has_dyn_sized_stack, 0
	.set _ZN12_GLOBAL__N_127rocblas_gemm_batched_kernelI19rocblas_complex_numIfELi16ELi16ELi64ELi64ELi4ELi64ELi4ELi4ELi64ELc67ELc67EKPKS2_S5_KPS2_EEvlllT_PT11_llSA_llS8_PT12_llPT13_lli.has_recursion, 0
	.set _ZN12_GLOBAL__N_127rocblas_gemm_batched_kernelI19rocblas_complex_numIfELi16ELi16ELi64ELi64ELi4ELi64ELi4ELi4ELi64ELc67ELc67EKPKS2_S5_KPS2_EEvlllT_PT11_llSA_llS8_PT12_llPT13_lli.has_indirect_call, 0
	.section	.AMDGPU.csdata,"",@progbits
; Kernel info:
; codeLenInByte = 4952
; TotalNumSgprs: 46
; NumVgprs: 188
; ScratchSize: 0
; MemoryBound: 0
; FloatMode: 240
; IeeeMode: 1
; LDSByteSize: 4096 bytes/workgroup (compile time only)
; SGPRBlocks: 0
; VGPRBlocks: 23
; NumSGPRsForWavesPerEU: 46
; NumVGPRsForWavesPerEU: 188
; Occupancy: 5
; WaveLimiterHint : 1
; COMPUTE_PGM_RSRC2:SCRATCH_EN: 0
; COMPUTE_PGM_RSRC2:USER_SGPR: 6
; COMPUTE_PGM_RSRC2:TRAP_HANDLER: 0
; COMPUTE_PGM_RSRC2:TGID_X_EN: 1
; COMPUTE_PGM_RSRC2:TGID_Y_EN: 1
; COMPUTE_PGM_RSRC2:TGID_Z_EN: 1
; COMPUTE_PGM_RSRC2:TIDIG_COMP_CNT: 1
	.section	.text._ZN12_GLOBAL__N_127rocblas_gemm_batched_kernelI19rocblas_complex_numIfELi16ELi16ELi64ELi64ELi4ELi64ELi4ELi4ELi64ELc67ELc78EKPKS2_S5_KPS2_EEvlllT_PT11_llSA_llS8_PT12_llPT13_lli,"axG",@progbits,_ZN12_GLOBAL__N_127rocblas_gemm_batched_kernelI19rocblas_complex_numIfELi16ELi16ELi64ELi64ELi4ELi64ELi4ELi4ELi64ELc67ELc78EKPKS2_S5_KPS2_EEvlllT_PT11_llSA_llS8_PT12_llPT13_lli,comdat
	.globl	_ZN12_GLOBAL__N_127rocblas_gemm_batched_kernelI19rocblas_complex_numIfELi16ELi16ELi64ELi64ELi4ELi64ELi4ELi4ELi64ELc67ELc78EKPKS2_S5_KPS2_EEvlllT_PT11_llSA_llS8_PT12_llPT13_lli ; -- Begin function _ZN12_GLOBAL__N_127rocblas_gemm_batched_kernelI19rocblas_complex_numIfELi16ELi16ELi64ELi64ELi4ELi64ELi4ELi4ELi64ELc67ELc78EKPKS2_S5_KPS2_EEvlllT_PT11_llSA_llS8_PT12_llPT13_lli
	.p2align	8
	.type	_ZN12_GLOBAL__N_127rocblas_gemm_batched_kernelI19rocblas_complex_numIfELi16ELi16ELi64ELi64ELi4ELi64ELi4ELi4ELi64ELc67ELc78EKPKS2_S5_KPS2_EEvlllT_PT11_llSA_llS8_PT12_llPT13_lli,@function
_ZN12_GLOBAL__N_127rocblas_gemm_batched_kernelI19rocblas_complex_numIfELi16ELi16ELi64ELi64ELi4ELi64ELi4ELi4ELi64ELc67ELc78EKPKS2_S5_KPS2_EEvlllT_PT11_llSA_llS8_PT12_llPT13_lli: ; @_ZN12_GLOBAL__N_127rocblas_gemm_batched_kernelI19rocblas_complex_numIfELi16ELi16ELi64ELi64ELi4ELi64ELi4ELi4ELi64ELc67ELc78EKPKS2_S5_KPS2_EEvlllT_PT11_llSA_llS8_PT12_llPT13_lli
; %bb.0:
	s_clause 0x1
	s_load_dwordx8 s[36:43], s[4:5], 0x58
	s_load_dwordx16 s[12:27], s[4:5], 0x10
	s_mov_b32 s9, 0
	s_clause 0x1
	s_load_dwordx4 s[28:31], s[4:5], 0x78
	s_load_dwordx2 s[2:3], s[4:5], 0x50
	s_lshl_b64 s[0:1], s[8:9], 3
	s_mov_b32 s10, s7
	v_mov_b32_e32 v38, 0
	v_mov_b32_e32 v39, 0
	;; [unrolled: 1-line block ×13, first 2 shown]
	s_waitcnt lgkmcnt(0)
	s_add_u32 s4, s36, s0
	s_addc_u32 s5, s37, s1
	s_add_u32 s8, s42, s0
	s_addc_u32 s9, s43, s1
	s_load_dwordx2 s[4:5], s[4:5], 0x0
	s_load_dwordx2 s[8:9], s[8:9], 0x0
	v_cmp_lt_i64_e64 s33, s[12:13], 1
	v_mov_b32_e32 v27, 0
	v_mov_b32_e32 v24, 0
	v_mov_b32_e32 v25, 0
	v_mov_b32_e32 v22, 0
	v_mov_b32_e32 v23, 0
	v_mov_b32_e32 v20, 0
	v_mov_b32_e32 v21, 0
	v_mov_b32_e32 v18, 0
	v_mov_b32_e32 v19, 0
	v_mov_b32_e32 v16, 0
	v_mov_b32_e32 v17, 0
	v_mov_b32_e32 v14, 0
	v_mov_b32_e32 v15, 0
	v_mov_b32_e32 v12, 0
	v_mov_b32_e32 v13, 0
	v_mov_b32_e32 v10, 0
	v_mov_b32_e32 v11, 0
	v_mov_b32_e32 v9, 0
	v_mov_b32_e32 v8, 0
	s_ashr_i32 s7, s6, 31
	s_ashr_i32 s11, s10, 31
	s_lshl_b64 s[6:7], s[6:7], 6
	s_and_b32 vcc_lo, exec_lo, s33
	s_lshl_b64 s[10:11], s[10:11], 6
	s_cbranch_vccnz .LBB239_3
; %bb.1:
	v_lshl_add_u32 v2, v1, 4, v0
	s_add_u32 s16, s16, s0
	s_addc_u32 s17, s17, s1
	s_add_u32 s0, s22, s0
	v_and_b32_e32 v3, 3, v0
	v_and_b32_e32 v6, 63, v2
	v_lshrrev_b32_e32 v7, 2, v2
	v_lshrrev_b32_e32 v10, 6, v2
	s_load_dwordx2 s[16:17], s[16:17], 0x0
	v_lshlrev_b32_e32 v11, 3, v3
	v_add_co_u32 v4, s22, s6, v6
	v_add_co_ci_u32_e64 v5, null, s7, 0, s22
	v_add_co_u32 v8, s22, v7, s10
	v_add_co_ci_u32_e64 v9, null, 0, s11, s22
	v_mul_lo_u32 v12, s19, v4
	v_mul_lo_u32 v13, s18, v5
	v_mad_u64_u32 v[2:3], null, s18, v4, 0
	v_mul_lo_u32 v14, s25, v8
	v_mul_lo_u32 v9, s24, v9
	v_mad_u64_u32 v[4:5], null, s24, v8, 0
	s_addc_u32 s1, s23, s1
	v_lshlrev_b32_e32 v6, 3, v6
	v_add3_u32 v3, v3, v13, v12
	s_load_dwordx2 s[0:1], s[0:1], 0x0
	s_lshl_b64 s[18:19], s[20:21], 3
	v_lshl_or_b32 v7, v7, 5, v11
	v_add3_u32 v5, v5, v9, v14
	v_lshlrev_b64 v[2:3], 3, v[2:3]
	v_lshl_or_b32 v40, v10, 9, v6
	v_lshlrev_b32_e32 v6, 3, v10
	v_mov_b32_e32 v8, 0
	v_lshlrev_b64 v[4:5], 3, v[4:5]
	v_add_nc_u32_e32 v41, 0x800, v7
	v_add_co_u32 v2, vcc_lo, v2, s18
	v_add_co_ci_u32_e64 v3, null, s19, v3, vcc_lo
	s_lshl_b64 s[18:19], s[26:27], 3
	v_lshlrev_b32_e32 v42, 3, v0
	v_add_co_u32 v4, vcc_lo, v4, s18
	v_add_co_ci_u32_e64 v5, null, s19, v5, vcc_lo
	v_add_co_u32 v2, vcc_lo, v2, v6
	v_add_co_ci_u32_e64 v3, null, 0, v3, vcc_lo
	;; [unrolled: 2-line block ×3, first 2 shown]
	s_waitcnt lgkmcnt(0)
	v_add_co_u32 v2, vcc_lo, s16, v2
	v_add_co_ci_u32_e64 v3, null, s17, v3, vcc_lo
	v_add_co_u32 v4, vcc_lo, s0, v4
	v_lshl_add_u32 v43, v1, 5, 0x800
	v_add_co_ci_u32_e64 v5, null, s1, v5, vcc_lo
	v_mov_b32_e32 v9, 0
	v_mov_b32_e32 v11, 0
	v_mov_b32_e32 v10, 0
	v_mov_b32_e32 v13, 0
	v_mov_b32_e32 v12, 0
	v_mov_b32_e32 v15, 0
	v_mov_b32_e32 v14, 0
	v_mov_b32_e32 v17, 0
	v_mov_b32_e32 v16, 0
	v_mov_b32_e32 v19, 0
	v_mov_b32_e32 v18, 0
	v_mov_b32_e32 v21, 0
	v_mov_b32_e32 v20, 0
	v_mov_b32_e32 v23, 0
	v_mov_b32_e32 v22, 0
	v_mov_b32_e32 v25, 0
	v_mov_b32_e32 v24, 0
	v_mov_b32_e32 v27, 0
	v_mov_b32_e32 v26, 0
	v_mov_b32_e32 v29, 0
	v_mov_b32_e32 v28, 0
	v_mov_b32_e32 v31, 0
	v_mov_b32_e32 v30, 0
	v_mov_b32_e32 v33, 0
	v_mov_b32_e32 v32, 0
	v_mov_b32_e32 v35, 0
	v_mov_b32_e32 v34, 0
	v_mov_b32_e32 v37, 0
	v_mov_b32_e32 v36, 0
	v_mov_b32_e32 v39, 0
	v_mov_b32_e32 v38, 0
	s_mov_b64 s[16:17], 0
.LBB239_2:                              ; =>This Inner Loop Header: Depth=1
	flat_load_dwordx2 v[6:7], v[2:3]
	s_add_u32 s16, s16, 4
	s_addc_u32 s17, s17, 0
	v_add_co_u32 v2, vcc_lo, v2, 32
	v_cmp_lt_i64_e64 s0, s[16:17], s[12:13]
	v_add_co_ci_u32_e64 v3, null, 0, v3, vcc_lo
	s_and_b32 vcc_lo, exec_lo, s0
	s_waitcnt vmcnt(0) lgkmcnt(0)
	v_xor_b32_e32 v7, 0x80000000, v7
	ds_write_b64 v40, v[6:7]
	flat_load_dwordx2 v[6:7], v[4:5]
	v_add_co_u32 v4, s0, v4, 32
	v_add_co_ci_u32_e64 v5, null, 0, v5, s0
	s_waitcnt vmcnt(0) lgkmcnt(0)
	ds_write_b64 v41, v[6:7]
	s_waitcnt lgkmcnt(0)
	s_barrier
	buffer_gl0_inv
	ds_read_b128 v[44:47], v43
	ds_read2_b64 v[48:51], v42 offset1:16
	ds_read_b128 v[52:55], v43 offset:512
	ds_read_b128 v[56:59], v43 offset:16
	ds_read_b128 v[60:63], v43 offset:528
	ds_read_b128 v[64:67], v43 offset:1024
	ds_read_b128 v[68:71], v43 offset:1040
	ds_read_b128 v[72:75], v43 offset:1536
	ds_read_b128 v[76:79], v43 offset:1552
	ds_read2_b64 v[80:83], v42 offset0:32 offset1:48
	ds_read2_b64 v[84:87], v42 offset0:64 offset1:80
	;; [unrolled: 1-line block ×7, first 2 shown]
	s_waitcnt lgkmcnt(0)
	s_barrier
	buffer_gl0_inv
	v_mul_f32_e32 v6, v45, v49
	v_mul_f32_e32 v7, v44, v49
	;; [unrolled: 1-line block ×64, first 2 shown]
	v_fma_f32 v6, v44, v48, -v6
	v_fmac_f32_e32 v7, v45, v48
	v_fma_f32 v108, v44, v50, -v108
	v_fmac_f32_e32 v109, v45, v50
	;; [unrolled: 2-line block ×16, first 2 shown]
	v_mul_f32_e32 v162, v57, v93
	v_mul_f32_e32 v163, v56, v93
	;; [unrolled: 1-line block ×28, first 2 shown]
	v_fma_f32 v124, v46, v84, -v134
	v_fmac_f32_e32 v135, v47, v84
	v_fma_f32 v126, v46, v86, -v136
	v_fmac_f32_e32 v137, v47, v86
	;; [unrolled: 2-line block ×4, first 2 shown]
	v_mul_f32_e32 v47, v77, v97
	v_mul_f32_e32 v97, v76, v97
	v_mul_f32_e32 v130, v77, v99
	v_mul_f32_e32 v99, v76, v99
	v_fma_f32 v132, v54, v84, -v142
	v_fmac_f32_e32 v143, v55, v84
	v_fma_f32 v133, v54, v86, -v144
	v_fmac_f32_e32 v145, v55, v86
	;; [unrolled: 2-line block ×4, first 2 shown]
	v_mul_f32_e32 v136, v58, v101
	v_mul_f32_e32 v140, v58, v103
	v_fma_f32 v142, v66, v84, -v150
	v_fmac_f32_e32 v151, v67, v84
	v_fma_f32 v144, v66, v86, -v152
	v_fmac_f32_e32 v153, v67, v86
	;; [unrolled: 2-line block ×4, first 2 shown]
	v_mul_f32_e32 v148, v58, v105
	v_mul_f32_e32 v152, v58, v107
	v_fma_f32 v154, v74, v84, -v158
	v_fmac_f32_e32 v85, v75, v84
	v_fma_f32 v84, v74, v86, -v159
	v_fmac_f32_e32 v87, v75, v86
	;; [unrolled: 2-line block ×4, first 2 shown]
	v_add_f32_e32 v6, v38, v6
	v_add_f32_e32 v7, v39, v7
	;; [unrolled: 1-line block ×32, first 2 shown]
	v_mul_f32_e32 v55, v59, v101
	v_mul_f32_e32 v138, v59, v103
	;; [unrolled: 1-line block ×16, first 2 shown]
	v_fma_f32 v162, v56, v92, -v162
	v_fmac_f32_e32 v163, v57, v92
	v_fma_f32 v164, v56, v94, -v164
	v_fmac_f32_e32 v165, v57, v94
	;; [unrolled: 2-line block ×8, first 2 shown]
	v_mul_f32_e32 v94, v71, v105
	v_mul_f32_e32 v175, v70, v105
	;; [unrolled: 1-line block ×4, first 2 shown]
	v_fma_f32 v176, v56, v96, -v176
	v_fmac_f32_e32 v177, v57, v96
	v_fma_f32 v56, v56, v98, -v178
	v_fmac_f32_e32 v179, v57, v98
	;; [unrolled: 2-line block ×8, first 2 shown]
	v_mul_f32_e32 v69, v79, v101
	v_mul_f32_e32 v73, v78, v101
	;; [unrolled: 1-line block ×4, first 2 shown]
	v_fmac_f32_e32 v136, v59, v100
	v_fmac_f32_e32 v140, v59, v102
	;; [unrolled: 1-line block ×4, first 2 shown]
	v_mul_f32_e32 v59, v79, v105
	v_mul_f32_e32 v96, v78, v105
	;; [unrolled: 1-line block ×4, first 2 shown]
	v_add_f32_e32 v6, v6, v124
	v_add_f32_e32 v7, v7, v135
	;; [unrolled: 1-line block ×32, first 2 shown]
	v_fma_f32 v55, v58, v100, -v55
	v_fma_f32 v82, v58, v102, -v138
	;; [unrolled: 1-line block ×5, first 2 shown]
	v_fmac_f32_e32 v156, v63, v100
	v_fma_f32 v103, v62, v102, -v158
	v_fmac_f32_e32 v159, v63, v102
	v_fma_f32 v75, v62, v104, -v75
	;; [unrolled: 2-line block ×11, first 2 shown]
	v_fmac_f32_e32 v101, v79, v106
	v_add_f32_e32 v6, v6, v162
	v_add_f32_e32 v7, v7, v163
	;; [unrolled: 1-line block ×64, first 2 shown]
	s_cbranch_vccnz .LBB239_2
.LBB239_3:
	s_lshl_b64 s[0:1], s[30:31], 3
	s_waitcnt lgkmcnt(0)
	s_add_u32 s8, s8, s0
	s_addc_u32 s9, s9, s1
	v_add_co_u32 v4, s1, s10, v1
	v_add_co_ci_u32_e64 v5, null, s11, 0, s1
	v_add_co_u32 v0, s1, s6, v0
	s_or_b32 s0, s2, s3
	v_add_co_ci_u32_e64 v1, null, s7, 0, s1
	s_bitset0_b32 s0, 31
	s_mov_b32 s6, 0
	s_cmp_lg_u32 s0, 0
	s_cbranch_scc1 .LBB239_5
; %bb.4:
	v_mul_lo_u32 v6, v5, s28
	v_mul_lo_u32 v40, v4, s29
	v_mad_u64_u32 v[2:3], null, v4, s28, 0
	v_mul_f32_e32 v42, s15, v39
	v_mul_f32_e32 v7, s14, v39
	;; [unrolled: 1-line block ×6, first 2 shown]
	v_add3_u32 v3, v3, v40, v6
	v_lshlrev_b64 v[40:41], 3, v[0:1]
	v_mul_f32_e32 v48, s15, v33
	v_mul_f32_e32 v47, s14, v33
	v_fma_f32 v6, v38, s14, -v42
	v_lshlrev_b64 v[2:3], 3, v[2:3]
	v_fmac_f32_e32 v7, s15, v38
	v_fma_f32 v42, v36, s14, -v44
	v_fmac_f32_e32 v43, s15, v36
	s_lshl_b64 s[0:1], s[28:29], 7
	v_fma_f32 v44, v34, s14, -v46
	v_add_co_u32 v49, vcc_lo, s8, v2
	v_add_co_ci_u32_e64 v50, null, s9, v3, vcc_lo
	v_fmac_f32_e32 v45, s15, v34
	v_add_co_u32 v2, vcc_lo, v49, v40
	v_add_co_ci_u32_e64 v3, null, v50, v41, vcc_lo
	v_fma_f32 v46, v32, s14, -v48
	v_fmac_f32_e32 v47, s15, v32
	v_add_co_u32 v48, vcc_lo, v49, s0
	flat_store_dwordx2 v[2:3], v[6:7]
	flat_store_dwordx2 v[2:3], v[42:43] offset:128
	flat_store_dwordx2 v[2:3], v[44:45] offset:256
	;; [unrolled: 1-line block ×3, first 2 shown]
	v_mul_f32_e32 v2, s15, v31
	v_mul_f32_e32 v3, s14, v31
	v_add_co_ci_u32_e64 v49, null, s1, v50, vcc_lo
	v_mul_f32_e32 v6, s15, v29
	v_mul_f32_e32 v7, s14, v29
	;; [unrolled: 1-line block ×4, first 2 shown]
	v_add_co_u32 v44, vcc_lo, v48, v40
	v_fma_f32 v2, v30, s14, -v2
	v_fmac_f32_e32 v3, s15, v30
	v_add_co_ci_u32_e64 v45, null, v49, v41, vcc_lo
	v_fma_f32 v6, v28, s14, -v6
	v_fmac_f32_e32 v7, s15, v28
	v_fma_f32 v42, v26, s14, -v42
	v_fmac_f32_e32 v43, s15, v26
	v_add_co_u32 v52, vcc_lo, v48, s0
	v_mul_f32_e32 v46, s15, v25
	v_mul_f32_e32 v47, s14, v25
	flat_store_dwordx2 v[44:45], v[2:3]
	flat_store_dwordx2 v[44:45], v[6:7] offset:128
	flat_store_dwordx2 v[44:45], v[42:43] offset:256
	v_mul_f32_e32 v2, s15, v23
	v_mul_f32_e32 v3, s14, v23
	v_add_co_ci_u32_e64 v53, null, s1, v49, vcc_lo
	v_mul_f32_e32 v42, s15, v21
	v_mul_f32_e32 v43, s14, v21
	;; [unrolled: 1-line block ×4, first 2 shown]
	v_add_co_u32 v6, vcc_lo, v52, v40
	v_mul_f32_e32 v50, s15, v17
	v_mul_f32_e32 v51, s14, v17
	v_fma_f32 v46, v24, s14, -v46
	v_fmac_f32_e32 v47, s15, v24
	v_fma_f32 v2, v22, s14, -v2
	v_fmac_f32_e32 v3, s15, v22
	v_add_co_ci_u32_e64 v7, null, v53, v41, vcc_lo
	v_fma_f32 v42, v20, s14, -v42
	v_fmac_f32_e32 v43, s15, v20
	v_fma_f32 v48, v18, s14, -v48
	v_fmac_f32_e32 v49, s15, v18
	;; [unrolled: 2-line block ×3, first 2 shown]
	flat_store_dwordx2 v[44:45], v[46:47] offset:384
	flat_store_dwordx2 v[6:7], v[2:3]
	flat_store_dwordx2 v[6:7], v[42:43] offset:128
	flat_store_dwordx2 v[6:7], v[48:49] offset:256
	;; [unrolled: 1-line block ×3, first 2 shown]
	v_mul_f32_e32 v2, s15, v15
	v_add_co_u32 v3, vcc_lo, v52, s0
	v_add_co_ci_u32_e64 v6, null, s1, v53, vcc_lo
	v_fma_f32 v42, v14, s14, -v2
	v_mul_f32_e32 v2, s15, v13
	v_add_co_u32 v40, vcc_lo, v3, v40
	v_mul_f32_e32 v43, s14, v15
	v_add_co_ci_u32_e64 v41, null, v6, v41, vcc_lo
	v_fma_f32 v44, v12, s14, -v2
	v_mul_f32_e32 v2, s15, v11
	v_mul_f32_e32 v3, s15, v8
	;; [unrolled: 1-line block ×5, first 2 shown]
	v_fma_f32 v46, v10, s14, -v2
	v_add_co_u32 v2, vcc_lo, 0x180, v40
	v_fmac_f32_e32 v43, s15, v14
	v_fma_f32 v7, v9, s14, -v3
	v_fmac_f32_e32 v6, s15, v9
	v_add_co_ci_u32_e64 v3, null, 0, v41, vcc_lo
	v_fmac_f32_e32 v45, s15, v12
	v_fmac_f32_e32 v47, s15, v10
	flat_store_dwordx2 v[40:41], v[42:43]
	flat_store_dwordx2 v[40:41], v[44:45] offset:128
	flat_store_dwordx2 v[40:41], v[46:47] offset:256
	flat_store_dword v[40:41], v7 offset:384
	s_andn2_b32 vcc_lo, exec_lo, s6
	s_cbranch_vccz .LBB239_6
	s_branch .LBB239_7
.LBB239_5:
                                        ; implicit-def: $vgpr6
                                        ; implicit-def: $vgpr2_vgpr3
.LBB239_6:
	v_mul_lo_u32 v6, v5, s38
	v_mul_lo_u32 v7, v4, s39
	v_mad_u64_u32 v[2:3], null, v4, s38, 0
	s_lshl_b64 s[0:1], s[40:41], 3
	v_lshlrev_b64 v[0:1], 3, v[0:1]
	s_add_u32 s0, s4, s0
	s_addc_u32 s1, s5, s1
	v_mul_lo_u32 v42, v5, s28
	v_mul_lo_u32 v43, v4, s29
	v_add3_u32 v3, v3, v7, v6
	v_mad_u64_u32 v[4:5], null, v4, s28, 0
	s_lshl_b64 s[4:5], s[28:29], 7
	v_lshlrev_b64 v[2:3], 3, v[2:3]
	v_add3_u32 v5, v5, v43, v42
	v_mul_f32_e32 v42, s15, v39
	v_add_co_u32 v40, vcc_lo, s0, v2
	v_add_co_ci_u32_e64 v41, null, s1, v3, vcc_lo
	v_mul_f32_e32 v39, s14, v39
	v_add_co_u32 v2, vcc_lo, v40, v0
	v_add_co_ci_u32_e64 v3, null, v41, v1, vcc_lo
	v_lshlrev_b64 v[4:5], 3, v[4:5]
	v_fma_f32 v42, v38, s14, -v42
	v_fmac_f32_e32 v39, s15, v38
	flat_load_dwordx2 v[6:7], v[2:3]
	s_lshl_b64 s[0:1], s[38:39], 7
	v_add_co_u32 v43, vcc_lo, s8, v4
	v_add_co_ci_u32_e64 v44, null, s9, v5, vcc_lo
	v_add_co_u32 v4, vcc_lo, v43, v0
	v_add_co_ci_u32_e64 v5, null, v44, v1, vcc_lo
	s_waitcnt vmcnt(0) lgkmcnt(0)
	v_mul_f32_e32 v38, s3, v7
	v_mul_f32_e32 v7, s2, v7
	v_fma_f32 v38, v6, s2, -v38
	v_fmac_f32_e32 v7, s3, v6
	v_add_f32_e32 v6, v42, v38
	v_add_f32_e32 v7, v39, v7
	v_mul_f32_e32 v38, s15, v37
	v_mul_f32_e32 v37, s14, v37
	flat_store_dwordx2 v[4:5], v[6:7]
	flat_load_dwordx2 v[6:7], v[2:3] offset:128
	v_fma_f32 v38, v36, s14, -v38
	v_fmac_f32_e32 v37, s15, v36
	s_waitcnt vmcnt(0) lgkmcnt(0)
	v_mul_f32_e32 v39, s3, v7
	v_mul_f32_e32 v7, s2, v7
	v_fma_f32 v36, v6, s2, -v39
	v_fmac_f32_e32 v7, s3, v6
	v_add_f32_e32 v6, v38, v36
	v_add_f32_e32 v7, v37, v7
	v_mul_f32_e32 v36, s15, v35
	v_mul_f32_e32 v35, s14, v35
	flat_store_dwordx2 v[4:5], v[6:7] offset:128
	flat_load_dwordx2 v[6:7], v[2:3] offset:256
	v_fma_f32 v36, v34, s14, -v36
	v_fmac_f32_e32 v35, s15, v34
	s_waitcnt vmcnt(0) lgkmcnt(0)
	v_mul_f32_e32 v37, s3, v7
	v_mul_f32_e32 v7, s2, v7
	v_fma_f32 v34, v6, s2, -v37
	v_fmac_f32_e32 v7, s3, v6
	v_add_f32_e32 v6, v36, v34
	v_add_f32_e32 v7, v35, v7
	flat_store_dwordx2 v[4:5], v[6:7] offset:256
	flat_load_dwordx2 v[2:3], v[2:3] offset:384
	v_mul_f32_e32 v6, s15, v33
	v_mul_f32_e32 v7, s14, v33
	v_fma_f32 v6, v32, s14, -v6
	v_fmac_f32_e32 v7, s15, v32
	s_waitcnt vmcnt(0) lgkmcnt(0)
	v_mul_f32_e32 v33, s3, v3
	v_mul_f32_e32 v3, s2, v3
	v_fma_f32 v32, v2, s2, -v33
	v_add_co_u32 v33, vcc_lo, v40, s0
	v_fmac_f32_e32 v3, s3, v2
	v_add_co_ci_u32_e64 v34, null, s1, v41, vcc_lo
	v_add_f32_e32 v2, v6, v32
	v_add_co_u32 v6, vcc_lo, v33, v0
	v_add_f32_e32 v3, v7, v3
	v_add_co_ci_u32_e64 v7, null, v34, v1, vcc_lo
	v_add_co_u32 v32, vcc_lo, v43, s4
	flat_store_dwordx2 v[4:5], v[2:3] offset:384
	flat_load_dwordx2 v[2:3], v[6:7]
	v_mul_f32_e32 v4, s15, v31
	v_mul_f32_e32 v5, s14, v31
	v_add_co_ci_u32_e64 v35, null, s5, v44, vcc_lo
	v_fma_f32 v4, v30, s14, -v4
	v_fmac_f32_e32 v5, s15, v30
	s_waitcnt vmcnt(0) lgkmcnt(0)
	v_mul_f32_e32 v30, s3, v3
	v_mul_f32_e32 v31, s2, v3
	v_fma_f32 v30, v2, s2, -v30
	v_fmac_f32_e32 v31, s3, v2
	v_add_co_u32 v2, vcc_lo, v32, v0
	v_add_co_ci_u32_e64 v3, null, v35, v1, vcc_lo
	v_add_f32_e32 v4, v4, v30
	v_add_f32_e32 v5, v5, v31
	v_mul_f32_e32 v30, s15, v29
	v_mul_f32_e32 v29, s14, v29
	flat_store_dwordx2 v[2:3], v[4:5]
	flat_load_dwordx2 v[4:5], v[6:7] offset:128
	v_fma_f32 v30, v28, s14, -v30
	v_fmac_f32_e32 v29, s15, v28
	s_waitcnt vmcnt(0) lgkmcnt(0)
	v_mul_f32_e32 v31, s3, v5
	v_mul_f32_e32 v5, s2, v5
	v_fma_f32 v28, v4, s2, -v31
	v_fmac_f32_e32 v5, s3, v4
	v_add_f32_e32 v4, v30, v28
	v_add_f32_e32 v5, v29, v5
	v_mul_f32_e32 v28, s15, v27
	v_mul_f32_e32 v27, s14, v27
	flat_store_dwordx2 v[2:3], v[4:5] offset:128
	flat_load_dwordx2 v[4:5], v[6:7] offset:256
	v_fma_f32 v28, v26, s14, -v28
	v_fmac_f32_e32 v27, s15, v26
	s_waitcnt vmcnt(0) lgkmcnt(0)
	v_mul_f32_e32 v29, s3, v5
	v_mul_f32_e32 v5, s2, v5
	v_fma_f32 v26, v4, s2, -v29
	v_fmac_f32_e32 v5, s3, v4
	v_add_f32_e32 v4, v28, v26
	v_add_f32_e32 v5, v27, v5
	flat_store_dwordx2 v[2:3], v[4:5] offset:256
	flat_load_dwordx2 v[4:5], v[6:7] offset:384
	v_mul_f32_e32 v6, s15, v25
	v_mul_f32_e32 v7, s14, v25
	v_fma_f32 v6, v24, s14, -v6
	v_fmac_f32_e32 v7, s15, v24
	s_waitcnt vmcnt(0) lgkmcnt(0)
	v_mul_f32_e32 v25, s3, v5
	v_mul_f32_e32 v5, s2, v5
	v_fma_f32 v24, v4, s2, -v25
	v_add_co_u32 v25, vcc_lo, v33, s0
	v_fmac_f32_e32 v5, s3, v4
	v_add_co_ci_u32_e64 v26, null, s1, v34, vcc_lo
	v_add_f32_e32 v4, v6, v24
	v_add_co_u32 v6, vcc_lo, v25, v0
	v_add_f32_e32 v5, v7, v5
	v_add_co_ci_u32_e64 v7, null, v26, v1, vcc_lo
	v_add_co_u32 v24, vcc_lo, v32, s4
	flat_store_dwordx2 v[2:3], v[4:5] offset:384
	flat_load_dwordx2 v[2:3], v[6:7]
	v_mul_f32_e32 v4, s15, v23
	v_mul_f32_e32 v5, s14, v23
	v_add_co_ci_u32_e64 v27, null, s5, v35, vcc_lo
	v_fma_f32 v4, v22, s14, -v4
	v_fmac_f32_e32 v5, s15, v22
	s_waitcnt vmcnt(0) lgkmcnt(0)
	v_mul_f32_e32 v22, s3, v3
	v_mul_f32_e32 v23, s2, v3
	v_fma_f32 v22, v2, s2, -v22
	v_fmac_f32_e32 v23, s3, v2
	v_add_co_u32 v2, vcc_lo, v24, v0
	v_add_co_ci_u32_e64 v3, null, v27, v1, vcc_lo
	v_add_f32_e32 v4, v4, v22
	v_add_f32_e32 v5, v5, v23
	v_mul_f32_e32 v22, s15, v21
	v_mul_f32_e32 v21, s14, v21
	flat_store_dwordx2 v[2:3], v[4:5]
	flat_load_dwordx2 v[4:5], v[6:7] offset:128
	v_fma_f32 v22, v20, s14, -v22
	v_fmac_f32_e32 v21, s15, v20
	s_waitcnt vmcnt(0) lgkmcnt(0)
	v_mul_f32_e32 v23, s3, v5
	v_mul_f32_e32 v5, s2, v5
	v_fma_f32 v20, v4, s2, -v23
	v_fmac_f32_e32 v5, s3, v4
	v_add_f32_e32 v4, v22, v20
	v_add_f32_e32 v5, v21, v5
	v_mul_f32_e32 v20, s15, v19
	v_mul_f32_e32 v19, s14, v19
	flat_store_dwordx2 v[2:3], v[4:5] offset:128
	flat_load_dwordx2 v[4:5], v[6:7] offset:256
	v_fma_f32 v20, v18, s14, -v20
	v_fmac_f32_e32 v19, s15, v18
	s_waitcnt vmcnt(0) lgkmcnt(0)
	v_mul_f32_e32 v21, s3, v5
	v_mul_f32_e32 v5, s2, v5
	v_fma_f32 v18, v4, s2, -v21
	v_fmac_f32_e32 v5, s3, v4
	v_add_f32_e32 v4, v20, v18
	v_add_f32_e32 v5, v19, v5
	flat_store_dwordx2 v[2:3], v[4:5] offset:256
	flat_load_dwordx2 v[4:5], v[6:7] offset:384
	v_mul_f32_e32 v6, s15, v17
	v_mul_f32_e32 v7, s14, v17
	v_fma_f32 v6, v16, s14, -v6
	v_fmac_f32_e32 v7, s15, v16
	s_waitcnt vmcnt(0) lgkmcnt(0)
	v_mul_f32_e32 v17, s3, v5
	v_mul_f32_e32 v5, s2, v5
	v_fma_f32 v16, v4, s2, -v17
	v_add_co_u32 v17, vcc_lo, v25, s0
	v_fmac_f32_e32 v5, s3, v4
	v_add_co_ci_u32_e64 v18, null, s1, v26, vcc_lo
	v_add_f32_e32 v4, v6, v16
	v_add_co_u32 v6, vcc_lo, v17, v0
	v_add_f32_e32 v5, v7, v5
	v_add_co_ci_u32_e64 v7, null, v18, v1, vcc_lo
	flat_store_dwordx2 v[2:3], v[4:5] offset:384
	flat_load_dwordx2 v[2:3], v[6:7]
	v_mul_f32_e32 v4, s15, v15
	v_mul_f32_e32 v5, s14, v15
	v_add_co_u32 v15, vcc_lo, v24, s4
	v_add_co_ci_u32_e64 v16, null, s5, v27, vcc_lo
	v_fma_f32 v4, v14, s14, -v4
	v_fmac_f32_e32 v5, s15, v14
	v_add_co_u32 v0, vcc_lo, v15, v0
	v_add_co_ci_u32_e64 v1, null, v16, v1, vcc_lo
	s_waitcnt vmcnt(0) lgkmcnt(0)
	v_mul_f32_e32 v14, s3, v3
	v_mul_f32_e32 v3, s2, v3
	v_fma_f32 v14, v2, s2, -v14
	v_fmac_f32_e32 v3, s3, v2
	v_add_f32_e32 v2, v4, v14
	v_add_f32_e32 v3, v5, v3
	v_mul_f32_e32 v4, s15, v13
	v_mul_f32_e32 v5, s14, v13
	flat_store_dwordx2 v[0:1], v[2:3]
	flat_load_dwordx2 v[2:3], v[6:7] offset:128
	v_fma_f32 v4, v12, s14, -v4
	v_fmac_f32_e32 v5, s15, v12
	s_waitcnt vmcnt(0) lgkmcnt(0)
	v_mul_f32_e32 v13, s3, v3
	v_mul_f32_e32 v3, s2, v3
	v_fma_f32 v12, v2, s2, -v13
	v_fmac_f32_e32 v3, s3, v2
	v_add_f32_e32 v2, v4, v12
	v_add_f32_e32 v3, v5, v3
	v_mul_f32_e32 v4, s15, v11
	v_mul_f32_e32 v5, s14, v11
	flat_store_dwordx2 v[0:1], v[2:3] offset:128
	flat_load_dwordx2 v[2:3], v[6:7] offset:256
	v_fma_f32 v4, v10, s14, -v4
	v_fmac_f32_e32 v5, s15, v10
	s_waitcnt vmcnt(0) lgkmcnt(0)
	v_mul_f32_e32 v11, s3, v3
	v_mul_f32_e32 v3, s2, v3
	v_fma_f32 v10, v2, s2, -v11
	v_fmac_f32_e32 v3, s3, v2
	v_add_f32_e32 v2, v4, v10
	v_add_f32_e32 v3, v5, v3
	v_mul_f32_e32 v4, s15, v8
	v_mul_f32_e32 v5, s14, v8
	flat_store_dwordx2 v[0:1], v[2:3] offset:256
	flat_load_dwordx2 v[2:3], v[6:7] offset:384
	v_fma_f32 v4, v9, s14, -v4
	v_fmac_f32_e32 v5, s15, v9
	s_waitcnt vmcnt(0) lgkmcnt(0)
	v_mul_f32_e32 v6, s3, v3
	v_mul_f32_e32 v3, s2, v3
	v_fma_f32 v6, v2, s2, -v6
	v_fmac_f32_e32 v3, s3, v2
	v_add_co_u32 v2, vcc_lo, 0x180, v0
	v_add_f32_e32 v4, v4, v6
	v_add_f32_e32 v6, v5, v3
	v_add_co_ci_u32_e64 v3, null, 0, v1, vcc_lo
	flat_store_dword v[0:1], v4 offset:384
.LBB239_7:
	flat_store_dword v[2:3], v6 offset:4
	s_endpgm
	.section	.rodata,"a",@progbits
	.p2align	6, 0x0
	.amdhsa_kernel _ZN12_GLOBAL__N_127rocblas_gemm_batched_kernelI19rocblas_complex_numIfELi16ELi16ELi64ELi64ELi4ELi64ELi4ELi4ELi64ELc67ELc78EKPKS2_S5_KPS2_EEvlllT_PT11_llSA_llS8_PT12_llPT13_lli
		.amdhsa_group_segment_fixed_size 4096
		.amdhsa_private_segment_fixed_size 0
		.amdhsa_kernarg_size 140
		.amdhsa_user_sgpr_count 6
		.amdhsa_user_sgpr_private_segment_buffer 1
		.amdhsa_user_sgpr_dispatch_ptr 0
		.amdhsa_user_sgpr_queue_ptr 0
		.amdhsa_user_sgpr_kernarg_segment_ptr 1
		.amdhsa_user_sgpr_dispatch_id 0
		.amdhsa_user_sgpr_flat_scratch_init 0
		.amdhsa_user_sgpr_private_segment_size 0
		.amdhsa_wavefront_size32 1
		.amdhsa_uses_dynamic_stack 0
		.amdhsa_system_sgpr_private_segment_wavefront_offset 0
		.amdhsa_system_sgpr_workgroup_id_x 1
		.amdhsa_system_sgpr_workgroup_id_y 1
		.amdhsa_system_sgpr_workgroup_id_z 1
		.amdhsa_system_sgpr_workgroup_info 0
		.amdhsa_system_vgpr_workitem_id 1
		.amdhsa_next_free_vgpr 188
		.amdhsa_next_free_sgpr 44
		.amdhsa_reserve_vcc 1
		.amdhsa_reserve_flat_scratch 0
		.amdhsa_float_round_mode_32 0
		.amdhsa_float_round_mode_16_64 0
		.amdhsa_float_denorm_mode_32 3
		.amdhsa_float_denorm_mode_16_64 3
		.amdhsa_dx10_clamp 1
		.amdhsa_ieee_mode 1
		.amdhsa_fp16_overflow 0
		.amdhsa_workgroup_processor_mode 1
		.amdhsa_memory_ordered 1
		.amdhsa_forward_progress 1
		.amdhsa_shared_vgpr_count 0
		.amdhsa_exception_fp_ieee_invalid_op 0
		.amdhsa_exception_fp_denorm_src 0
		.amdhsa_exception_fp_ieee_div_zero 0
		.amdhsa_exception_fp_ieee_overflow 0
		.amdhsa_exception_fp_ieee_underflow 0
		.amdhsa_exception_fp_ieee_inexact 0
		.amdhsa_exception_int_div_zero 0
	.end_amdhsa_kernel
	.section	.text._ZN12_GLOBAL__N_127rocblas_gemm_batched_kernelI19rocblas_complex_numIfELi16ELi16ELi64ELi64ELi4ELi64ELi4ELi4ELi64ELc67ELc78EKPKS2_S5_KPS2_EEvlllT_PT11_llSA_llS8_PT12_llPT13_lli,"axG",@progbits,_ZN12_GLOBAL__N_127rocblas_gemm_batched_kernelI19rocblas_complex_numIfELi16ELi16ELi64ELi64ELi4ELi64ELi4ELi4ELi64ELc67ELc78EKPKS2_S5_KPS2_EEvlllT_PT11_llSA_llS8_PT12_llPT13_lli,comdat
.Lfunc_end239:
	.size	_ZN12_GLOBAL__N_127rocblas_gemm_batched_kernelI19rocblas_complex_numIfELi16ELi16ELi64ELi64ELi4ELi64ELi4ELi4ELi64ELc67ELc78EKPKS2_S5_KPS2_EEvlllT_PT11_llSA_llS8_PT12_llPT13_lli, .Lfunc_end239-_ZN12_GLOBAL__N_127rocblas_gemm_batched_kernelI19rocblas_complex_numIfELi16ELi16ELi64ELi64ELi4ELi64ELi4ELi4ELi64ELc67ELc78EKPKS2_S5_KPS2_EEvlllT_PT11_llSA_llS8_PT12_llPT13_lli
                                        ; -- End function
	.set _ZN12_GLOBAL__N_127rocblas_gemm_batched_kernelI19rocblas_complex_numIfELi16ELi16ELi64ELi64ELi4ELi64ELi4ELi4ELi64ELc67ELc78EKPKS2_S5_KPS2_EEvlllT_PT11_llSA_llS8_PT12_llPT13_lli.num_vgpr, 188
	.set _ZN12_GLOBAL__N_127rocblas_gemm_batched_kernelI19rocblas_complex_numIfELi16ELi16ELi64ELi64ELi4ELi64ELi4ELi4ELi64ELc67ELc78EKPKS2_S5_KPS2_EEvlllT_PT11_llSA_llS8_PT12_llPT13_lli.num_agpr, 0
	.set _ZN12_GLOBAL__N_127rocblas_gemm_batched_kernelI19rocblas_complex_numIfELi16ELi16ELi64ELi64ELi4ELi64ELi4ELi4ELi64ELc67ELc78EKPKS2_S5_KPS2_EEvlllT_PT11_llSA_llS8_PT12_llPT13_lli.numbered_sgpr, 44
	.set _ZN12_GLOBAL__N_127rocblas_gemm_batched_kernelI19rocblas_complex_numIfELi16ELi16ELi64ELi64ELi4ELi64ELi4ELi4ELi64ELc67ELc78EKPKS2_S5_KPS2_EEvlllT_PT11_llSA_llS8_PT12_llPT13_lli.num_named_barrier, 0
	.set _ZN12_GLOBAL__N_127rocblas_gemm_batched_kernelI19rocblas_complex_numIfELi16ELi16ELi64ELi64ELi4ELi64ELi4ELi4ELi64ELc67ELc78EKPKS2_S5_KPS2_EEvlllT_PT11_llSA_llS8_PT12_llPT13_lli.private_seg_size, 0
	.set _ZN12_GLOBAL__N_127rocblas_gemm_batched_kernelI19rocblas_complex_numIfELi16ELi16ELi64ELi64ELi4ELi64ELi4ELi4ELi64ELc67ELc78EKPKS2_S5_KPS2_EEvlllT_PT11_llSA_llS8_PT12_llPT13_lli.uses_vcc, 1
	.set _ZN12_GLOBAL__N_127rocblas_gemm_batched_kernelI19rocblas_complex_numIfELi16ELi16ELi64ELi64ELi4ELi64ELi4ELi4ELi64ELc67ELc78EKPKS2_S5_KPS2_EEvlllT_PT11_llSA_llS8_PT12_llPT13_lli.uses_flat_scratch, 0
	.set _ZN12_GLOBAL__N_127rocblas_gemm_batched_kernelI19rocblas_complex_numIfELi16ELi16ELi64ELi64ELi4ELi64ELi4ELi4ELi64ELc67ELc78EKPKS2_S5_KPS2_EEvlllT_PT11_llSA_llS8_PT12_llPT13_lli.has_dyn_sized_stack, 0
	.set _ZN12_GLOBAL__N_127rocblas_gemm_batched_kernelI19rocblas_complex_numIfELi16ELi16ELi64ELi64ELi4ELi64ELi4ELi4ELi64ELc67ELc78EKPKS2_S5_KPS2_EEvlllT_PT11_llSA_llS8_PT12_llPT13_lli.has_recursion, 0
	.set _ZN12_GLOBAL__N_127rocblas_gemm_batched_kernelI19rocblas_complex_numIfELi16ELi16ELi64ELi64ELi4ELi64ELi4ELi4ELi64ELc67ELc78EKPKS2_S5_KPS2_EEvlllT_PT11_llSA_llS8_PT12_llPT13_lli.has_indirect_call, 0
	.section	.AMDGPU.csdata,"",@progbits
; Kernel info:
; codeLenInByte = 4976
; TotalNumSgprs: 46
; NumVgprs: 188
; ScratchSize: 0
; MemoryBound: 0
; FloatMode: 240
; IeeeMode: 1
; LDSByteSize: 4096 bytes/workgroup (compile time only)
; SGPRBlocks: 0
; VGPRBlocks: 23
; NumSGPRsForWavesPerEU: 46
; NumVGPRsForWavesPerEU: 188
; Occupancy: 5
; WaveLimiterHint : 1
; COMPUTE_PGM_RSRC2:SCRATCH_EN: 0
; COMPUTE_PGM_RSRC2:USER_SGPR: 6
; COMPUTE_PGM_RSRC2:TRAP_HANDLER: 0
; COMPUTE_PGM_RSRC2:TGID_X_EN: 1
; COMPUTE_PGM_RSRC2:TGID_Y_EN: 1
; COMPUTE_PGM_RSRC2:TGID_Z_EN: 1
; COMPUTE_PGM_RSRC2:TIDIG_COMP_CNT: 1
	.section	.text._ZN12_GLOBAL__N_127rocblas_gemm_batched_kernelI19rocblas_complex_numIfELi16ELi16ELi64ELi64ELi4ELi64ELi4ELi4ELi64ELc67ELc84EKPKS2_S5_KPS2_EEvlllT_PT11_llSA_llS8_PT12_llPT13_lli,"axG",@progbits,_ZN12_GLOBAL__N_127rocblas_gemm_batched_kernelI19rocblas_complex_numIfELi16ELi16ELi64ELi64ELi4ELi64ELi4ELi4ELi64ELc67ELc84EKPKS2_S5_KPS2_EEvlllT_PT11_llSA_llS8_PT12_llPT13_lli,comdat
	.globl	_ZN12_GLOBAL__N_127rocblas_gemm_batched_kernelI19rocblas_complex_numIfELi16ELi16ELi64ELi64ELi4ELi64ELi4ELi4ELi64ELc67ELc84EKPKS2_S5_KPS2_EEvlllT_PT11_llSA_llS8_PT12_llPT13_lli ; -- Begin function _ZN12_GLOBAL__N_127rocblas_gemm_batched_kernelI19rocblas_complex_numIfELi16ELi16ELi64ELi64ELi4ELi64ELi4ELi4ELi64ELc67ELc84EKPKS2_S5_KPS2_EEvlllT_PT11_llSA_llS8_PT12_llPT13_lli
	.p2align	8
	.type	_ZN12_GLOBAL__N_127rocblas_gemm_batched_kernelI19rocblas_complex_numIfELi16ELi16ELi64ELi64ELi4ELi64ELi4ELi4ELi64ELc67ELc84EKPKS2_S5_KPS2_EEvlllT_PT11_llSA_llS8_PT12_llPT13_lli,@function
_ZN12_GLOBAL__N_127rocblas_gemm_batched_kernelI19rocblas_complex_numIfELi16ELi16ELi64ELi64ELi4ELi64ELi4ELi4ELi64ELc67ELc84EKPKS2_S5_KPS2_EEvlllT_PT11_llSA_llS8_PT12_llPT13_lli: ; @_ZN12_GLOBAL__N_127rocblas_gemm_batched_kernelI19rocblas_complex_numIfELi16ELi16ELi64ELi64ELi4ELi64ELi4ELi4ELi64ELc67ELc84EKPKS2_S5_KPS2_EEvlllT_PT11_llSA_llS8_PT12_llPT13_lli
; %bb.0:
	s_clause 0x1
	s_load_dwordx8 s[36:43], s[4:5], 0x58
	s_load_dwordx16 s[12:27], s[4:5], 0x10
	s_mov_b32 s9, 0
	s_clause 0x1
	s_load_dwordx4 s[28:31], s[4:5], 0x78
	s_load_dwordx2 s[2:3], s[4:5], 0x50
	s_lshl_b64 s[0:1], s[8:9], 3
	s_mov_b32 s10, s7
	v_mov_b32_e32 v38, 0
	v_mov_b32_e32 v39, 0
	;; [unrolled: 1-line block ×13, first 2 shown]
	s_waitcnt lgkmcnt(0)
	s_add_u32 s4, s36, s0
	s_addc_u32 s5, s37, s1
	s_add_u32 s8, s42, s0
	s_addc_u32 s9, s43, s1
	s_load_dwordx2 s[4:5], s[4:5], 0x0
	s_load_dwordx2 s[8:9], s[8:9], 0x0
	v_cmp_lt_i64_e64 s33, s[12:13], 1
	v_mov_b32_e32 v27, 0
	v_mov_b32_e32 v24, 0
	;; [unrolled: 1-line block ×19, first 2 shown]
	s_ashr_i32 s7, s6, 31
	s_ashr_i32 s11, s10, 31
	s_lshl_b64 s[6:7], s[6:7], 6
	s_and_b32 vcc_lo, exec_lo, s33
	s_lshl_b64 s[10:11], s[10:11], 6
	s_cbranch_vccnz .LBB240_3
; %bb.1:
	v_lshl_add_u32 v6, v1, 4, v0
	v_and_b32_e32 v7, 3, v0
	s_add_u32 s16, s16, s0
	s_addc_u32 s17, s17, s1
	s_add_u32 s0, s22, s0
	v_lshrrev_b32_e32 v9, 2, v6
	v_and_b32_e32 v10, 63, v6
	s_addc_u32 s1, s23, s1
	v_lshlrev_b32_e32 v13, 3, v7
	s_load_dwordx2 s[16:17], s[16:17], 0x0
	s_load_dwordx2 s[0:1], s[0:1], 0x0
	v_add_co_u32 v2, s33, v9, s10
	v_add_co_ci_u32_e64 v3, null, 0, s11, s33
	v_add_co_u32 v4, s33, s6, v10
	v_add_co_ci_u32_e64 v5, null, s7, 0, s33
	v_mad_u64_u32 v[2:3], null, s24, v7, v[2:3]
	v_mul_lo_u32 v11, s19, v4
	v_mul_lo_u32 v12, s18, v5
	v_mad_u64_u32 v[4:5], null, s18, v4, 0
	v_lshrrev_b32_e32 v14, 6, v6
	s_lshl_b64 s[18:19], s[20:21], 3
	v_lshlrev_b32_e32 v10, 3, v10
	v_mov_b32_e32 v8, 0
	v_lshlrev_b32_e32 v42, 3, v0
	v_lshl_add_u32 v43, v1, 5, 0x800
	v_add3_u32 v5, v5, v12, v11
	v_mad_u64_u32 v[6:7], null, s25, v7, v[3:4]
	v_lshl_or_b32 v3, v9, 5, v13
	v_lshl_or_b32 v40, v14, 9, v10
	v_lshlrev_b64 v[4:5], 3, v[4:5]
	v_mov_b32_e32 v9, 0
	v_mov_b32_e32 v11, 0
	v_add_nc_u32_e32 v41, 0x800, v3
	v_mov_b32_e32 v3, v6
	v_lshlrev_b32_e32 v6, 3, v14
	v_add_co_u32 v4, vcc_lo, v4, s18
	v_add_co_ci_u32_e64 v5, null, s19, v5, vcc_lo
	s_lshl_b64 s[18:19], s[26:27], 3
	v_add_co_u32 v6, vcc_lo, v4, v6
	v_add_co_ci_u32_e64 v7, null, 0, v5, vcc_lo
	v_lshlrev_b64 v[4:5], 3, v[2:3]
	s_waitcnt lgkmcnt(0)
	v_add_co_u32 v2, vcc_lo, s16, v6
	s_add_u32 s0, s0, s18
	v_add_co_ci_u32_e64 v3, null, s17, v7, vcc_lo
	s_addc_u32 s1, s1, s19
	v_add_co_u32 v4, vcc_lo, s0, v4
	v_add_co_ci_u32_e64 v5, null, s1, v5, vcc_lo
	v_mov_b32_e32 v10, 0
	v_mov_b32_e32 v13, 0
	;; [unrolled: 1-line block ×29, first 2 shown]
	s_lshl_b64 s[16:17], s[24:25], 5
	s_mov_b64 s[18:19], 0
.LBB240_2:                              ; =>This Inner Loop Header: Depth=1
	flat_load_dwordx2 v[6:7], v[2:3]
	s_add_u32 s18, s18, 4
	s_addc_u32 s19, s19, 0
	v_add_co_u32 v2, vcc_lo, v2, 32
	v_cmp_lt_i64_e64 s0, s[18:19], s[12:13]
	v_add_co_ci_u32_e64 v3, null, 0, v3, vcc_lo
	s_and_b32 vcc_lo, exec_lo, s0
	s_waitcnt vmcnt(0) lgkmcnt(0)
	v_xor_b32_e32 v7, 0x80000000, v7
	ds_write_b64 v40, v[6:7]
	flat_load_dwordx2 v[6:7], v[4:5]
	v_add_co_u32 v4, s0, v4, s16
	v_add_co_ci_u32_e64 v5, null, s17, v5, s0
	s_waitcnt vmcnt(0) lgkmcnt(0)
	ds_write_b64 v41, v[6:7]
	s_waitcnt lgkmcnt(0)
	s_barrier
	buffer_gl0_inv
	ds_read_b128 v[44:47], v43
	ds_read2_b64 v[48:51], v42 offset1:16
	ds_read_b128 v[52:55], v43 offset:512
	ds_read_b128 v[56:59], v43 offset:16
	;; [unrolled: 1-line block ×7, first 2 shown]
	ds_read2_b64 v[80:83], v42 offset0:32 offset1:48
	ds_read2_b64 v[84:87], v42 offset0:64 offset1:80
	;; [unrolled: 1-line block ×7, first 2 shown]
	s_waitcnt lgkmcnt(0)
	s_barrier
	buffer_gl0_inv
	v_mul_f32_e32 v6, v45, v49
	v_mul_f32_e32 v7, v44, v49
	;; [unrolled: 1-line block ×64, first 2 shown]
	v_fma_f32 v6, v44, v48, -v6
	v_fmac_f32_e32 v7, v45, v48
	v_fma_f32 v108, v44, v50, -v108
	v_fmac_f32_e32 v109, v45, v50
	;; [unrolled: 2-line block ×16, first 2 shown]
	v_mul_f32_e32 v162, v57, v93
	v_mul_f32_e32 v163, v56, v93
	;; [unrolled: 1-line block ×28, first 2 shown]
	v_fma_f32 v124, v46, v84, -v134
	v_fmac_f32_e32 v135, v47, v84
	v_fma_f32 v126, v46, v86, -v136
	v_fmac_f32_e32 v137, v47, v86
	;; [unrolled: 2-line block ×4, first 2 shown]
	v_mul_f32_e32 v47, v77, v97
	v_mul_f32_e32 v97, v76, v97
	;; [unrolled: 1-line block ×4, first 2 shown]
	v_fma_f32 v132, v54, v84, -v142
	v_fmac_f32_e32 v143, v55, v84
	v_fma_f32 v133, v54, v86, -v144
	v_fmac_f32_e32 v145, v55, v86
	;; [unrolled: 2-line block ×4, first 2 shown]
	v_mul_f32_e32 v136, v58, v101
	v_mul_f32_e32 v140, v58, v103
	v_fma_f32 v142, v66, v84, -v150
	v_fmac_f32_e32 v151, v67, v84
	v_fma_f32 v144, v66, v86, -v152
	v_fmac_f32_e32 v153, v67, v86
	;; [unrolled: 2-line block ×4, first 2 shown]
	v_mul_f32_e32 v148, v58, v105
	v_mul_f32_e32 v152, v58, v107
	v_fma_f32 v154, v74, v84, -v158
	v_fmac_f32_e32 v85, v75, v84
	v_fma_f32 v84, v74, v86, -v159
	v_fmac_f32_e32 v87, v75, v86
	;; [unrolled: 2-line block ×4, first 2 shown]
	v_add_f32_e32 v6, v38, v6
	v_add_f32_e32 v7, v39, v7
	;; [unrolled: 1-line block ×32, first 2 shown]
	v_mul_f32_e32 v55, v59, v101
	v_mul_f32_e32 v138, v59, v103
	;; [unrolled: 1-line block ×16, first 2 shown]
	v_fma_f32 v162, v56, v92, -v162
	v_fmac_f32_e32 v163, v57, v92
	v_fma_f32 v164, v56, v94, -v164
	v_fmac_f32_e32 v165, v57, v94
	;; [unrolled: 2-line block ×8, first 2 shown]
	v_mul_f32_e32 v94, v71, v105
	v_mul_f32_e32 v175, v70, v105
	;; [unrolled: 1-line block ×4, first 2 shown]
	v_fma_f32 v176, v56, v96, -v176
	v_fmac_f32_e32 v177, v57, v96
	v_fma_f32 v56, v56, v98, -v178
	v_fmac_f32_e32 v179, v57, v98
	;; [unrolled: 2-line block ×8, first 2 shown]
	v_mul_f32_e32 v69, v79, v101
	v_mul_f32_e32 v73, v78, v101
	;; [unrolled: 1-line block ×4, first 2 shown]
	v_fmac_f32_e32 v136, v59, v100
	v_fmac_f32_e32 v140, v59, v102
	;; [unrolled: 1-line block ×4, first 2 shown]
	v_mul_f32_e32 v59, v79, v105
	v_mul_f32_e32 v96, v78, v105
	;; [unrolled: 1-line block ×4, first 2 shown]
	v_add_f32_e32 v6, v6, v124
	v_add_f32_e32 v7, v7, v135
	v_add_f32_e32 v36, v36, v126
	v_add_f32_e32 v37, v37, v137
	v_add_f32_e32 v34, v34, v128
	v_add_f32_e32 v35, v35, v139
	v_add_f32_e32 v32, v32, v46
	v_add_f32_e32 v33, v33, v141
	v_add_f32_e32 v30, v30, v132
	v_add_f32_e32 v31, v31, v143
	v_add_f32_e32 v28, v28, v133
	v_add_f32_e32 v29, v29, v145
	v_add_f32_e32 v26, v26, v134
	v_add_f32_e32 v27, v27, v147
	v_add_f32_e32 v24, v24, v54
	v_add_f32_e32 v25, v25, v149
	v_add_f32_e32 v22, v22, v142
	v_add_f32_e32 v23, v23, v151
	v_add_f32_e32 v20, v20, v144
	v_add_f32_e32 v21, v21, v153
	v_add_f32_e32 v18, v18, v146
	v_add_f32_e32 v19, v19, v155
	v_add_f32_e32 v16, v16, v66
	v_add_f32_e32 v17, v17, v157
	v_add_f32_e32 v14, v14, v154
	v_add_f32_e32 v15, v15, v85
	v_add_f32_e32 v12, v12, v84
	v_add_f32_e32 v13, v13, v87
	v_add_f32_e32 v10, v10, v160
	v_add_f32_e32 v11, v11, v89
	v_add_f32_e32 v9, v9, v74
	v_add_f32_e32 v8, v8, v91
	v_fma_f32 v55, v58, v100, -v55
	v_fma_f32 v82, v58, v102, -v138
	;; [unrolled: 1-line block ×5, first 2 shown]
	v_fmac_f32_e32 v156, v63, v100
	v_fma_f32 v103, v62, v102, -v158
	v_fmac_f32_e32 v159, v63, v102
	v_fma_f32 v75, v62, v104, -v75
	;; [unrolled: 2-line block ×11, first 2 shown]
	v_fmac_f32_e32 v101, v79, v106
	v_add_f32_e32 v6, v6, v162
	v_add_f32_e32 v7, v7, v163
	;; [unrolled: 1-line block ×64, first 2 shown]
	s_cbranch_vccnz .LBB240_2
.LBB240_3:
	s_lshl_b64 s[0:1], s[30:31], 3
	s_waitcnt lgkmcnt(0)
	s_add_u32 s8, s8, s0
	s_addc_u32 s9, s9, s1
	v_add_co_u32 v4, s1, s10, v1
	v_add_co_ci_u32_e64 v5, null, s11, 0, s1
	v_add_co_u32 v0, s1, s6, v0
	s_or_b32 s0, s2, s3
	v_add_co_ci_u32_e64 v1, null, s7, 0, s1
	s_bitset0_b32 s0, 31
	s_mov_b32 s6, 0
	s_cmp_lg_u32 s0, 0
	s_cbranch_scc1 .LBB240_5
; %bb.4:
	v_mul_lo_u32 v6, v5, s28
	v_mul_lo_u32 v40, v4, s29
	v_mad_u64_u32 v[2:3], null, v4, s28, 0
	v_mul_f32_e32 v42, s15, v39
	v_mul_f32_e32 v7, s14, v39
	;; [unrolled: 1-line block ×6, first 2 shown]
	v_add3_u32 v3, v3, v40, v6
	v_lshlrev_b64 v[40:41], 3, v[0:1]
	v_mul_f32_e32 v48, s15, v33
	v_mul_f32_e32 v47, s14, v33
	v_fma_f32 v6, v38, s14, -v42
	v_lshlrev_b64 v[2:3], 3, v[2:3]
	v_fmac_f32_e32 v7, s15, v38
	v_fma_f32 v42, v36, s14, -v44
	v_fmac_f32_e32 v43, s15, v36
	s_lshl_b64 s[0:1], s[28:29], 7
	v_fma_f32 v44, v34, s14, -v46
	v_add_co_u32 v49, vcc_lo, s8, v2
	v_add_co_ci_u32_e64 v50, null, s9, v3, vcc_lo
	v_fmac_f32_e32 v45, s15, v34
	v_add_co_u32 v2, vcc_lo, v49, v40
	v_add_co_ci_u32_e64 v3, null, v50, v41, vcc_lo
	v_fma_f32 v46, v32, s14, -v48
	v_fmac_f32_e32 v47, s15, v32
	v_add_co_u32 v48, vcc_lo, v49, s0
	flat_store_dwordx2 v[2:3], v[6:7]
	flat_store_dwordx2 v[2:3], v[42:43] offset:128
	flat_store_dwordx2 v[2:3], v[44:45] offset:256
	;; [unrolled: 1-line block ×3, first 2 shown]
	v_mul_f32_e32 v2, s15, v31
	v_mul_f32_e32 v3, s14, v31
	v_add_co_ci_u32_e64 v49, null, s1, v50, vcc_lo
	v_mul_f32_e32 v6, s15, v29
	v_mul_f32_e32 v7, s14, v29
	;; [unrolled: 1-line block ×4, first 2 shown]
	v_add_co_u32 v44, vcc_lo, v48, v40
	v_fma_f32 v2, v30, s14, -v2
	v_fmac_f32_e32 v3, s15, v30
	v_add_co_ci_u32_e64 v45, null, v49, v41, vcc_lo
	v_fma_f32 v6, v28, s14, -v6
	v_fmac_f32_e32 v7, s15, v28
	v_fma_f32 v42, v26, s14, -v42
	v_fmac_f32_e32 v43, s15, v26
	v_add_co_u32 v52, vcc_lo, v48, s0
	v_mul_f32_e32 v46, s15, v25
	v_mul_f32_e32 v47, s14, v25
	flat_store_dwordx2 v[44:45], v[2:3]
	flat_store_dwordx2 v[44:45], v[6:7] offset:128
	flat_store_dwordx2 v[44:45], v[42:43] offset:256
	v_mul_f32_e32 v2, s15, v23
	v_mul_f32_e32 v3, s14, v23
	v_add_co_ci_u32_e64 v53, null, s1, v49, vcc_lo
	v_mul_f32_e32 v42, s15, v21
	v_mul_f32_e32 v43, s14, v21
	;; [unrolled: 1-line block ×4, first 2 shown]
	v_add_co_u32 v6, vcc_lo, v52, v40
	v_mul_f32_e32 v50, s15, v17
	v_mul_f32_e32 v51, s14, v17
	v_fma_f32 v46, v24, s14, -v46
	v_fmac_f32_e32 v47, s15, v24
	v_fma_f32 v2, v22, s14, -v2
	v_fmac_f32_e32 v3, s15, v22
	v_add_co_ci_u32_e64 v7, null, v53, v41, vcc_lo
	v_fma_f32 v42, v20, s14, -v42
	v_fmac_f32_e32 v43, s15, v20
	v_fma_f32 v48, v18, s14, -v48
	v_fmac_f32_e32 v49, s15, v18
	;; [unrolled: 2-line block ×3, first 2 shown]
	flat_store_dwordx2 v[44:45], v[46:47] offset:384
	flat_store_dwordx2 v[6:7], v[2:3]
	flat_store_dwordx2 v[6:7], v[42:43] offset:128
	flat_store_dwordx2 v[6:7], v[48:49] offset:256
	;; [unrolled: 1-line block ×3, first 2 shown]
	v_mul_f32_e32 v2, s15, v15
	v_add_co_u32 v3, vcc_lo, v52, s0
	v_add_co_ci_u32_e64 v6, null, s1, v53, vcc_lo
	v_fma_f32 v42, v14, s14, -v2
	v_mul_f32_e32 v2, s15, v13
	v_add_co_u32 v40, vcc_lo, v3, v40
	v_mul_f32_e32 v43, s14, v15
	v_add_co_ci_u32_e64 v41, null, v6, v41, vcc_lo
	v_fma_f32 v44, v12, s14, -v2
	v_mul_f32_e32 v2, s15, v11
	v_mul_f32_e32 v3, s15, v8
	;; [unrolled: 1-line block ×5, first 2 shown]
	v_fma_f32 v46, v10, s14, -v2
	v_add_co_u32 v2, vcc_lo, 0x180, v40
	v_fmac_f32_e32 v43, s15, v14
	v_fma_f32 v7, v9, s14, -v3
	v_fmac_f32_e32 v6, s15, v9
	v_add_co_ci_u32_e64 v3, null, 0, v41, vcc_lo
	v_fmac_f32_e32 v45, s15, v12
	v_fmac_f32_e32 v47, s15, v10
	flat_store_dwordx2 v[40:41], v[42:43]
	flat_store_dwordx2 v[40:41], v[44:45] offset:128
	flat_store_dwordx2 v[40:41], v[46:47] offset:256
	flat_store_dword v[40:41], v7 offset:384
	s_andn2_b32 vcc_lo, exec_lo, s6
	s_cbranch_vccz .LBB240_6
	s_branch .LBB240_7
.LBB240_5:
                                        ; implicit-def: $vgpr6
                                        ; implicit-def: $vgpr2_vgpr3
.LBB240_6:
	v_mul_lo_u32 v6, v5, s38
	v_mul_lo_u32 v7, v4, s39
	v_mad_u64_u32 v[2:3], null, v4, s38, 0
	s_lshl_b64 s[0:1], s[40:41], 3
	v_lshlrev_b64 v[0:1], 3, v[0:1]
	s_add_u32 s0, s4, s0
	s_addc_u32 s1, s5, s1
	v_mul_lo_u32 v42, v5, s28
	v_mul_lo_u32 v43, v4, s29
	v_add3_u32 v3, v3, v7, v6
	v_mad_u64_u32 v[4:5], null, v4, s28, 0
	s_lshl_b64 s[4:5], s[28:29], 7
	v_lshlrev_b64 v[2:3], 3, v[2:3]
	v_add3_u32 v5, v5, v43, v42
	v_mul_f32_e32 v42, s15, v39
	v_add_co_u32 v40, vcc_lo, s0, v2
	v_add_co_ci_u32_e64 v41, null, s1, v3, vcc_lo
	v_mul_f32_e32 v39, s14, v39
	v_add_co_u32 v2, vcc_lo, v40, v0
	v_add_co_ci_u32_e64 v3, null, v41, v1, vcc_lo
	v_lshlrev_b64 v[4:5], 3, v[4:5]
	v_fma_f32 v42, v38, s14, -v42
	v_fmac_f32_e32 v39, s15, v38
	flat_load_dwordx2 v[6:7], v[2:3]
	s_lshl_b64 s[0:1], s[38:39], 7
	v_add_co_u32 v43, vcc_lo, s8, v4
	v_add_co_ci_u32_e64 v44, null, s9, v5, vcc_lo
	v_add_co_u32 v4, vcc_lo, v43, v0
	v_add_co_ci_u32_e64 v5, null, v44, v1, vcc_lo
	s_waitcnt vmcnt(0) lgkmcnt(0)
	v_mul_f32_e32 v38, s3, v7
	v_mul_f32_e32 v7, s2, v7
	v_fma_f32 v38, v6, s2, -v38
	v_fmac_f32_e32 v7, s3, v6
	v_add_f32_e32 v6, v42, v38
	v_add_f32_e32 v7, v39, v7
	v_mul_f32_e32 v38, s15, v37
	v_mul_f32_e32 v37, s14, v37
	flat_store_dwordx2 v[4:5], v[6:7]
	flat_load_dwordx2 v[6:7], v[2:3] offset:128
	v_fma_f32 v38, v36, s14, -v38
	v_fmac_f32_e32 v37, s15, v36
	s_waitcnt vmcnt(0) lgkmcnt(0)
	v_mul_f32_e32 v39, s3, v7
	v_mul_f32_e32 v7, s2, v7
	v_fma_f32 v36, v6, s2, -v39
	v_fmac_f32_e32 v7, s3, v6
	v_add_f32_e32 v6, v38, v36
	v_add_f32_e32 v7, v37, v7
	v_mul_f32_e32 v36, s15, v35
	v_mul_f32_e32 v35, s14, v35
	flat_store_dwordx2 v[4:5], v[6:7] offset:128
	flat_load_dwordx2 v[6:7], v[2:3] offset:256
	v_fma_f32 v36, v34, s14, -v36
	v_fmac_f32_e32 v35, s15, v34
	s_waitcnt vmcnt(0) lgkmcnt(0)
	v_mul_f32_e32 v37, s3, v7
	v_mul_f32_e32 v7, s2, v7
	v_fma_f32 v34, v6, s2, -v37
	v_fmac_f32_e32 v7, s3, v6
	v_add_f32_e32 v6, v36, v34
	v_add_f32_e32 v7, v35, v7
	flat_store_dwordx2 v[4:5], v[6:7] offset:256
	flat_load_dwordx2 v[2:3], v[2:3] offset:384
	v_mul_f32_e32 v6, s15, v33
	v_mul_f32_e32 v7, s14, v33
	v_fma_f32 v6, v32, s14, -v6
	v_fmac_f32_e32 v7, s15, v32
	s_waitcnt vmcnt(0) lgkmcnt(0)
	v_mul_f32_e32 v33, s3, v3
	v_mul_f32_e32 v3, s2, v3
	v_fma_f32 v32, v2, s2, -v33
	v_add_co_u32 v33, vcc_lo, v40, s0
	v_fmac_f32_e32 v3, s3, v2
	v_add_co_ci_u32_e64 v34, null, s1, v41, vcc_lo
	v_add_f32_e32 v2, v6, v32
	v_add_co_u32 v6, vcc_lo, v33, v0
	v_add_f32_e32 v3, v7, v3
	v_add_co_ci_u32_e64 v7, null, v34, v1, vcc_lo
	v_add_co_u32 v32, vcc_lo, v43, s4
	flat_store_dwordx2 v[4:5], v[2:3] offset:384
	flat_load_dwordx2 v[2:3], v[6:7]
	v_mul_f32_e32 v4, s15, v31
	v_mul_f32_e32 v5, s14, v31
	v_add_co_ci_u32_e64 v35, null, s5, v44, vcc_lo
	v_fma_f32 v4, v30, s14, -v4
	v_fmac_f32_e32 v5, s15, v30
	s_waitcnt vmcnt(0) lgkmcnt(0)
	v_mul_f32_e32 v30, s3, v3
	v_mul_f32_e32 v31, s2, v3
	v_fma_f32 v30, v2, s2, -v30
	v_fmac_f32_e32 v31, s3, v2
	v_add_co_u32 v2, vcc_lo, v32, v0
	v_add_co_ci_u32_e64 v3, null, v35, v1, vcc_lo
	v_add_f32_e32 v4, v4, v30
	v_add_f32_e32 v5, v5, v31
	v_mul_f32_e32 v30, s15, v29
	v_mul_f32_e32 v29, s14, v29
	flat_store_dwordx2 v[2:3], v[4:5]
	flat_load_dwordx2 v[4:5], v[6:7] offset:128
	v_fma_f32 v30, v28, s14, -v30
	v_fmac_f32_e32 v29, s15, v28
	s_waitcnt vmcnt(0) lgkmcnt(0)
	v_mul_f32_e32 v31, s3, v5
	v_mul_f32_e32 v5, s2, v5
	v_fma_f32 v28, v4, s2, -v31
	v_fmac_f32_e32 v5, s3, v4
	v_add_f32_e32 v4, v30, v28
	v_add_f32_e32 v5, v29, v5
	v_mul_f32_e32 v28, s15, v27
	v_mul_f32_e32 v27, s14, v27
	flat_store_dwordx2 v[2:3], v[4:5] offset:128
	flat_load_dwordx2 v[4:5], v[6:7] offset:256
	v_fma_f32 v28, v26, s14, -v28
	v_fmac_f32_e32 v27, s15, v26
	s_waitcnt vmcnt(0) lgkmcnt(0)
	v_mul_f32_e32 v29, s3, v5
	v_mul_f32_e32 v5, s2, v5
	v_fma_f32 v26, v4, s2, -v29
	v_fmac_f32_e32 v5, s3, v4
	v_add_f32_e32 v4, v28, v26
	v_add_f32_e32 v5, v27, v5
	flat_store_dwordx2 v[2:3], v[4:5] offset:256
	flat_load_dwordx2 v[4:5], v[6:7] offset:384
	v_mul_f32_e32 v6, s15, v25
	v_mul_f32_e32 v7, s14, v25
	v_fma_f32 v6, v24, s14, -v6
	v_fmac_f32_e32 v7, s15, v24
	s_waitcnt vmcnt(0) lgkmcnt(0)
	v_mul_f32_e32 v25, s3, v5
	v_mul_f32_e32 v5, s2, v5
	v_fma_f32 v24, v4, s2, -v25
	v_add_co_u32 v25, vcc_lo, v33, s0
	v_fmac_f32_e32 v5, s3, v4
	v_add_co_ci_u32_e64 v26, null, s1, v34, vcc_lo
	v_add_f32_e32 v4, v6, v24
	v_add_co_u32 v6, vcc_lo, v25, v0
	v_add_f32_e32 v5, v7, v5
	v_add_co_ci_u32_e64 v7, null, v26, v1, vcc_lo
	v_add_co_u32 v24, vcc_lo, v32, s4
	flat_store_dwordx2 v[2:3], v[4:5] offset:384
	flat_load_dwordx2 v[2:3], v[6:7]
	v_mul_f32_e32 v4, s15, v23
	v_mul_f32_e32 v5, s14, v23
	v_add_co_ci_u32_e64 v27, null, s5, v35, vcc_lo
	v_fma_f32 v4, v22, s14, -v4
	v_fmac_f32_e32 v5, s15, v22
	s_waitcnt vmcnt(0) lgkmcnt(0)
	v_mul_f32_e32 v22, s3, v3
	v_mul_f32_e32 v23, s2, v3
	v_fma_f32 v22, v2, s2, -v22
	v_fmac_f32_e32 v23, s3, v2
	v_add_co_u32 v2, vcc_lo, v24, v0
	v_add_co_ci_u32_e64 v3, null, v27, v1, vcc_lo
	v_add_f32_e32 v4, v4, v22
	v_add_f32_e32 v5, v5, v23
	v_mul_f32_e32 v22, s15, v21
	v_mul_f32_e32 v21, s14, v21
	flat_store_dwordx2 v[2:3], v[4:5]
	flat_load_dwordx2 v[4:5], v[6:7] offset:128
	v_fma_f32 v22, v20, s14, -v22
	v_fmac_f32_e32 v21, s15, v20
	s_waitcnt vmcnt(0) lgkmcnt(0)
	v_mul_f32_e32 v23, s3, v5
	v_mul_f32_e32 v5, s2, v5
	v_fma_f32 v20, v4, s2, -v23
	v_fmac_f32_e32 v5, s3, v4
	v_add_f32_e32 v4, v22, v20
	v_add_f32_e32 v5, v21, v5
	v_mul_f32_e32 v20, s15, v19
	v_mul_f32_e32 v19, s14, v19
	flat_store_dwordx2 v[2:3], v[4:5] offset:128
	flat_load_dwordx2 v[4:5], v[6:7] offset:256
	v_fma_f32 v20, v18, s14, -v20
	v_fmac_f32_e32 v19, s15, v18
	s_waitcnt vmcnt(0) lgkmcnt(0)
	v_mul_f32_e32 v21, s3, v5
	v_mul_f32_e32 v5, s2, v5
	v_fma_f32 v18, v4, s2, -v21
	v_fmac_f32_e32 v5, s3, v4
	v_add_f32_e32 v4, v20, v18
	v_add_f32_e32 v5, v19, v5
	flat_store_dwordx2 v[2:3], v[4:5] offset:256
	flat_load_dwordx2 v[4:5], v[6:7] offset:384
	v_mul_f32_e32 v6, s15, v17
	v_mul_f32_e32 v7, s14, v17
	v_fma_f32 v6, v16, s14, -v6
	v_fmac_f32_e32 v7, s15, v16
	s_waitcnt vmcnt(0) lgkmcnt(0)
	v_mul_f32_e32 v17, s3, v5
	v_mul_f32_e32 v5, s2, v5
	v_fma_f32 v16, v4, s2, -v17
	v_add_co_u32 v17, vcc_lo, v25, s0
	v_fmac_f32_e32 v5, s3, v4
	v_add_co_ci_u32_e64 v18, null, s1, v26, vcc_lo
	v_add_f32_e32 v4, v6, v16
	v_add_co_u32 v6, vcc_lo, v17, v0
	v_add_f32_e32 v5, v7, v5
	v_add_co_ci_u32_e64 v7, null, v18, v1, vcc_lo
	flat_store_dwordx2 v[2:3], v[4:5] offset:384
	flat_load_dwordx2 v[2:3], v[6:7]
	v_mul_f32_e32 v4, s15, v15
	v_mul_f32_e32 v5, s14, v15
	v_add_co_u32 v15, vcc_lo, v24, s4
	v_add_co_ci_u32_e64 v16, null, s5, v27, vcc_lo
	v_fma_f32 v4, v14, s14, -v4
	v_fmac_f32_e32 v5, s15, v14
	v_add_co_u32 v0, vcc_lo, v15, v0
	v_add_co_ci_u32_e64 v1, null, v16, v1, vcc_lo
	s_waitcnt vmcnt(0) lgkmcnt(0)
	v_mul_f32_e32 v14, s3, v3
	v_mul_f32_e32 v3, s2, v3
	v_fma_f32 v14, v2, s2, -v14
	v_fmac_f32_e32 v3, s3, v2
	v_add_f32_e32 v2, v4, v14
	v_add_f32_e32 v3, v5, v3
	v_mul_f32_e32 v4, s15, v13
	v_mul_f32_e32 v5, s14, v13
	flat_store_dwordx2 v[0:1], v[2:3]
	flat_load_dwordx2 v[2:3], v[6:7] offset:128
	v_fma_f32 v4, v12, s14, -v4
	v_fmac_f32_e32 v5, s15, v12
	s_waitcnt vmcnt(0) lgkmcnt(0)
	v_mul_f32_e32 v13, s3, v3
	v_mul_f32_e32 v3, s2, v3
	v_fma_f32 v12, v2, s2, -v13
	v_fmac_f32_e32 v3, s3, v2
	v_add_f32_e32 v2, v4, v12
	v_add_f32_e32 v3, v5, v3
	v_mul_f32_e32 v4, s15, v11
	v_mul_f32_e32 v5, s14, v11
	flat_store_dwordx2 v[0:1], v[2:3] offset:128
	flat_load_dwordx2 v[2:3], v[6:7] offset:256
	v_fma_f32 v4, v10, s14, -v4
	v_fmac_f32_e32 v5, s15, v10
	s_waitcnt vmcnt(0) lgkmcnt(0)
	v_mul_f32_e32 v11, s3, v3
	v_mul_f32_e32 v3, s2, v3
	v_fma_f32 v10, v2, s2, -v11
	v_fmac_f32_e32 v3, s3, v2
	v_add_f32_e32 v2, v4, v10
	v_add_f32_e32 v3, v5, v3
	v_mul_f32_e32 v4, s15, v8
	v_mul_f32_e32 v5, s14, v8
	flat_store_dwordx2 v[0:1], v[2:3] offset:256
	flat_load_dwordx2 v[2:3], v[6:7] offset:384
	v_fma_f32 v4, v9, s14, -v4
	v_fmac_f32_e32 v5, s15, v9
	s_waitcnt vmcnt(0) lgkmcnt(0)
	v_mul_f32_e32 v6, s3, v3
	v_mul_f32_e32 v3, s2, v3
	v_fma_f32 v6, v2, s2, -v6
	v_fmac_f32_e32 v3, s3, v2
	v_add_co_u32 v2, vcc_lo, 0x180, v0
	v_add_f32_e32 v4, v4, v6
	v_add_f32_e32 v6, v5, v3
	v_add_co_ci_u32_e64 v3, null, 0, v1, vcc_lo
	flat_store_dword v[0:1], v4 offset:384
.LBB240_7:
	flat_store_dword v[2:3], v6 offset:4
	s_endpgm
	.section	.rodata,"a",@progbits
	.p2align	6, 0x0
	.amdhsa_kernel _ZN12_GLOBAL__N_127rocblas_gemm_batched_kernelI19rocblas_complex_numIfELi16ELi16ELi64ELi64ELi4ELi64ELi4ELi4ELi64ELc67ELc84EKPKS2_S5_KPS2_EEvlllT_PT11_llSA_llS8_PT12_llPT13_lli
		.amdhsa_group_segment_fixed_size 4096
		.amdhsa_private_segment_fixed_size 0
		.amdhsa_kernarg_size 140
		.amdhsa_user_sgpr_count 6
		.amdhsa_user_sgpr_private_segment_buffer 1
		.amdhsa_user_sgpr_dispatch_ptr 0
		.amdhsa_user_sgpr_queue_ptr 0
		.amdhsa_user_sgpr_kernarg_segment_ptr 1
		.amdhsa_user_sgpr_dispatch_id 0
		.amdhsa_user_sgpr_flat_scratch_init 0
		.amdhsa_user_sgpr_private_segment_size 0
		.amdhsa_wavefront_size32 1
		.amdhsa_uses_dynamic_stack 0
		.amdhsa_system_sgpr_private_segment_wavefront_offset 0
		.amdhsa_system_sgpr_workgroup_id_x 1
		.amdhsa_system_sgpr_workgroup_id_y 1
		.amdhsa_system_sgpr_workgroup_id_z 1
		.amdhsa_system_sgpr_workgroup_info 0
		.amdhsa_system_vgpr_workitem_id 1
		.amdhsa_next_free_vgpr 188
		.amdhsa_next_free_sgpr 44
		.amdhsa_reserve_vcc 1
		.amdhsa_reserve_flat_scratch 0
		.amdhsa_float_round_mode_32 0
		.amdhsa_float_round_mode_16_64 0
		.amdhsa_float_denorm_mode_32 3
		.amdhsa_float_denorm_mode_16_64 3
		.amdhsa_dx10_clamp 1
		.amdhsa_ieee_mode 1
		.amdhsa_fp16_overflow 0
		.amdhsa_workgroup_processor_mode 1
		.amdhsa_memory_ordered 1
		.amdhsa_forward_progress 1
		.amdhsa_shared_vgpr_count 0
		.amdhsa_exception_fp_ieee_invalid_op 0
		.amdhsa_exception_fp_denorm_src 0
		.amdhsa_exception_fp_ieee_div_zero 0
		.amdhsa_exception_fp_ieee_overflow 0
		.amdhsa_exception_fp_ieee_underflow 0
		.amdhsa_exception_fp_ieee_inexact 0
		.amdhsa_exception_int_div_zero 0
	.end_amdhsa_kernel
	.section	.text._ZN12_GLOBAL__N_127rocblas_gemm_batched_kernelI19rocblas_complex_numIfELi16ELi16ELi64ELi64ELi4ELi64ELi4ELi4ELi64ELc67ELc84EKPKS2_S5_KPS2_EEvlllT_PT11_llSA_llS8_PT12_llPT13_lli,"axG",@progbits,_ZN12_GLOBAL__N_127rocblas_gemm_batched_kernelI19rocblas_complex_numIfELi16ELi16ELi64ELi64ELi4ELi64ELi4ELi4ELi64ELc67ELc84EKPKS2_S5_KPS2_EEvlllT_PT11_llSA_llS8_PT12_llPT13_lli,comdat
.Lfunc_end240:
	.size	_ZN12_GLOBAL__N_127rocblas_gemm_batched_kernelI19rocblas_complex_numIfELi16ELi16ELi64ELi64ELi4ELi64ELi4ELi4ELi64ELc67ELc84EKPKS2_S5_KPS2_EEvlllT_PT11_llSA_llS8_PT12_llPT13_lli, .Lfunc_end240-_ZN12_GLOBAL__N_127rocblas_gemm_batched_kernelI19rocblas_complex_numIfELi16ELi16ELi64ELi64ELi4ELi64ELi4ELi4ELi64ELc67ELc84EKPKS2_S5_KPS2_EEvlllT_PT11_llSA_llS8_PT12_llPT13_lli
                                        ; -- End function
	.set _ZN12_GLOBAL__N_127rocblas_gemm_batched_kernelI19rocblas_complex_numIfELi16ELi16ELi64ELi64ELi4ELi64ELi4ELi4ELi64ELc67ELc84EKPKS2_S5_KPS2_EEvlllT_PT11_llSA_llS8_PT12_llPT13_lli.num_vgpr, 188
	.set _ZN12_GLOBAL__N_127rocblas_gemm_batched_kernelI19rocblas_complex_numIfELi16ELi16ELi64ELi64ELi4ELi64ELi4ELi4ELi64ELc67ELc84EKPKS2_S5_KPS2_EEvlllT_PT11_llSA_llS8_PT12_llPT13_lli.num_agpr, 0
	.set _ZN12_GLOBAL__N_127rocblas_gemm_batched_kernelI19rocblas_complex_numIfELi16ELi16ELi64ELi64ELi4ELi64ELi4ELi4ELi64ELc67ELc84EKPKS2_S5_KPS2_EEvlllT_PT11_llSA_llS8_PT12_llPT13_lli.numbered_sgpr, 44
	.set _ZN12_GLOBAL__N_127rocblas_gemm_batched_kernelI19rocblas_complex_numIfELi16ELi16ELi64ELi64ELi4ELi64ELi4ELi4ELi64ELc67ELc84EKPKS2_S5_KPS2_EEvlllT_PT11_llSA_llS8_PT12_llPT13_lli.num_named_barrier, 0
	.set _ZN12_GLOBAL__N_127rocblas_gemm_batched_kernelI19rocblas_complex_numIfELi16ELi16ELi64ELi64ELi4ELi64ELi4ELi4ELi64ELc67ELc84EKPKS2_S5_KPS2_EEvlllT_PT11_llSA_llS8_PT12_llPT13_lli.private_seg_size, 0
	.set _ZN12_GLOBAL__N_127rocblas_gemm_batched_kernelI19rocblas_complex_numIfELi16ELi16ELi64ELi64ELi4ELi64ELi4ELi4ELi64ELc67ELc84EKPKS2_S5_KPS2_EEvlllT_PT11_llSA_llS8_PT12_llPT13_lli.uses_vcc, 1
	.set _ZN12_GLOBAL__N_127rocblas_gemm_batched_kernelI19rocblas_complex_numIfELi16ELi16ELi64ELi64ELi4ELi64ELi4ELi4ELi64ELc67ELc84EKPKS2_S5_KPS2_EEvlllT_PT11_llSA_llS8_PT12_llPT13_lli.uses_flat_scratch, 0
	.set _ZN12_GLOBAL__N_127rocblas_gemm_batched_kernelI19rocblas_complex_numIfELi16ELi16ELi64ELi64ELi4ELi64ELi4ELi4ELi64ELc67ELc84EKPKS2_S5_KPS2_EEvlllT_PT11_llSA_llS8_PT12_llPT13_lli.has_dyn_sized_stack, 0
	.set _ZN12_GLOBAL__N_127rocblas_gemm_batched_kernelI19rocblas_complex_numIfELi16ELi16ELi64ELi64ELi4ELi64ELi4ELi4ELi64ELc67ELc84EKPKS2_S5_KPS2_EEvlllT_PT11_llSA_llS8_PT12_llPT13_lli.has_recursion, 0
	.set _ZN12_GLOBAL__N_127rocblas_gemm_batched_kernelI19rocblas_complex_numIfELi16ELi16ELi64ELi64ELi4ELi64ELi4ELi4ELi64ELc67ELc84EKPKS2_S5_KPS2_EEvlllT_PT11_llSA_llS8_PT12_llPT13_lli.has_indirect_call, 0
	.section	.AMDGPU.csdata,"",@progbits
; Kernel info:
; codeLenInByte = 4944
; TotalNumSgprs: 46
; NumVgprs: 188
; ScratchSize: 0
; MemoryBound: 0
; FloatMode: 240
; IeeeMode: 1
; LDSByteSize: 4096 bytes/workgroup (compile time only)
; SGPRBlocks: 0
; VGPRBlocks: 23
; NumSGPRsForWavesPerEU: 46
; NumVGPRsForWavesPerEU: 188
; Occupancy: 5
; WaveLimiterHint : 1
; COMPUTE_PGM_RSRC2:SCRATCH_EN: 0
; COMPUTE_PGM_RSRC2:USER_SGPR: 6
; COMPUTE_PGM_RSRC2:TRAP_HANDLER: 0
; COMPUTE_PGM_RSRC2:TGID_X_EN: 1
; COMPUTE_PGM_RSRC2:TGID_Y_EN: 1
; COMPUTE_PGM_RSRC2:TGID_Z_EN: 1
; COMPUTE_PGM_RSRC2:TIDIG_COMP_CNT: 1
	.section	.text._ZN12_GLOBAL__N_127rocblas_gemm_batched_kernelI19rocblas_complex_numIfELi16ELi16ELi64ELi64ELi4ELi64ELi4ELi4ELi64ELc78ELc67EKPKS2_S5_KPS2_EEvlllT_PT11_llSA_llS8_PT12_llPT13_lli,"axG",@progbits,_ZN12_GLOBAL__N_127rocblas_gemm_batched_kernelI19rocblas_complex_numIfELi16ELi16ELi64ELi64ELi4ELi64ELi4ELi4ELi64ELc78ELc67EKPKS2_S5_KPS2_EEvlllT_PT11_llSA_llS8_PT12_llPT13_lli,comdat
	.globl	_ZN12_GLOBAL__N_127rocblas_gemm_batched_kernelI19rocblas_complex_numIfELi16ELi16ELi64ELi64ELi4ELi64ELi4ELi4ELi64ELc78ELc67EKPKS2_S5_KPS2_EEvlllT_PT11_llSA_llS8_PT12_llPT13_lli ; -- Begin function _ZN12_GLOBAL__N_127rocblas_gemm_batched_kernelI19rocblas_complex_numIfELi16ELi16ELi64ELi64ELi4ELi64ELi4ELi4ELi64ELc78ELc67EKPKS2_S5_KPS2_EEvlllT_PT11_llSA_llS8_PT12_llPT13_lli
	.p2align	8
	.type	_ZN12_GLOBAL__N_127rocblas_gemm_batched_kernelI19rocblas_complex_numIfELi16ELi16ELi64ELi64ELi4ELi64ELi4ELi4ELi64ELc78ELc67EKPKS2_S5_KPS2_EEvlllT_PT11_llSA_llS8_PT12_llPT13_lli,@function
_ZN12_GLOBAL__N_127rocblas_gemm_batched_kernelI19rocblas_complex_numIfELi16ELi16ELi64ELi64ELi4ELi64ELi4ELi4ELi64ELc78ELc67EKPKS2_S5_KPS2_EEvlllT_PT11_llSA_llS8_PT12_llPT13_lli: ; @_ZN12_GLOBAL__N_127rocblas_gemm_batched_kernelI19rocblas_complex_numIfELi16ELi16ELi64ELi64ELi4ELi64ELi4ELi4ELi64ELc78ELc67EKPKS2_S5_KPS2_EEvlllT_PT11_llSA_llS8_PT12_llPT13_lli
; %bb.0:
	s_clause 0x1
	s_load_dwordx8 s[36:43], s[4:5], 0x58
	s_load_dwordx16 s[12:27], s[4:5], 0x10
	s_mov_b32 s9, 0
	s_clause 0x1
	s_load_dwordx4 s[28:31], s[4:5], 0x78
	s_load_dwordx2 s[2:3], s[4:5], 0x50
	s_lshl_b64 s[0:1], s[8:9], 3
	s_mov_b32 s10, s7
	v_mov_b32_e32 v38, 0
	v_mov_b32_e32 v39, 0
	;; [unrolled: 1-line block ×13, first 2 shown]
	s_waitcnt lgkmcnt(0)
	s_add_u32 s4, s36, s0
	s_addc_u32 s5, s37, s1
	s_add_u32 s8, s42, s0
	s_addc_u32 s9, s43, s1
	s_load_dwordx2 s[4:5], s[4:5], 0x0
	s_load_dwordx2 s[8:9], s[8:9], 0x0
	v_cmp_lt_i64_e64 s33, s[12:13], 1
	v_mov_b32_e32 v27, 0
	v_mov_b32_e32 v24, 0
	;; [unrolled: 1-line block ×19, first 2 shown]
	s_ashr_i32 s7, s6, 31
	s_ashr_i32 s11, s10, 31
	s_lshl_b64 s[6:7], s[6:7], 6
	s_and_b32 vcc_lo, exec_lo, s33
	s_lshl_b64 s[10:11], s[10:11], 6
	s_cbranch_vccnz .LBB241_3
; %bb.1:
	v_lshl_add_u32 v9, v1, 4, v0
	v_and_b32_e32 v12, 3, v0
	s_add_u32 s16, s16, s0
	s_addc_u32 s17, s17, s1
	s_add_u32 s0, s22, s0
	v_lshrrev_b32_e32 v11, 2, v9
	v_lshrrev_b32_e32 v13, 6, v9
	s_addc_u32 s1, s23, s1
	s_load_dwordx2 s[16:17], s[16:17], 0x0
	s_load_dwordx2 s[0:1], s[0:1], 0x0
	s_lshl_b64 s[20:21], s[20:21], 3
	v_add_co_u32 v2, s33, v11, s10
	v_add_co_ci_u32_e64 v3, null, 0, s11, s33
	v_mad_u64_u32 v[4:5], null, s18, v13, s[6:7]
	v_lshlrev_b32_e32 v14, 3, v12
	v_mad_u64_u32 v[6:7], null, s24, v12, v[2:3]
	v_mov_b32_e32 v8, 0
	v_lshlrev_b32_e32 v40, 3, v0
	v_lshl_add_u32 v43, v1, 5, 0x800
	v_mov_b32_e32 v2, v5
	v_and_b32_e32 v5, 63, v9
	v_mov_b32_e32 v15, 0
	v_mov_b32_e32 v3, v7
	;; [unrolled: 1-line block ×3, first 2 shown]
	s_waitcnt lgkmcnt(0)
	s_add_u32 s16, s16, s20
	v_lshlrev_b32_e32 v7, 3, v5
	s_addc_u32 s17, s17, s21
	v_mad_u64_u32 v[9:10], null, s19, v13, v[2:3]
	v_mad_u64_u32 v[2:3], null, s25, v12, v[3:4]
	v_add_co_u32 v3, vcc_lo, v4, v5
	v_lshl_or_b32 v41, v13, 9, v7
	s_lshl_b64 s[20:21], s[26:27], 3
	v_add_co_ci_u32_e64 v4, null, 0, v9, vcc_lo
	v_mov_b32_e32 v7, v2
	v_lshl_or_b32 v10, v11, 5, v14
	v_mov_b32_e32 v9, 0
	v_lshlrev_b64 v[2:3], 3, v[3:4]
	v_mov_b32_e32 v11, 0
	v_lshlrev_b64 v[4:5], 3, v[6:7]
	v_add_nc_u32_e32 v42, 0x800, v10
	v_mov_b32_e32 v10, 0
	v_mov_b32_e32 v13, 0
	v_add_co_u32 v2, vcc_lo, s16, v2
	v_add_co_ci_u32_e64 v3, null, s17, v3, vcc_lo
	s_lshl_b64 s[16:17], s[18:19], 5
	s_add_u32 s0, s0, s20
	s_addc_u32 s1, s1, s21
	v_add_co_u32 v4, vcc_lo, s0, v4
	v_add_co_ci_u32_e64 v5, null, s1, v5, vcc_lo
	v_mov_b32_e32 v12, 0
	v_mov_b32_e32 v14, 0
	;; [unrolled: 1-line block ×25, first 2 shown]
	s_lshl_b64 s[18:19], s[24:25], 5
	s_mov_b64 s[20:21], 0
.LBB241_2:                              ; =>This Inner Loop Header: Depth=1
	flat_load_dwordx2 v[6:7], v[2:3]
	s_add_u32 s20, s20, 4
	s_addc_u32 s21, s21, 0
	v_add_co_u32 v2, vcc_lo, v2, s16
	v_cmp_lt_i64_e64 s0, s[20:21], s[12:13]
	v_add_co_ci_u32_e64 v3, null, s17, v3, vcc_lo
	s_and_b32 vcc_lo, exec_lo, s0
	s_waitcnt vmcnt(0) lgkmcnt(0)
	ds_write_b64 v41, v[6:7]
	flat_load_dwordx2 v[6:7], v[4:5]
	v_add_co_u32 v4, s0, v4, s18
	v_add_co_ci_u32_e64 v5, null, s19, v5, s0
	s_waitcnt vmcnt(0) lgkmcnt(0)
	v_xor_b32_e32 v7, 0x80000000, v7
	ds_write_b64 v42, v[6:7]
	s_waitcnt lgkmcnt(0)
	s_barrier
	buffer_gl0_inv
	ds_read_b128 v[44:47], v43
	ds_read2_b64 v[48:51], v40 offset1:16
	ds_read_b128 v[52:55], v43 offset:512
	ds_read_b128 v[56:59], v43 offset:16
	;; [unrolled: 1-line block ×7, first 2 shown]
	ds_read2_b64 v[80:83], v40 offset0:32 offset1:48
	ds_read2_b64 v[84:87], v40 offset0:64 offset1:80
	;; [unrolled: 1-line block ×7, first 2 shown]
	s_waitcnt lgkmcnt(0)
	s_barrier
	buffer_gl0_inv
	v_mul_f32_e32 v6, v45, v49
	v_mul_f32_e32 v7, v44, v49
	;; [unrolled: 1-line block ×64, first 2 shown]
	v_fma_f32 v6, v44, v48, -v6
	v_fmac_f32_e32 v7, v45, v48
	v_fma_f32 v108, v44, v50, -v108
	v_fmac_f32_e32 v109, v45, v50
	;; [unrolled: 2-line block ×16, first 2 shown]
	v_mul_f32_e32 v162, v57, v93
	v_mul_f32_e32 v163, v56, v93
	;; [unrolled: 1-line block ×28, first 2 shown]
	v_fma_f32 v124, v46, v84, -v134
	v_fmac_f32_e32 v135, v47, v84
	v_fma_f32 v126, v46, v86, -v136
	v_fmac_f32_e32 v137, v47, v86
	;; [unrolled: 2-line block ×4, first 2 shown]
	v_mul_f32_e32 v47, v77, v97
	v_mul_f32_e32 v97, v76, v97
	;; [unrolled: 1-line block ×4, first 2 shown]
	v_fma_f32 v132, v54, v84, -v142
	v_fmac_f32_e32 v143, v55, v84
	v_fma_f32 v133, v54, v86, -v144
	v_fmac_f32_e32 v145, v55, v86
	;; [unrolled: 2-line block ×4, first 2 shown]
	v_mul_f32_e32 v136, v58, v101
	v_mul_f32_e32 v140, v58, v103
	v_fma_f32 v142, v66, v84, -v150
	v_fmac_f32_e32 v151, v67, v84
	v_fma_f32 v144, v66, v86, -v152
	v_fmac_f32_e32 v153, v67, v86
	;; [unrolled: 2-line block ×4, first 2 shown]
	v_mul_f32_e32 v148, v58, v105
	v_mul_f32_e32 v152, v58, v107
	v_fma_f32 v154, v74, v84, -v158
	v_fmac_f32_e32 v85, v75, v84
	v_fma_f32 v84, v74, v86, -v159
	v_fmac_f32_e32 v87, v75, v86
	;; [unrolled: 2-line block ×4, first 2 shown]
	v_add_f32_e32 v6, v38, v6
	v_add_f32_e32 v7, v39, v7
	v_add_f32_e32 v36, v36, v108
	v_add_f32_e32 v37, v37, v109
	v_add_f32_e32 v34, v34, v120
	v_add_f32_e32 v35, v35, v121
	v_add_f32_e32 v32, v32, v44
	v_add_f32_e32 v33, v33, v123
	v_add_f32_e32 v30, v30, v110
	v_add_f32_e32 v31, v31, v111
	v_add_f32_e32 v28, v28, v112
	v_add_f32_e32 v29, v29, v113
	v_add_f32_e32 v26, v26, v45
	v_add_f32_e32 v27, v27, v125
	v_add_f32_e32 v24, v24, v52
	v_add_f32_e32 v25, v25, v127
	v_add_f32_e32 v22, v22, v114
	v_add_f32_e32 v23, v23, v115
	v_add_f32_e32 v20, v20, v116
	v_add_f32_e32 v21, v21, v117
	v_add_f32_e32 v18, v18, v53
	v_add_f32_e32 v19, v19, v129
	v_add_f32_e32 v16, v16, v64
	v_add_f32_e32 v17, v17, v131
	v_add_f32_e32 v14, v14, v118
	v_add_f32_e32 v15, v15, v49
	v_add_f32_e32 v12, v12, v48
	v_add_f32_e32 v13, v13, v51
	v_add_f32_e32 v10, v10, v65
	v_add_f32_e32 v11, v11, v81
	v_add_f32_e32 v9, v9, v72
	v_add_f32_e32 v8, v8, v83
	v_mul_f32_e32 v55, v59, v101
	v_mul_f32_e32 v138, v59, v103
	;; [unrolled: 1-line block ×16, first 2 shown]
	v_fma_f32 v162, v56, v92, -v162
	v_fmac_f32_e32 v163, v57, v92
	v_fma_f32 v164, v56, v94, -v164
	v_fmac_f32_e32 v165, v57, v94
	;; [unrolled: 2-line block ×8, first 2 shown]
	v_mul_f32_e32 v94, v71, v105
	v_mul_f32_e32 v175, v70, v105
	;; [unrolled: 1-line block ×4, first 2 shown]
	v_fma_f32 v176, v56, v96, -v176
	v_fmac_f32_e32 v177, v57, v96
	v_fma_f32 v56, v56, v98, -v178
	v_fmac_f32_e32 v179, v57, v98
	;; [unrolled: 2-line block ×8, first 2 shown]
	v_mul_f32_e32 v69, v79, v101
	v_mul_f32_e32 v73, v78, v101
	;; [unrolled: 1-line block ×4, first 2 shown]
	v_fmac_f32_e32 v136, v59, v100
	v_fmac_f32_e32 v140, v59, v102
	;; [unrolled: 1-line block ×4, first 2 shown]
	v_mul_f32_e32 v59, v79, v105
	v_mul_f32_e32 v96, v78, v105
	v_mul_f32_e32 v98, v79, v107
	v_mul_f32_e32 v101, v78, v107
	v_add_f32_e32 v6, v6, v124
	v_add_f32_e32 v7, v7, v135
	;; [unrolled: 1-line block ×32, first 2 shown]
	v_fma_f32 v55, v58, v100, -v55
	v_fma_f32 v82, v58, v102, -v138
	;; [unrolled: 1-line block ×5, first 2 shown]
	v_fmac_f32_e32 v156, v63, v100
	v_fma_f32 v103, v62, v102, -v158
	v_fmac_f32_e32 v159, v63, v102
	v_fma_f32 v75, v62, v104, -v75
	;; [unrolled: 2-line block ×11, first 2 shown]
	v_fmac_f32_e32 v101, v79, v106
	v_add_f32_e32 v6, v6, v162
	v_add_f32_e32 v7, v7, v163
	;; [unrolled: 1-line block ×64, first 2 shown]
	s_cbranch_vccnz .LBB241_2
.LBB241_3:
	s_lshl_b64 s[0:1], s[30:31], 3
	s_waitcnt lgkmcnt(0)
	s_add_u32 s8, s8, s0
	s_addc_u32 s9, s9, s1
	v_add_co_u32 v4, s1, s10, v1
	v_add_co_ci_u32_e64 v5, null, s11, 0, s1
	v_add_co_u32 v0, s1, s6, v0
	s_or_b32 s0, s2, s3
	v_add_co_ci_u32_e64 v1, null, s7, 0, s1
	s_bitset0_b32 s0, 31
	s_mov_b32 s6, 0
	s_cmp_lg_u32 s0, 0
	s_cbranch_scc1 .LBB241_5
; %bb.4:
	v_mul_lo_u32 v6, v5, s28
	v_mul_lo_u32 v40, v4, s29
	v_mad_u64_u32 v[2:3], null, v4, s28, 0
	v_mul_f32_e32 v42, s15, v39
	v_mul_f32_e32 v7, s14, v39
	;; [unrolled: 1-line block ×6, first 2 shown]
	v_add3_u32 v3, v3, v40, v6
	v_lshlrev_b64 v[40:41], 3, v[0:1]
	v_mul_f32_e32 v48, s15, v33
	v_mul_f32_e32 v47, s14, v33
	v_fma_f32 v6, v38, s14, -v42
	v_lshlrev_b64 v[2:3], 3, v[2:3]
	v_fmac_f32_e32 v7, s15, v38
	v_fma_f32 v42, v36, s14, -v44
	v_fmac_f32_e32 v43, s15, v36
	s_lshl_b64 s[0:1], s[28:29], 7
	v_fma_f32 v44, v34, s14, -v46
	v_add_co_u32 v49, vcc_lo, s8, v2
	v_add_co_ci_u32_e64 v50, null, s9, v3, vcc_lo
	v_fmac_f32_e32 v45, s15, v34
	v_add_co_u32 v2, vcc_lo, v49, v40
	v_add_co_ci_u32_e64 v3, null, v50, v41, vcc_lo
	v_fma_f32 v46, v32, s14, -v48
	v_fmac_f32_e32 v47, s15, v32
	v_add_co_u32 v48, vcc_lo, v49, s0
	flat_store_dwordx2 v[2:3], v[6:7]
	flat_store_dwordx2 v[2:3], v[42:43] offset:128
	flat_store_dwordx2 v[2:3], v[44:45] offset:256
	;; [unrolled: 1-line block ×3, first 2 shown]
	v_mul_f32_e32 v2, s15, v31
	v_mul_f32_e32 v3, s14, v31
	v_add_co_ci_u32_e64 v49, null, s1, v50, vcc_lo
	v_mul_f32_e32 v6, s15, v29
	v_mul_f32_e32 v7, s14, v29
	;; [unrolled: 1-line block ×4, first 2 shown]
	v_add_co_u32 v44, vcc_lo, v48, v40
	v_fma_f32 v2, v30, s14, -v2
	v_fmac_f32_e32 v3, s15, v30
	v_add_co_ci_u32_e64 v45, null, v49, v41, vcc_lo
	v_fma_f32 v6, v28, s14, -v6
	v_fmac_f32_e32 v7, s15, v28
	v_fma_f32 v42, v26, s14, -v42
	v_fmac_f32_e32 v43, s15, v26
	v_add_co_u32 v52, vcc_lo, v48, s0
	v_mul_f32_e32 v46, s15, v25
	v_mul_f32_e32 v47, s14, v25
	flat_store_dwordx2 v[44:45], v[2:3]
	flat_store_dwordx2 v[44:45], v[6:7] offset:128
	flat_store_dwordx2 v[44:45], v[42:43] offset:256
	v_mul_f32_e32 v2, s15, v23
	v_mul_f32_e32 v3, s14, v23
	v_add_co_ci_u32_e64 v53, null, s1, v49, vcc_lo
	v_mul_f32_e32 v42, s15, v21
	v_mul_f32_e32 v43, s14, v21
	;; [unrolled: 1-line block ×4, first 2 shown]
	v_add_co_u32 v6, vcc_lo, v52, v40
	v_mul_f32_e32 v50, s15, v17
	v_mul_f32_e32 v51, s14, v17
	v_fma_f32 v46, v24, s14, -v46
	v_fmac_f32_e32 v47, s15, v24
	v_fma_f32 v2, v22, s14, -v2
	v_fmac_f32_e32 v3, s15, v22
	v_add_co_ci_u32_e64 v7, null, v53, v41, vcc_lo
	v_fma_f32 v42, v20, s14, -v42
	v_fmac_f32_e32 v43, s15, v20
	v_fma_f32 v48, v18, s14, -v48
	v_fmac_f32_e32 v49, s15, v18
	;; [unrolled: 2-line block ×3, first 2 shown]
	flat_store_dwordx2 v[44:45], v[46:47] offset:384
	flat_store_dwordx2 v[6:7], v[2:3]
	flat_store_dwordx2 v[6:7], v[42:43] offset:128
	flat_store_dwordx2 v[6:7], v[48:49] offset:256
	;; [unrolled: 1-line block ×3, first 2 shown]
	v_mul_f32_e32 v2, s15, v15
	v_add_co_u32 v3, vcc_lo, v52, s0
	v_add_co_ci_u32_e64 v6, null, s1, v53, vcc_lo
	v_fma_f32 v42, v14, s14, -v2
	v_mul_f32_e32 v2, s15, v13
	v_add_co_u32 v40, vcc_lo, v3, v40
	v_mul_f32_e32 v43, s14, v15
	v_add_co_ci_u32_e64 v41, null, v6, v41, vcc_lo
	v_fma_f32 v44, v12, s14, -v2
	v_mul_f32_e32 v2, s15, v11
	v_mul_f32_e32 v3, s15, v8
	;; [unrolled: 1-line block ×5, first 2 shown]
	v_fma_f32 v46, v10, s14, -v2
	v_add_co_u32 v2, vcc_lo, 0x180, v40
	v_fmac_f32_e32 v43, s15, v14
	v_fma_f32 v7, v9, s14, -v3
	v_fmac_f32_e32 v6, s15, v9
	v_add_co_ci_u32_e64 v3, null, 0, v41, vcc_lo
	v_fmac_f32_e32 v45, s15, v12
	v_fmac_f32_e32 v47, s15, v10
	flat_store_dwordx2 v[40:41], v[42:43]
	flat_store_dwordx2 v[40:41], v[44:45] offset:128
	flat_store_dwordx2 v[40:41], v[46:47] offset:256
	flat_store_dword v[40:41], v7 offset:384
	s_andn2_b32 vcc_lo, exec_lo, s6
	s_cbranch_vccz .LBB241_6
	s_branch .LBB241_7
.LBB241_5:
                                        ; implicit-def: $vgpr6
                                        ; implicit-def: $vgpr2_vgpr3
.LBB241_6:
	v_mul_lo_u32 v6, v5, s38
	v_mul_lo_u32 v7, v4, s39
	v_mad_u64_u32 v[2:3], null, v4, s38, 0
	s_lshl_b64 s[0:1], s[40:41], 3
	v_lshlrev_b64 v[0:1], 3, v[0:1]
	s_add_u32 s0, s4, s0
	s_addc_u32 s1, s5, s1
	v_mul_lo_u32 v42, v5, s28
	v_mul_lo_u32 v43, v4, s29
	v_add3_u32 v3, v3, v7, v6
	v_mad_u64_u32 v[4:5], null, v4, s28, 0
	s_lshl_b64 s[4:5], s[28:29], 7
	v_lshlrev_b64 v[2:3], 3, v[2:3]
	v_add3_u32 v5, v5, v43, v42
	v_mul_f32_e32 v42, s15, v39
	v_add_co_u32 v40, vcc_lo, s0, v2
	v_add_co_ci_u32_e64 v41, null, s1, v3, vcc_lo
	v_mul_f32_e32 v39, s14, v39
	v_add_co_u32 v2, vcc_lo, v40, v0
	v_add_co_ci_u32_e64 v3, null, v41, v1, vcc_lo
	v_lshlrev_b64 v[4:5], 3, v[4:5]
	v_fma_f32 v42, v38, s14, -v42
	v_fmac_f32_e32 v39, s15, v38
	flat_load_dwordx2 v[6:7], v[2:3]
	s_lshl_b64 s[0:1], s[38:39], 7
	v_add_co_u32 v43, vcc_lo, s8, v4
	v_add_co_ci_u32_e64 v44, null, s9, v5, vcc_lo
	v_add_co_u32 v4, vcc_lo, v43, v0
	v_add_co_ci_u32_e64 v5, null, v44, v1, vcc_lo
	s_waitcnt vmcnt(0) lgkmcnt(0)
	v_mul_f32_e32 v38, s3, v7
	v_mul_f32_e32 v7, s2, v7
	v_fma_f32 v38, v6, s2, -v38
	v_fmac_f32_e32 v7, s3, v6
	v_add_f32_e32 v6, v42, v38
	v_add_f32_e32 v7, v39, v7
	v_mul_f32_e32 v38, s15, v37
	v_mul_f32_e32 v37, s14, v37
	flat_store_dwordx2 v[4:5], v[6:7]
	flat_load_dwordx2 v[6:7], v[2:3] offset:128
	v_fma_f32 v38, v36, s14, -v38
	v_fmac_f32_e32 v37, s15, v36
	s_waitcnt vmcnt(0) lgkmcnt(0)
	v_mul_f32_e32 v39, s3, v7
	v_mul_f32_e32 v7, s2, v7
	v_fma_f32 v36, v6, s2, -v39
	v_fmac_f32_e32 v7, s3, v6
	v_add_f32_e32 v6, v38, v36
	v_add_f32_e32 v7, v37, v7
	v_mul_f32_e32 v36, s15, v35
	v_mul_f32_e32 v35, s14, v35
	flat_store_dwordx2 v[4:5], v[6:7] offset:128
	flat_load_dwordx2 v[6:7], v[2:3] offset:256
	v_fma_f32 v36, v34, s14, -v36
	v_fmac_f32_e32 v35, s15, v34
	s_waitcnt vmcnt(0) lgkmcnt(0)
	v_mul_f32_e32 v37, s3, v7
	v_mul_f32_e32 v7, s2, v7
	v_fma_f32 v34, v6, s2, -v37
	v_fmac_f32_e32 v7, s3, v6
	v_add_f32_e32 v6, v36, v34
	v_add_f32_e32 v7, v35, v7
	flat_store_dwordx2 v[4:5], v[6:7] offset:256
	flat_load_dwordx2 v[2:3], v[2:3] offset:384
	v_mul_f32_e32 v6, s15, v33
	v_mul_f32_e32 v7, s14, v33
	v_fma_f32 v6, v32, s14, -v6
	v_fmac_f32_e32 v7, s15, v32
	s_waitcnt vmcnt(0) lgkmcnt(0)
	v_mul_f32_e32 v33, s3, v3
	v_mul_f32_e32 v3, s2, v3
	v_fma_f32 v32, v2, s2, -v33
	v_add_co_u32 v33, vcc_lo, v40, s0
	v_fmac_f32_e32 v3, s3, v2
	v_add_co_ci_u32_e64 v34, null, s1, v41, vcc_lo
	v_add_f32_e32 v2, v6, v32
	v_add_co_u32 v6, vcc_lo, v33, v0
	v_add_f32_e32 v3, v7, v3
	v_add_co_ci_u32_e64 v7, null, v34, v1, vcc_lo
	v_add_co_u32 v32, vcc_lo, v43, s4
	flat_store_dwordx2 v[4:5], v[2:3] offset:384
	flat_load_dwordx2 v[2:3], v[6:7]
	v_mul_f32_e32 v4, s15, v31
	v_mul_f32_e32 v5, s14, v31
	v_add_co_ci_u32_e64 v35, null, s5, v44, vcc_lo
	v_fma_f32 v4, v30, s14, -v4
	v_fmac_f32_e32 v5, s15, v30
	s_waitcnt vmcnt(0) lgkmcnt(0)
	v_mul_f32_e32 v30, s3, v3
	v_mul_f32_e32 v31, s2, v3
	v_fma_f32 v30, v2, s2, -v30
	v_fmac_f32_e32 v31, s3, v2
	v_add_co_u32 v2, vcc_lo, v32, v0
	v_add_co_ci_u32_e64 v3, null, v35, v1, vcc_lo
	v_add_f32_e32 v4, v4, v30
	v_add_f32_e32 v5, v5, v31
	v_mul_f32_e32 v30, s15, v29
	v_mul_f32_e32 v29, s14, v29
	flat_store_dwordx2 v[2:3], v[4:5]
	flat_load_dwordx2 v[4:5], v[6:7] offset:128
	v_fma_f32 v30, v28, s14, -v30
	v_fmac_f32_e32 v29, s15, v28
	s_waitcnt vmcnt(0) lgkmcnt(0)
	v_mul_f32_e32 v31, s3, v5
	v_mul_f32_e32 v5, s2, v5
	v_fma_f32 v28, v4, s2, -v31
	v_fmac_f32_e32 v5, s3, v4
	v_add_f32_e32 v4, v30, v28
	v_add_f32_e32 v5, v29, v5
	v_mul_f32_e32 v28, s15, v27
	v_mul_f32_e32 v27, s14, v27
	flat_store_dwordx2 v[2:3], v[4:5] offset:128
	flat_load_dwordx2 v[4:5], v[6:7] offset:256
	v_fma_f32 v28, v26, s14, -v28
	v_fmac_f32_e32 v27, s15, v26
	s_waitcnt vmcnt(0) lgkmcnt(0)
	v_mul_f32_e32 v29, s3, v5
	v_mul_f32_e32 v5, s2, v5
	v_fma_f32 v26, v4, s2, -v29
	v_fmac_f32_e32 v5, s3, v4
	v_add_f32_e32 v4, v28, v26
	v_add_f32_e32 v5, v27, v5
	flat_store_dwordx2 v[2:3], v[4:5] offset:256
	flat_load_dwordx2 v[4:5], v[6:7] offset:384
	v_mul_f32_e32 v6, s15, v25
	v_mul_f32_e32 v7, s14, v25
	v_fma_f32 v6, v24, s14, -v6
	v_fmac_f32_e32 v7, s15, v24
	s_waitcnt vmcnt(0) lgkmcnt(0)
	v_mul_f32_e32 v25, s3, v5
	v_mul_f32_e32 v5, s2, v5
	v_fma_f32 v24, v4, s2, -v25
	v_add_co_u32 v25, vcc_lo, v33, s0
	v_fmac_f32_e32 v5, s3, v4
	v_add_co_ci_u32_e64 v26, null, s1, v34, vcc_lo
	v_add_f32_e32 v4, v6, v24
	v_add_co_u32 v6, vcc_lo, v25, v0
	v_add_f32_e32 v5, v7, v5
	v_add_co_ci_u32_e64 v7, null, v26, v1, vcc_lo
	v_add_co_u32 v24, vcc_lo, v32, s4
	flat_store_dwordx2 v[2:3], v[4:5] offset:384
	flat_load_dwordx2 v[2:3], v[6:7]
	v_mul_f32_e32 v4, s15, v23
	v_mul_f32_e32 v5, s14, v23
	v_add_co_ci_u32_e64 v27, null, s5, v35, vcc_lo
	v_fma_f32 v4, v22, s14, -v4
	v_fmac_f32_e32 v5, s15, v22
	s_waitcnt vmcnt(0) lgkmcnt(0)
	v_mul_f32_e32 v22, s3, v3
	v_mul_f32_e32 v23, s2, v3
	v_fma_f32 v22, v2, s2, -v22
	v_fmac_f32_e32 v23, s3, v2
	v_add_co_u32 v2, vcc_lo, v24, v0
	v_add_co_ci_u32_e64 v3, null, v27, v1, vcc_lo
	v_add_f32_e32 v4, v4, v22
	v_add_f32_e32 v5, v5, v23
	v_mul_f32_e32 v22, s15, v21
	v_mul_f32_e32 v21, s14, v21
	flat_store_dwordx2 v[2:3], v[4:5]
	flat_load_dwordx2 v[4:5], v[6:7] offset:128
	v_fma_f32 v22, v20, s14, -v22
	v_fmac_f32_e32 v21, s15, v20
	s_waitcnt vmcnt(0) lgkmcnt(0)
	v_mul_f32_e32 v23, s3, v5
	v_mul_f32_e32 v5, s2, v5
	v_fma_f32 v20, v4, s2, -v23
	v_fmac_f32_e32 v5, s3, v4
	v_add_f32_e32 v4, v22, v20
	v_add_f32_e32 v5, v21, v5
	v_mul_f32_e32 v20, s15, v19
	v_mul_f32_e32 v19, s14, v19
	flat_store_dwordx2 v[2:3], v[4:5] offset:128
	flat_load_dwordx2 v[4:5], v[6:7] offset:256
	v_fma_f32 v20, v18, s14, -v20
	v_fmac_f32_e32 v19, s15, v18
	s_waitcnt vmcnt(0) lgkmcnt(0)
	v_mul_f32_e32 v21, s3, v5
	v_mul_f32_e32 v5, s2, v5
	v_fma_f32 v18, v4, s2, -v21
	v_fmac_f32_e32 v5, s3, v4
	v_add_f32_e32 v4, v20, v18
	v_add_f32_e32 v5, v19, v5
	flat_store_dwordx2 v[2:3], v[4:5] offset:256
	flat_load_dwordx2 v[4:5], v[6:7] offset:384
	v_mul_f32_e32 v6, s15, v17
	v_mul_f32_e32 v7, s14, v17
	v_fma_f32 v6, v16, s14, -v6
	v_fmac_f32_e32 v7, s15, v16
	s_waitcnt vmcnt(0) lgkmcnt(0)
	v_mul_f32_e32 v17, s3, v5
	v_mul_f32_e32 v5, s2, v5
	v_fma_f32 v16, v4, s2, -v17
	v_add_co_u32 v17, vcc_lo, v25, s0
	v_fmac_f32_e32 v5, s3, v4
	v_add_co_ci_u32_e64 v18, null, s1, v26, vcc_lo
	v_add_f32_e32 v4, v6, v16
	v_add_co_u32 v6, vcc_lo, v17, v0
	v_add_f32_e32 v5, v7, v5
	v_add_co_ci_u32_e64 v7, null, v18, v1, vcc_lo
	flat_store_dwordx2 v[2:3], v[4:5] offset:384
	flat_load_dwordx2 v[2:3], v[6:7]
	v_mul_f32_e32 v4, s15, v15
	v_mul_f32_e32 v5, s14, v15
	v_add_co_u32 v15, vcc_lo, v24, s4
	v_add_co_ci_u32_e64 v16, null, s5, v27, vcc_lo
	v_fma_f32 v4, v14, s14, -v4
	v_fmac_f32_e32 v5, s15, v14
	v_add_co_u32 v0, vcc_lo, v15, v0
	v_add_co_ci_u32_e64 v1, null, v16, v1, vcc_lo
	s_waitcnt vmcnt(0) lgkmcnt(0)
	v_mul_f32_e32 v14, s3, v3
	v_mul_f32_e32 v3, s2, v3
	v_fma_f32 v14, v2, s2, -v14
	v_fmac_f32_e32 v3, s3, v2
	v_add_f32_e32 v2, v4, v14
	v_add_f32_e32 v3, v5, v3
	v_mul_f32_e32 v4, s15, v13
	v_mul_f32_e32 v5, s14, v13
	flat_store_dwordx2 v[0:1], v[2:3]
	flat_load_dwordx2 v[2:3], v[6:7] offset:128
	v_fma_f32 v4, v12, s14, -v4
	v_fmac_f32_e32 v5, s15, v12
	s_waitcnt vmcnt(0) lgkmcnt(0)
	v_mul_f32_e32 v13, s3, v3
	v_mul_f32_e32 v3, s2, v3
	v_fma_f32 v12, v2, s2, -v13
	v_fmac_f32_e32 v3, s3, v2
	v_add_f32_e32 v2, v4, v12
	v_add_f32_e32 v3, v5, v3
	v_mul_f32_e32 v4, s15, v11
	v_mul_f32_e32 v5, s14, v11
	flat_store_dwordx2 v[0:1], v[2:3] offset:128
	flat_load_dwordx2 v[2:3], v[6:7] offset:256
	v_fma_f32 v4, v10, s14, -v4
	v_fmac_f32_e32 v5, s15, v10
	s_waitcnt vmcnt(0) lgkmcnt(0)
	v_mul_f32_e32 v11, s3, v3
	v_mul_f32_e32 v3, s2, v3
	v_fma_f32 v10, v2, s2, -v11
	v_fmac_f32_e32 v3, s3, v2
	v_add_f32_e32 v2, v4, v10
	v_add_f32_e32 v3, v5, v3
	v_mul_f32_e32 v4, s15, v8
	v_mul_f32_e32 v5, s14, v8
	flat_store_dwordx2 v[0:1], v[2:3] offset:256
	flat_load_dwordx2 v[2:3], v[6:7] offset:384
	v_fma_f32 v4, v9, s14, -v4
	v_fmac_f32_e32 v5, s15, v9
	s_waitcnt vmcnt(0) lgkmcnt(0)
	v_mul_f32_e32 v6, s3, v3
	v_mul_f32_e32 v3, s2, v3
	v_fma_f32 v6, v2, s2, -v6
	v_fmac_f32_e32 v3, s3, v2
	v_add_co_u32 v2, vcc_lo, 0x180, v0
	v_add_f32_e32 v4, v4, v6
	v_add_f32_e32 v6, v5, v3
	v_add_co_ci_u32_e64 v3, null, 0, v1, vcc_lo
	flat_store_dword v[0:1], v4 offset:384
.LBB241_7:
	flat_store_dword v[2:3], v6 offset:4
	s_endpgm
	.section	.rodata,"a",@progbits
	.p2align	6, 0x0
	.amdhsa_kernel _ZN12_GLOBAL__N_127rocblas_gemm_batched_kernelI19rocblas_complex_numIfELi16ELi16ELi64ELi64ELi4ELi64ELi4ELi4ELi64ELc78ELc67EKPKS2_S5_KPS2_EEvlllT_PT11_llSA_llS8_PT12_llPT13_lli
		.amdhsa_group_segment_fixed_size 4096
		.amdhsa_private_segment_fixed_size 0
		.amdhsa_kernarg_size 140
		.amdhsa_user_sgpr_count 6
		.amdhsa_user_sgpr_private_segment_buffer 1
		.amdhsa_user_sgpr_dispatch_ptr 0
		.amdhsa_user_sgpr_queue_ptr 0
		.amdhsa_user_sgpr_kernarg_segment_ptr 1
		.amdhsa_user_sgpr_dispatch_id 0
		.amdhsa_user_sgpr_flat_scratch_init 0
		.amdhsa_user_sgpr_private_segment_size 0
		.amdhsa_wavefront_size32 1
		.amdhsa_uses_dynamic_stack 0
		.amdhsa_system_sgpr_private_segment_wavefront_offset 0
		.amdhsa_system_sgpr_workgroup_id_x 1
		.amdhsa_system_sgpr_workgroup_id_y 1
		.amdhsa_system_sgpr_workgroup_id_z 1
		.amdhsa_system_sgpr_workgroup_info 0
		.amdhsa_system_vgpr_workitem_id 1
		.amdhsa_next_free_vgpr 188
		.amdhsa_next_free_sgpr 44
		.amdhsa_reserve_vcc 1
		.amdhsa_reserve_flat_scratch 0
		.amdhsa_float_round_mode_32 0
		.amdhsa_float_round_mode_16_64 0
		.amdhsa_float_denorm_mode_32 3
		.amdhsa_float_denorm_mode_16_64 3
		.amdhsa_dx10_clamp 1
		.amdhsa_ieee_mode 1
		.amdhsa_fp16_overflow 0
		.amdhsa_workgroup_processor_mode 1
		.amdhsa_memory_ordered 1
		.amdhsa_forward_progress 1
		.amdhsa_shared_vgpr_count 0
		.amdhsa_exception_fp_ieee_invalid_op 0
		.amdhsa_exception_fp_denorm_src 0
		.amdhsa_exception_fp_ieee_div_zero 0
		.amdhsa_exception_fp_ieee_overflow 0
		.amdhsa_exception_fp_ieee_underflow 0
		.amdhsa_exception_fp_ieee_inexact 0
		.amdhsa_exception_int_div_zero 0
	.end_amdhsa_kernel
	.section	.text._ZN12_GLOBAL__N_127rocblas_gemm_batched_kernelI19rocblas_complex_numIfELi16ELi16ELi64ELi64ELi4ELi64ELi4ELi4ELi64ELc78ELc67EKPKS2_S5_KPS2_EEvlllT_PT11_llSA_llS8_PT12_llPT13_lli,"axG",@progbits,_ZN12_GLOBAL__N_127rocblas_gemm_batched_kernelI19rocblas_complex_numIfELi16ELi16ELi64ELi64ELi4ELi64ELi4ELi4ELi64ELc78ELc67EKPKS2_S5_KPS2_EEvlllT_PT11_llSA_llS8_PT12_llPT13_lli,comdat
.Lfunc_end241:
	.size	_ZN12_GLOBAL__N_127rocblas_gemm_batched_kernelI19rocblas_complex_numIfELi16ELi16ELi64ELi64ELi4ELi64ELi4ELi4ELi64ELc78ELc67EKPKS2_S5_KPS2_EEvlllT_PT11_llSA_llS8_PT12_llPT13_lli, .Lfunc_end241-_ZN12_GLOBAL__N_127rocblas_gemm_batched_kernelI19rocblas_complex_numIfELi16ELi16ELi64ELi64ELi4ELi64ELi4ELi4ELi64ELc78ELc67EKPKS2_S5_KPS2_EEvlllT_PT11_llSA_llS8_PT12_llPT13_lli
                                        ; -- End function
	.set _ZN12_GLOBAL__N_127rocblas_gemm_batched_kernelI19rocblas_complex_numIfELi16ELi16ELi64ELi64ELi4ELi64ELi4ELi4ELi64ELc78ELc67EKPKS2_S5_KPS2_EEvlllT_PT11_llSA_llS8_PT12_llPT13_lli.num_vgpr, 188
	.set _ZN12_GLOBAL__N_127rocblas_gemm_batched_kernelI19rocblas_complex_numIfELi16ELi16ELi64ELi64ELi4ELi64ELi4ELi4ELi64ELc78ELc67EKPKS2_S5_KPS2_EEvlllT_PT11_llSA_llS8_PT12_llPT13_lli.num_agpr, 0
	.set _ZN12_GLOBAL__N_127rocblas_gemm_batched_kernelI19rocblas_complex_numIfELi16ELi16ELi64ELi64ELi4ELi64ELi4ELi4ELi64ELc78ELc67EKPKS2_S5_KPS2_EEvlllT_PT11_llSA_llS8_PT12_llPT13_lli.numbered_sgpr, 44
	.set _ZN12_GLOBAL__N_127rocblas_gemm_batched_kernelI19rocblas_complex_numIfELi16ELi16ELi64ELi64ELi4ELi64ELi4ELi4ELi64ELc78ELc67EKPKS2_S5_KPS2_EEvlllT_PT11_llSA_llS8_PT12_llPT13_lli.num_named_barrier, 0
	.set _ZN12_GLOBAL__N_127rocblas_gemm_batched_kernelI19rocblas_complex_numIfELi16ELi16ELi64ELi64ELi4ELi64ELi4ELi4ELi64ELc78ELc67EKPKS2_S5_KPS2_EEvlllT_PT11_llSA_llS8_PT12_llPT13_lli.private_seg_size, 0
	.set _ZN12_GLOBAL__N_127rocblas_gemm_batched_kernelI19rocblas_complex_numIfELi16ELi16ELi64ELi64ELi4ELi64ELi4ELi4ELi64ELc78ELc67EKPKS2_S5_KPS2_EEvlllT_PT11_llSA_llS8_PT12_llPT13_lli.uses_vcc, 1
	.set _ZN12_GLOBAL__N_127rocblas_gemm_batched_kernelI19rocblas_complex_numIfELi16ELi16ELi64ELi64ELi4ELi64ELi4ELi4ELi64ELc78ELc67EKPKS2_S5_KPS2_EEvlllT_PT11_llSA_llS8_PT12_llPT13_lli.uses_flat_scratch, 0
	.set _ZN12_GLOBAL__N_127rocblas_gemm_batched_kernelI19rocblas_complex_numIfELi16ELi16ELi64ELi64ELi4ELi64ELi4ELi4ELi64ELc78ELc67EKPKS2_S5_KPS2_EEvlllT_PT11_llSA_llS8_PT12_llPT13_lli.has_dyn_sized_stack, 0
	.set _ZN12_GLOBAL__N_127rocblas_gemm_batched_kernelI19rocblas_complex_numIfELi16ELi16ELi64ELi64ELi4ELi64ELi4ELi4ELi64ELc78ELc67EKPKS2_S5_KPS2_EEvlllT_PT11_llSA_llS8_PT12_llPT13_lli.has_recursion, 0
	.set _ZN12_GLOBAL__N_127rocblas_gemm_batched_kernelI19rocblas_complex_numIfELi16ELi16ELi64ELi64ELi4ELi64ELi4ELi4ELi64ELc78ELc67EKPKS2_S5_KPS2_EEvlllT_PT11_llSA_llS8_PT12_llPT13_lli.has_indirect_call, 0
	.section	.AMDGPU.csdata,"",@progbits
; Kernel info:
; codeLenInByte = 4912
; TotalNumSgprs: 46
; NumVgprs: 188
; ScratchSize: 0
; MemoryBound: 0
; FloatMode: 240
; IeeeMode: 1
; LDSByteSize: 4096 bytes/workgroup (compile time only)
; SGPRBlocks: 0
; VGPRBlocks: 23
; NumSGPRsForWavesPerEU: 46
; NumVGPRsForWavesPerEU: 188
; Occupancy: 5
; WaveLimiterHint : 1
; COMPUTE_PGM_RSRC2:SCRATCH_EN: 0
; COMPUTE_PGM_RSRC2:USER_SGPR: 6
; COMPUTE_PGM_RSRC2:TRAP_HANDLER: 0
; COMPUTE_PGM_RSRC2:TGID_X_EN: 1
; COMPUTE_PGM_RSRC2:TGID_Y_EN: 1
; COMPUTE_PGM_RSRC2:TGID_Z_EN: 1
; COMPUTE_PGM_RSRC2:TIDIG_COMP_CNT: 1
	.section	.text._ZN12_GLOBAL__N_127rocblas_gemm_batched_kernelI19rocblas_complex_numIfELi16ELi16ELi64ELi64ELi4ELi64ELi4ELi4ELi64ELc84ELc67EKPKS2_S5_KPS2_EEvlllT_PT11_llSA_llS8_PT12_llPT13_lli,"axG",@progbits,_ZN12_GLOBAL__N_127rocblas_gemm_batched_kernelI19rocblas_complex_numIfELi16ELi16ELi64ELi64ELi4ELi64ELi4ELi4ELi64ELc84ELc67EKPKS2_S5_KPS2_EEvlllT_PT11_llSA_llS8_PT12_llPT13_lli,comdat
	.globl	_ZN12_GLOBAL__N_127rocblas_gemm_batched_kernelI19rocblas_complex_numIfELi16ELi16ELi64ELi64ELi4ELi64ELi4ELi4ELi64ELc84ELc67EKPKS2_S5_KPS2_EEvlllT_PT11_llSA_llS8_PT12_llPT13_lli ; -- Begin function _ZN12_GLOBAL__N_127rocblas_gemm_batched_kernelI19rocblas_complex_numIfELi16ELi16ELi64ELi64ELi4ELi64ELi4ELi4ELi64ELc84ELc67EKPKS2_S5_KPS2_EEvlllT_PT11_llSA_llS8_PT12_llPT13_lli
	.p2align	8
	.type	_ZN12_GLOBAL__N_127rocblas_gemm_batched_kernelI19rocblas_complex_numIfELi16ELi16ELi64ELi64ELi4ELi64ELi4ELi4ELi64ELc84ELc67EKPKS2_S5_KPS2_EEvlllT_PT11_llSA_llS8_PT12_llPT13_lli,@function
_ZN12_GLOBAL__N_127rocblas_gemm_batched_kernelI19rocblas_complex_numIfELi16ELi16ELi64ELi64ELi4ELi64ELi4ELi4ELi64ELc84ELc67EKPKS2_S5_KPS2_EEvlllT_PT11_llSA_llS8_PT12_llPT13_lli: ; @_ZN12_GLOBAL__N_127rocblas_gemm_batched_kernelI19rocblas_complex_numIfELi16ELi16ELi64ELi64ELi4ELi64ELi4ELi4ELi64ELc84ELc67EKPKS2_S5_KPS2_EEvlllT_PT11_llSA_llS8_PT12_llPT13_lli
; %bb.0:
	s_clause 0x1
	s_load_dwordx8 s[36:43], s[4:5], 0x58
	s_load_dwordx16 s[12:27], s[4:5], 0x10
	s_mov_b32 s9, 0
	s_clause 0x1
	s_load_dwordx4 s[28:31], s[4:5], 0x78
	s_load_dwordx2 s[2:3], s[4:5], 0x50
	s_lshl_b64 s[0:1], s[8:9], 3
	s_mov_b32 s10, s7
	v_mov_b32_e32 v38, 0
	v_mov_b32_e32 v39, 0
	;; [unrolled: 1-line block ×13, first 2 shown]
	s_waitcnt lgkmcnt(0)
	s_add_u32 s4, s36, s0
	s_addc_u32 s5, s37, s1
	s_add_u32 s8, s42, s0
	s_addc_u32 s9, s43, s1
	s_load_dwordx2 s[4:5], s[4:5], 0x0
	s_load_dwordx2 s[8:9], s[8:9], 0x0
	v_cmp_lt_i64_e64 s33, s[12:13], 1
	v_mov_b32_e32 v27, 0
	v_mov_b32_e32 v24, 0
	;; [unrolled: 1-line block ×19, first 2 shown]
	s_ashr_i32 s7, s6, 31
	s_ashr_i32 s11, s10, 31
	s_lshl_b64 s[6:7], s[6:7], 6
	s_and_b32 vcc_lo, exec_lo, s33
	s_lshl_b64 s[10:11], s[10:11], 6
	s_cbranch_vccnz .LBB242_3
; %bb.1:
	v_lshl_add_u32 v6, v1, 4, v0
	v_and_b32_e32 v7, 3, v0
	s_add_u32 s16, s16, s0
	s_addc_u32 s17, s17, s1
	s_add_u32 s0, s22, s0
	v_lshrrev_b32_e32 v9, 2, v6
	v_and_b32_e32 v10, 63, v6
	s_addc_u32 s1, s23, s1
	v_lshlrev_b32_e32 v13, 3, v7
	s_load_dwordx2 s[16:17], s[16:17], 0x0
	s_load_dwordx2 s[0:1], s[0:1], 0x0
	v_add_co_u32 v2, s33, v9, s10
	v_add_co_ci_u32_e64 v3, null, 0, s11, s33
	v_add_co_u32 v4, s33, s6, v10
	v_add_co_ci_u32_e64 v5, null, s7, 0, s33
	v_mad_u64_u32 v[2:3], null, s24, v7, v[2:3]
	v_mul_lo_u32 v11, s19, v4
	v_mul_lo_u32 v12, s18, v5
	v_mad_u64_u32 v[4:5], null, s18, v4, 0
	v_lshrrev_b32_e32 v14, 6, v6
	s_lshl_b64 s[18:19], s[20:21], 3
	v_lshlrev_b32_e32 v10, 3, v10
	v_mov_b32_e32 v8, 0
	v_lshlrev_b32_e32 v42, 3, v0
	v_lshl_add_u32 v43, v1, 5, 0x800
	v_add3_u32 v5, v5, v12, v11
	v_mad_u64_u32 v[6:7], null, s25, v7, v[3:4]
	v_lshl_or_b32 v3, v9, 5, v13
	v_lshl_or_b32 v40, v14, 9, v10
	v_lshlrev_b64 v[4:5], 3, v[4:5]
	v_mov_b32_e32 v9, 0
	v_mov_b32_e32 v11, 0
	v_add_nc_u32_e32 v41, 0x800, v3
	v_mov_b32_e32 v3, v6
	v_lshlrev_b32_e32 v6, 3, v14
	v_add_co_u32 v4, vcc_lo, v4, s18
	v_add_co_ci_u32_e64 v5, null, s19, v5, vcc_lo
	s_lshl_b64 s[18:19], s[26:27], 3
	v_add_co_u32 v6, vcc_lo, v4, v6
	v_add_co_ci_u32_e64 v7, null, 0, v5, vcc_lo
	v_lshlrev_b64 v[4:5], 3, v[2:3]
	s_waitcnt lgkmcnt(0)
	v_add_co_u32 v2, vcc_lo, s16, v6
	s_add_u32 s0, s0, s18
	v_add_co_ci_u32_e64 v3, null, s17, v7, vcc_lo
	s_addc_u32 s1, s1, s19
	v_add_co_u32 v4, vcc_lo, s0, v4
	v_add_co_ci_u32_e64 v5, null, s1, v5, vcc_lo
	v_mov_b32_e32 v10, 0
	v_mov_b32_e32 v13, 0
	;; [unrolled: 1-line block ×29, first 2 shown]
	s_lshl_b64 s[16:17], s[24:25], 5
	s_mov_b64 s[18:19], 0
.LBB242_2:                              ; =>This Inner Loop Header: Depth=1
	flat_load_dwordx2 v[6:7], v[2:3]
	s_add_u32 s18, s18, 4
	s_addc_u32 s19, s19, 0
	v_add_co_u32 v2, vcc_lo, v2, 32
	v_cmp_lt_i64_e64 s0, s[18:19], s[12:13]
	v_add_co_ci_u32_e64 v3, null, 0, v3, vcc_lo
	s_and_b32 vcc_lo, exec_lo, s0
	s_waitcnt vmcnt(0) lgkmcnt(0)
	ds_write_b64 v40, v[6:7]
	flat_load_dwordx2 v[6:7], v[4:5]
	v_add_co_u32 v4, s0, v4, s16
	v_add_co_ci_u32_e64 v5, null, s17, v5, s0
	s_waitcnt vmcnt(0) lgkmcnt(0)
	v_xor_b32_e32 v7, 0x80000000, v7
	ds_write_b64 v41, v[6:7]
	s_waitcnt lgkmcnt(0)
	s_barrier
	buffer_gl0_inv
	ds_read_b128 v[44:47], v43
	ds_read2_b64 v[48:51], v42 offset1:16
	ds_read_b128 v[52:55], v43 offset:512
	ds_read_b128 v[56:59], v43 offset:16
	;; [unrolled: 1-line block ×7, first 2 shown]
	ds_read2_b64 v[80:83], v42 offset0:32 offset1:48
	ds_read2_b64 v[84:87], v42 offset0:64 offset1:80
	;; [unrolled: 1-line block ×7, first 2 shown]
	s_waitcnt lgkmcnt(0)
	s_barrier
	buffer_gl0_inv
	v_mul_f32_e32 v6, v45, v49
	v_mul_f32_e32 v7, v44, v49
	;; [unrolled: 1-line block ×64, first 2 shown]
	v_fma_f32 v6, v44, v48, -v6
	v_fmac_f32_e32 v7, v45, v48
	v_fma_f32 v108, v44, v50, -v108
	v_fmac_f32_e32 v109, v45, v50
	;; [unrolled: 2-line block ×16, first 2 shown]
	v_mul_f32_e32 v162, v57, v93
	v_mul_f32_e32 v163, v56, v93
	v_mul_f32_e32 v164, v57, v95
	v_mul_f32_e32 v165, v56, v95
	v_mul_f32_e32 v166, v61, v93
	v_mul_f32_e32 v167, v60, v93
	v_mul_f32_e32 v168, v61, v95
	v_mul_f32_e32 v169, v60, v95
	v_mul_f32_e32 v170, v69, v93
	v_mul_f32_e32 v171, v68, v93
	v_mul_f32_e32 v172, v69, v95
	v_mul_f32_e32 v173, v68, v95
	v_mul_f32_e32 v174, v77, v93
	v_mul_f32_e32 v93, v76, v93
	v_mul_f32_e32 v175, v77, v95
	v_mul_f32_e32 v95, v76, v95
	v_mul_f32_e32 v176, v57, v97
	v_mul_f32_e32 v177, v56, v97
	v_mul_f32_e32 v178, v57, v99
	v_mul_f32_e32 v179, v56, v99
	v_mul_f32_e32 v50, v61, v97
	v_mul_f32_e32 v119, v60, v97
	v_mul_f32_e32 v180, v61, v99
	v_mul_f32_e32 v181, v60, v99
	v_mul_f32_e32 v73, v69, v97
	v_mul_f32_e32 v80, v68, v97
	v_mul_f32_e32 v82, v69, v99
	v_mul_f32_e32 v122, v68, v99
	v_fma_f32 v124, v46, v84, -v134
	v_fmac_f32_e32 v135, v47, v84
	v_fma_f32 v126, v46, v86, -v136
	v_fmac_f32_e32 v137, v47, v86
	;; [unrolled: 2-line block ×4, first 2 shown]
	v_mul_f32_e32 v47, v77, v97
	v_mul_f32_e32 v97, v76, v97
	;; [unrolled: 1-line block ×4, first 2 shown]
	v_fma_f32 v132, v54, v84, -v142
	v_fmac_f32_e32 v143, v55, v84
	v_fma_f32 v133, v54, v86, -v144
	v_fmac_f32_e32 v145, v55, v86
	;; [unrolled: 2-line block ×4, first 2 shown]
	v_mul_f32_e32 v136, v58, v101
	v_mul_f32_e32 v140, v58, v103
	v_fma_f32 v142, v66, v84, -v150
	v_fmac_f32_e32 v151, v67, v84
	v_fma_f32 v144, v66, v86, -v152
	v_fmac_f32_e32 v153, v67, v86
	;; [unrolled: 2-line block ×4, first 2 shown]
	v_mul_f32_e32 v148, v58, v105
	v_mul_f32_e32 v152, v58, v107
	v_fma_f32 v154, v74, v84, -v158
	v_fmac_f32_e32 v85, v75, v84
	v_fma_f32 v84, v74, v86, -v159
	v_fmac_f32_e32 v87, v75, v86
	;; [unrolled: 2-line block ×4, first 2 shown]
	v_add_f32_e32 v6, v38, v6
	v_add_f32_e32 v7, v39, v7
	;; [unrolled: 1-line block ×32, first 2 shown]
	v_mul_f32_e32 v55, v59, v101
	v_mul_f32_e32 v138, v59, v103
	;; [unrolled: 1-line block ×16, first 2 shown]
	v_fma_f32 v162, v56, v92, -v162
	v_fmac_f32_e32 v163, v57, v92
	v_fma_f32 v164, v56, v94, -v164
	v_fmac_f32_e32 v165, v57, v94
	;; [unrolled: 2-line block ×8, first 2 shown]
	v_mul_f32_e32 v94, v71, v105
	v_mul_f32_e32 v175, v70, v105
	;; [unrolled: 1-line block ×4, first 2 shown]
	v_fma_f32 v176, v56, v96, -v176
	v_fmac_f32_e32 v177, v57, v96
	v_fma_f32 v56, v56, v98, -v178
	v_fmac_f32_e32 v179, v57, v98
	;; [unrolled: 2-line block ×8, first 2 shown]
	v_mul_f32_e32 v69, v79, v101
	v_mul_f32_e32 v73, v78, v101
	;; [unrolled: 1-line block ×4, first 2 shown]
	v_fmac_f32_e32 v136, v59, v100
	v_fmac_f32_e32 v140, v59, v102
	;; [unrolled: 1-line block ×4, first 2 shown]
	v_mul_f32_e32 v59, v79, v105
	v_mul_f32_e32 v96, v78, v105
	;; [unrolled: 1-line block ×4, first 2 shown]
	v_add_f32_e32 v6, v6, v124
	v_add_f32_e32 v7, v7, v135
	;; [unrolled: 1-line block ×32, first 2 shown]
	v_fma_f32 v55, v58, v100, -v55
	v_fma_f32 v82, v58, v102, -v138
	;; [unrolled: 1-line block ×5, first 2 shown]
	v_fmac_f32_e32 v156, v63, v100
	v_fma_f32 v103, v62, v102, -v158
	v_fmac_f32_e32 v159, v63, v102
	v_fma_f32 v75, v62, v104, -v75
	v_fmac_f32_e32 v88, v63, v104
	v_fma_f32 v62, v62, v106, -v90
	v_fmac_f32_e32 v161, v63, v106
	v_fma_f32 v63, v70, v100, -v182
	v_fmac_f32_e32 v183, v71, v100
	v_fma_f32 v90, v70, v102, -v184
	v_fmac_f32_e32 v185, v71, v102
	v_fma_f32 v94, v70, v104, -v94
	v_fmac_f32_e32 v175, v71, v104
	v_fma_f32 v70, v70, v106, -v186
	v_fmac_f32_e32 v187, v71, v106
	v_fma_f32 v69, v78, v100, -v69
	v_fmac_f32_e32 v73, v79, v100
	v_fma_f32 v71, v78, v102, -v76
	v_fmac_f32_e32 v77, v79, v102
	v_fma_f32 v59, v78, v104, -v59
	v_fmac_f32_e32 v96, v79, v104
	v_fma_f32 v76, v78, v106, -v98
	v_fmac_f32_e32 v101, v79, v106
	v_add_f32_e32 v6, v6, v162
	v_add_f32_e32 v7, v7, v163
	;; [unrolled: 1-line block ×64, first 2 shown]
	s_cbranch_vccnz .LBB242_2
.LBB242_3:
	s_lshl_b64 s[0:1], s[30:31], 3
	s_waitcnt lgkmcnt(0)
	s_add_u32 s8, s8, s0
	s_addc_u32 s9, s9, s1
	v_add_co_u32 v4, s1, s10, v1
	v_add_co_ci_u32_e64 v5, null, s11, 0, s1
	v_add_co_u32 v0, s1, s6, v0
	s_or_b32 s0, s2, s3
	v_add_co_ci_u32_e64 v1, null, s7, 0, s1
	s_bitset0_b32 s0, 31
	s_mov_b32 s6, 0
	s_cmp_lg_u32 s0, 0
	s_cbranch_scc1 .LBB242_5
; %bb.4:
	v_mul_lo_u32 v6, v5, s28
	v_mul_lo_u32 v40, v4, s29
	v_mad_u64_u32 v[2:3], null, v4, s28, 0
	v_mul_f32_e32 v42, s15, v39
	v_mul_f32_e32 v7, s14, v39
	;; [unrolled: 1-line block ×6, first 2 shown]
	v_add3_u32 v3, v3, v40, v6
	v_lshlrev_b64 v[40:41], 3, v[0:1]
	v_mul_f32_e32 v48, s15, v33
	v_mul_f32_e32 v47, s14, v33
	v_fma_f32 v6, v38, s14, -v42
	v_lshlrev_b64 v[2:3], 3, v[2:3]
	v_fmac_f32_e32 v7, s15, v38
	v_fma_f32 v42, v36, s14, -v44
	v_fmac_f32_e32 v43, s15, v36
	s_lshl_b64 s[0:1], s[28:29], 7
	v_fma_f32 v44, v34, s14, -v46
	v_add_co_u32 v49, vcc_lo, s8, v2
	v_add_co_ci_u32_e64 v50, null, s9, v3, vcc_lo
	v_fmac_f32_e32 v45, s15, v34
	v_add_co_u32 v2, vcc_lo, v49, v40
	v_add_co_ci_u32_e64 v3, null, v50, v41, vcc_lo
	v_fma_f32 v46, v32, s14, -v48
	v_fmac_f32_e32 v47, s15, v32
	v_add_co_u32 v48, vcc_lo, v49, s0
	flat_store_dwordx2 v[2:3], v[6:7]
	flat_store_dwordx2 v[2:3], v[42:43] offset:128
	flat_store_dwordx2 v[2:3], v[44:45] offset:256
	;; [unrolled: 1-line block ×3, first 2 shown]
	v_mul_f32_e32 v2, s15, v31
	v_mul_f32_e32 v3, s14, v31
	v_add_co_ci_u32_e64 v49, null, s1, v50, vcc_lo
	v_mul_f32_e32 v6, s15, v29
	v_mul_f32_e32 v7, s14, v29
	;; [unrolled: 1-line block ×4, first 2 shown]
	v_add_co_u32 v44, vcc_lo, v48, v40
	v_fma_f32 v2, v30, s14, -v2
	v_fmac_f32_e32 v3, s15, v30
	v_add_co_ci_u32_e64 v45, null, v49, v41, vcc_lo
	v_fma_f32 v6, v28, s14, -v6
	v_fmac_f32_e32 v7, s15, v28
	v_fma_f32 v42, v26, s14, -v42
	v_fmac_f32_e32 v43, s15, v26
	v_add_co_u32 v52, vcc_lo, v48, s0
	v_mul_f32_e32 v46, s15, v25
	v_mul_f32_e32 v47, s14, v25
	flat_store_dwordx2 v[44:45], v[2:3]
	flat_store_dwordx2 v[44:45], v[6:7] offset:128
	flat_store_dwordx2 v[44:45], v[42:43] offset:256
	v_mul_f32_e32 v2, s15, v23
	v_mul_f32_e32 v3, s14, v23
	v_add_co_ci_u32_e64 v53, null, s1, v49, vcc_lo
	v_mul_f32_e32 v42, s15, v21
	v_mul_f32_e32 v43, s14, v21
	;; [unrolled: 1-line block ×4, first 2 shown]
	v_add_co_u32 v6, vcc_lo, v52, v40
	v_mul_f32_e32 v50, s15, v17
	v_mul_f32_e32 v51, s14, v17
	v_fma_f32 v46, v24, s14, -v46
	v_fmac_f32_e32 v47, s15, v24
	v_fma_f32 v2, v22, s14, -v2
	v_fmac_f32_e32 v3, s15, v22
	v_add_co_ci_u32_e64 v7, null, v53, v41, vcc_lo
	v_fma_f32 v42, v20, s14, -v42
	v_fmac_f32_e32 v43, s15, v20
	v_fma_f32 v48, v18, s14, -v48
	v_fmac_f32_e32 v49, s15, v18
	v_fma_f32 v50, v16, s14, -v50
	v_fmac_f32_e32 v51, s15, v16
	flat_store_dwordx2 v[44:45], v[46:47] offset:384
	flat_store_dwordx2 v[6:7], v[2:3]
	flat_store_dwordx2 v[6:7], v[42:43] offset:128
	flat_store_dwordx2 v[6:7], v[48:49] offset:256
	;; [unrolled: 1-line block ×3, first 2 shown]
	v_mul_f32_e32 v2, s15, v15
	v_add_co_u32 v3, vcc_lo, v52, s0
	v_add_co_ci_u32_e64 v6, null, s1, v53, vcc_lo
	v_fma_f32 v42, v14, s14, -v2
	v_mul_f32_e32 v2, s15, v13
	v_add_co_u32 v40, vcc_lo, v3, v40
	v_mul_f32_e32 v43, s14, v15
	v_add_co_ci_u32_e64 v41, null, v6, v41, vcc_lo
	v_fma_f32 v44, v12, s14, -v2
	v_mul_f32_e32 v2, s15, v11
	v_mul_f32_e32 v3, s15, v8
	;; [unrolled: 1-line block ×5, first 2 shown]
	v_fma_f32 v46, v10, s14, -v2
	v_add_co_u32 v2, vcc_lo, 0x180, v40
	v_fmac_f32_e32 v43, s15, v14
	v_fma_f32 v7, v9, s14, -v3
	v_fmac_f32_e32 v6, s15, v9
	v_add_co_ci_u32_e64 v3, null, 0, v41, vcc_lo
	v_fmac_f32_e32 v45, s15, v12
	v_fmac_f32_e32 v47, s15, v10
	flat_store_dwordx2 v[40:41], v[42:43]
	flat_store_dwordx2 v[40:41], v[44:45] offset:128
	flat_store_dwordx2 v[40:41], v[46:47] offset:256
	flat_store_dword v[40:41], v7 offset:384
	s_andn2_b32 vcc_lo, exec_lo, s6
	s_cbranch_vccz .LBB242_6
	s_branch .LBB242_7
.LBB242_5:
                                        ; implicit-def: $vgpr6
                                        ; implicit-def: $vgpr2_vgpr3
.LBB242_6:
	v_mul_lo_u32 v6, v5, s38
	v_mul_lo_u32 v7, v4, s39
	v_mad_u64_u32 v[2:3], null, v4, s38, 0
	s_lshl_b64 s[0:1], s[40:41], 3
	v_lshlrev_b64 v[0:1], 3, v[0:1]
	s_add_u32 s0, s4, s0
	s_addc_u32 s1, s5, s1
	v_mul_lo_u32 v42, v5, s28
	v_mul_lo_u32 v43, v4, s29
	v_add3_u32 v3, v3, v7, v6
	v_mad_u64_u32 v[4:5], null, v4, s28, 0
	s_lshl_b64 s[4:5], s[28:29], 7
	v_lshlrev_b64 v[2:3], 3, v[2:3]
	v_add3_u32 v5, v5, v43, v42
	v_mul_f32_e32 v42, s15, v39
	v_add_co_u32 v40, vcc_lo, s0, v2
	v_add_co_ci_u32_e64 v41, null, s1, v3, vcc_lo
	v_mul_f32_e32 v39, s14, v39
	v_add_co_u32 v2, vcc_lo, v40, v0
	v_add_co_ci_u32_e64 v3, null, v41, v1, vcc_lo
	v_lshlrev_b64 v[4:5], 3, v[4:5]
	v_fma_f32 v42, v38, s14, -v42
	v_fmac_f32_e32 v39, s15, v38
	flat_load_dwordx2 v[6:7], v[2:3]
	s_lshl_b64 s[0:1], s[38:39], 7
	v_add_co_u32 v43, vcc_lo, s8, v4
	v_add_co_ci_u32_e64 v44, null, s9, v5, vcc_lo
	v_add_co_u32 v4, vcc_lo, v43, v0
	v_add_co_ci_u32_e64 v5, null, v44, v1, vcc_lo
	s_waitcnt vmcnt(0) lgkmcnt(0)
	v_mul_f32_e32 v38, s3, v7
	v_mul_f32_e32 v7, s2, v7
	v_fma_f32 v38, v6, s2, -v38
	v_fmac_f32_e32 v7, s3, v6
	v_add_f32_e32 v6, v42, v38
	v_add_f32_e32 v7, v39, v7
	v_mul_f32_e32 v38, s15, v37
	v_mul_f32_e32 v37, s14, v37
	flat_store_dwordx2 v[4:5], v[6:7]
	flat_load_dwordx2 v[6:7], v[2:3] offset:128
	v_fma_f32 v38, v36, s14, -v38
	v_fmac_f32_e32 v37, s15, v36
	s_waitcnt vmcnt(0) lgkmcnt(0)
	v_mul_f32_e32 v39, s3, v7
	v_mul_f32_e32 v7, s2, v7
	v_fma_f32 v36, v6, s2, -v39
	v_fmac_f32_e32 v7, s3, v6
	v_add_f32_e32 v6, v38, v36
	v_add_f32_e32 v7, v37, v7
	v_mul_f32_e32 v36, s15, v35
	v_mul_f32_e32 v35, s14, v35
	flat_store_dwordx2 v[4:5], v[6:7] offset:128
	flat_load_dwordx2 v[6:7], v[2:3] offset:256
	v_fma_f32 v36, v34, s14, -v36
	v_fmac_f32_e32 v35, s15, v34
	s_waitcnt vmcnt(0) lgkmcnt(0)
	v_mul_f32_e32 v37, s3, v7
	v_mul_f32_e32 v7, s2, v7
	v_fma_f32 v34, v6, s2, -v37
	v_fmac_f32_e32 v7, s3, v6
	v_add_f32_e32 v6, v36, v34
	v_add_f32_e32 v7, v35, v7
	flat_store_dwordx2 v[4:5], v[6:7] offset:256
	flat_load_dwordx2 v[2:3], v[2:3] offset:384
	v_mul_f32_e32 v6, s15, v33
	v_mul_f32_e32 v7, s14, v33
	v_fma_f32 v6, v32, s14, -v6
	v_fmac_f32_e32 v7, s15, v32
	s_waitcnt vmcnt(0) lgkmcnt(0)
	v_mul_f32_e32 v33, s3, v3
	v_mul_f32_e32 v3, s2, v3
	v_fma_f32 v32, v2, s2, -v33
	v_add_co_u32 v33, vcc_lo, v40, s0
	v_fmac_f32_e32 v3, s3, v2
	v_add_co_ci_u32_e64 v34, null, s1, v41, vcc_lo
	v_add_f32_e32 v2, v6, v32
	v_add_co_u32 v6, vcc_lo, v33, v0
	v_add_f32_e32 v3, v7, v3
	v_add_co_ci_u32_e64 v7, null, v34, v1, vcc_lo
	v_add_co_u32 v32, vcc_lo, v43, s4
	flat_store_dwordx2 v[4:5], v[2:3] offset:384
	flat_load_dwordx2 v[2:3], v[6:7]
	v_mul_f32_e32 v4, s15, v31
	v_mul_f32_e32 v5, s14, v31
	v_add_co_ci_u32_e64 v35, null, s5, v44, vcc_lo
	v_fma_f32 v4, v30, s14, -v4
	v_fmac_f32_e32 v5, s15, v30
	s_waitcnt vmcnt(0) lgkmcnt(0)
	v_mul_f32_e32 v30, s3, v3
	v_mul_f32_e32 v31, s2, v3
	v_fma_f32 v30, v2, s2, -v30
	v_fmac_f32_e32 v31, s3, v2
	v_add_co_u32 v2, vcc_lo, v32, v0
	v_add_co_ci_u32_e64 v3, null, v35, v1, vcc_lo
	v_add_f32_e32 v4, v4, v30
	v_add_f32_e32 v5, v5, v31
	v_mul_f32_e32 v30, s15, v29
	v_mul_f32_e32 v29, s14, v29
	flat_store_dwordx2 v[2:3], v[4:5]
	flat_load_dwordx2 v[4:5], v[6:7] offset:128
	v_fma_f32 v30, v28, s14, -v30
	v_fmac_f32_e32 v29, s15, v28
	s_waitcnt vmcnt(0) lgkmcnt(0)
	v_mul_f32_e32 v31, s3, v5
	v_mul_f32_e32 v5, s2, v5
	v_fma_f32 v28, v4, s2, -v31
	v_fmac_f32_e32 v5, s3, v4
	v_add_f32_e32 v4, v30, v28
	v_add_f32_e32 v5, v29, v5
	v_mul_f32_e32 v28, s15, v27
	v_mul_f32_e32 v27, s14, v27
	flat_store_dwordx2 v[2:3], v[4:5] offset:128
	flat_load_dwordx2 v[4:5], v[6:7] offset:256
	v_fma_f32 v28, v26, s14, -v28
	v_fmac_f32_e32 v27, s15, v26
	s_waitcnt vmcnt(0) lgkmcnt(0)
	v_mul_f32_e32 v29, s3, v5
	v_mul_f32_e32 v5, s2, v5
	v_fma_f32 v26, v4, s2, -v29
	v_fmac_f32_e32 v5, s3, v4
	v_add_f32_e32 v4, v28, v26
	v_add_f32_e32 v5, v27, v5
	flat_store_dwordx2 v[2:3], v[4:5] offset:256
	flat_load_dwordx2 v[4:5], v[6:7] offset:384
	v_mul_f32_e32 v6, s15, v25
	v_mul_f32_e32 v7, s14, v25
	v_fma_f32 v6, v24, s14, -v6
	v_fmac_f32_e32 v7, s15, v24
	s_waitcnt vmcnt(0) lgkmcnt(0)
	v_mul_f32_e32 v25, s3, v5
	v_mul_f32_e32 v5, s2, v5
	v_fma_f32 v24, v4, s2, -v25
	v_add_co_u32 v25, vcc_lo, v33, s0
	v_fmac_f32_e32 v5, s3, v4
	v_add_co_ci_u32_e64 v26, null, s1, v34, vcc_lo
	v_add_f32_e32 v4, v6, v24
	v_add_co_u32 v6, vcc_lo, v25, v0
	v_add_f32_e32 v5, v7, v5
	v_add_co_ci_u32_e64 v7, null, v26, v1, vcc_lo
	v_add_co_u32 v24, vcc_lo, v32, s4
	flat_store_dwordx2 v[2:3], v[4:5] offset:384
	flat_load_dwordx2 v[2:3], v[6:7]
	v_mul_f32_e32 v4, s15, v23
	v_mul_f32_e32 v5, s14, v23
	v_add_co_ci_u32_e64 v27, null, s5, v35, vcc_lo
	v_fma_f32 v4, v22, s14, -v4
	v_fmac_f32_e32 v5, s15, v22
	s_waitcnt vmcnt(0) lgkmcnt(0)
	v_mul_f32_e32 v22, s3, v3
	v_mul_f32_e32 v23, s2, v3
	v_fma_f32 v22, v2, s2, -v22
	v_fmac_f32_e32 v23, s3, v2
	v_add_co_u32 v2, vcc_lo, v24, v0
	v_add_co_ci_u32_e64 v3, null, v27, v1, vcc_lo
	v_add_f32_e32 v4, v4, v22
	v_add_f32_e32 v5, v5, v23
	v_mul_f32_e32 v22, s15, v21
	v_mul_f32_e32 v21, s14, v21
	flat_store_dwordx2 v[2:3], v[4:5]
	flat_load_dwordx2 v[4:5], v[6:7] offset:128
	v_fma_f32 v22, v20, s14, -v22
	v_fmac_f32_e32 v21, s15, v20
	s_waitcnt vmcnt(0) lgkmcnt(0)
	v_mul_f32_e32 v23, s3, v5
	v_mul_f32_e32 v5, s2, v5
	v_fma_f32 v20, v4, s2, -v23
	v_fmac_f32_e32 v5, s3, v4
	v_add_f32_e32 v4, v22, v20
	v_add_f32_e32 v5, v21, v5
	v_mul_f32_e32 v20, s15, v19
	v_mul_f32_e32 v19, s14, v19
	flat_store_dwordx2 v[2:3], v[4:5] offset:128
	flat_load_dwordx2 v[4:5], v[6:7] offset:256
	v_fma_f32 v20, v18, s14, -v20
	v_fmac_f32_e32 v19, s15, v18
	s_waitcnt vmcnt(0) lgkmcnt(0)
	v_mul_f32_e32 v21, s3, v5
	v_mul_f32_e32 v5, s2, v5
	v_fma_f32 v18, v4, s2, -v21
	v_fmac_f32_e32 v5, s3, v4
	v_add_f32_e32 v4, v20, v18
	v_add_f32_e32 v5, v19, v5
	flat_store_dwordx2 v[2:3], v[4:5] offset:256
	flat_load_dwordx2 v[4:5], v[6:7] offset:384
	v_mul_f32_e32 v6, s15, v17
	v_mul_f32_e32 v7, s14, v17
	v_fma_f32 v6, v16, s14, -v6
	v_fmac_f32_e32 v7, s15, v16
	s_waitcnt vmcnt(0) lgkmcnt(0)
	v_mul_f32_e32 v17, s3, v5
	v_mul_f32_e32 v5, s2, v5
	v_fma_f32 v16, v4, s2, -v17
	v_add_co_u32 v17, vcc_lo, v25, s0
	v_fmac_f32_e32 v5, s3, v4
	v_add_co_ci_u32_e64 v18, null, s1, v26, vcc_lo
	v_add_f32_e32 v4, v6, v16
	v_add_co_u32 v6, vcc_lo, v17, v0
	v_add_f32_e32 v5, v7, v5
	v_add_co_ci_u32_e64 v7, null, v18, v1, vcc_lo
	flat_store_dwordx2 v[2:3], v[4:5] offset:384
	flat_load_dwordx2 v[2:3], v[6:7]
	v_mul_f32_e32 v4, s15, v15
	v_mul_f32_e32 v5, s14, v15
	v_add_co_u32 v15, vcc_lo, v24, s4
	v_add_co_ci_u32_e64 v16, null, s5, v27, vcc_lo
	v_fma_f32 v4, v14, s14, -v4
	v_fmac_f32_e32 v5, s15, v14
	v_add_co_u32 v0, vcc_lo, v15, v0
	v_add_co_ci_u32_e64 v1, null, v16, v1, vcc_lo
	s_waitcnt vmcnt(0) lgkmcnt(0)
	v_mul_f32_e32 v14, s3, v3
	v_mul_f32_e32 v3, s2, v3
	v_fma_f32 v14, v2, s2, -v14
	v_fmac_f32_e32 v3, s3, v2
	v_add_f32_e32 v2, v4, v14
	v_add_f32_e32 v3, v5, v3
	v_mul_f32_e32 v4, s15, v13
	v_mul_f32_e32 v5, s14, v13
	flat_store_dwordx2 v[0:1], v[2:3]
	flat_load_dwordx2 v[2:3], v[6:7] offset:128
	v_fma_f32 v4, v12, s14, -v4
	v_fmac_f32_e32 v5, s15, v12
	s_waitcnt vmcnt(0) lgkmcnt(0)
	v_mul_f32_e32 v13, s3, v3
	v_mul_f32_e32 v3, s2, v3
	v_fma_f32 v12, v2, s2, -v13
	v_fmac_f32_e32 v3, s3, v2
	v_add_f32_e32 v2, v4, v12
	v_add_f32_e32 v3, v5, v3
	v_mul_f32_e32 v4, s15, v11
	v_mul_f32_e32 v5, s14, v11
	flat_store_dwordx2 v[0:1], v[2:3] offset:128
	flat_load_dwordx2 v[2:3], v[6:7] offset:256
	v_fma_f32 v4, v10, s14, -v4
	v_fmac_f32_e32 v5, s15, v10
	s_waitcnt vmcnt(0) lgkmcnt(0)
	v_mul_f32_e32 v11, s3, v3
	v_mul_f32_e32 v3, s2, v3
	v_fma_f32 v10, v2, s2, -v11
	v_fmac_f32_e32 v3, s3, v2
	v_add_f32_e32 v2, v4, v10
	v_add_f32_e32 v3, v5, v3
	v_mul_f32_e32 v4, s15, v8
	v_mul_f32_e32 v5, s14, v8
	flat_store_dwordx2 v[0:1], v[2:3] offset:256
	flat_load_dwordx2 v[2:3], v[6:7] offset:384
	v_fma_f32 v4, v9, s14, -v4
	v_fmac_f32_e32 v5, s15, v9
	s_waitcnt vmcnt(0) lgkmcnt(0)
	v_mul_f32_e32 v6, s3, v3
	v_mul_f32_e32 v3, s2, v3
	v_fma_f32 v6, v2, s2, -v6
	v_fmac_f32_e32 v3, s3, v2
	v_add_co_u32 v2, vcc_lo, 0x180, v0
	v_add_f32_e32 v4, v4, v6
	v_add_f32_e32 v6, v5, v3
	v_add_co_ci_u32_e64 v3, null, 0, v1, vcc_lo
	flat_store_dword v[0:1], v4 offset:384
.LBB242_7:
	flat_store_dword v[2:3], v6 offset:4
	s_endpgm
	.section	.rodata,"a",@progbits
	.p2align	6, 0x0
	.amdhsa_kernel _ZN12_GLOBAL__N_127rocblas_gemm_batched_kernelI19rocblas_complex_numIfELi16ELi16ELi64ELi64ELi4ELi64ELi4ELi4ELi64ELc84ELc67EKPKS2_S5_KPS2_EEvlllT_PT11_llSA_llS8_PT12_llPT13_lli
		.amdhsa_group_segment_fixed_size 4096
		.amdhsa_private_segment_fixed_size 0
		.amdhsa_kernarg_size 140
		.amdhsa_user_sgpr_count 6
		.amdhsa_user_sgpr_private_segment_buffer 1
		.amdhsa_user_sgpr_dispatch_ptr 0
		.amdhsa_user_sgpr_queue_ptr 0
		.amdhsa_user_sgpr_kernarg_segment_ptr 1
		.amdhsa_user_sgpr_dispatch_id 0
		.amdhsa_user_sgpr_flat_scratch_init 0
		.amdhsa_user_sgpr_private_segment_size 0
		.amdhsa_wavefront_size32 1
		.amdhsa_uses_dynamic_stack 0
		.amdhsa_system_sgpr_private_segment_wavefront_offset 0
		.amdhsa_system_sgpr_workgroup_id_x 1
		.amdhsa_system_sgpr_workgroup_id_y 1
		.amdhsa_system_sgpr_workgroup_id_z 1
		.amdhsa_system_sgpr_workgroup_info 0
		.amdhsa_system_vgpr_workitem_id 1
		.amdhsa_next_free_vgpr 188
		.amdhsa_next_free_sgpr 44
		.amdhsa_reserve_vcc 1
		.amdhsa_reserve_flat_scratch 0
		.amdhsa_float_round_mode_32 0
		.amdhsa_float_round_mode_16_64 0
		.amdhsa_float_denorm_mode_32 3
		.amdhsa_float_denorm_mode_16_64 3
		.amdhsa_dx10_clamp 1
		.amdhsa_ieee_mode 1
		.amdhsa_fp16_overflow 0
		.amdhsa_workgroup_processor_mode 1
		.amdhsa_memory_ordered 1
		.amdhsa_forward_progress 1
		.amdhsa_shared_vgpr_count 0
		.amdhsa_exception_fp_ieee_invalid_op 0
		.amdhsa_exception_fp_denorm_src 0
		.amdhsa_exception_fp_ieee_div_zero 0
		.amdhsa_exception_fp_ieee_overflow 0
		.amdhsa_exception_fp_ieee_underflow 0
		.amdhsa_exception_fp_ieee_inexact 0
		.amdhsa_exception_int_div_zero 0
	.end_amdhsa_kernel
	.section	.text._ZN12_GLOBAL__N_127rocblas_gemm_batched_kernelI19rocblas_complex_numIfELi16ELi16ELi64ELi64ELi4ELi64ELi4ELi4ELi64ELc84ELc67EKPKS2_S5_KPS2_EEvlllT_PT11_llSA_llS8_PT12_llPT13_lli,"axG",@progbits,_ZN12_GLOBAL__N_127rocblas_gemm_batched_kernelI19rocblas_complex_numIfELi16ELi16ELi64ELi64ELi4ELi64ELi4ELi4ELi64ELc84ELc67EKPKS2_S5_KPS2_EEvlllT_PT11_llSA_llS8_PT12_llPT13_lli,comdat
.Lfunc_end242:
	.size	_ZN12_GLOBAL__N_127rocblas_gemm_batched_kernelI19rocblas_complex_numIfELi16ELi16ELi64ELi64ELi4ELi64ELi4ELi4ELi64ELc84ELc67EKPKS2_S5_KPS2_EEvlllT_PT11_llSA_llS8_PT12_llPT13_lli, .Lfunc_end242-_ZN12_GLOBAL__N_127rocblas_gemm_batched_kernelI19rocblas_complex_numIfELi16ELi16ELi64ELi64ELi4ELi64ELi4ELi4ELi64ELc84ELc67EKPKS2_S5_KPS2_EEvlllT_PT11_llSA_llS8_PT12_llPT13_lli
                                        ; -- End function
	.set _ZN12_GLOBAL__N_127rocblas_gemm_batched_kernelI19rocblas_complex_numIfELi16ELi16ELi64ELi64ELi4ELi64ELi4ELi4ELi64ELc84ELc67EKPKS2_S5_KPS2_EEvlllT_PT11_llSA_llS8_PT12_llPT13_lli.num_vgpr, 188
	.set _ZN12_GLOBAL__N_127rocblas_gemm_batched_kernelI19rocblas_complex_numIfELi16ELi16ELi64ELi64ELi4ELi64ELi4ELi4ELi64ELc84ELc67EKPKS2_S5_KPS2_EEvlllT_PT11_llSA_llS8_PT12_llPT13_lli.num_agpr, 0
	.set _ZN12_GLOBAL__N_127rocblas_gemm_batched_kernelI19rocblas_complex_numIfELi16ELi16ELi64ELi64ELi4ELi64ELi4ELi4ELi64ELc84ELc67EKPKS2_S5_KPS2_EEvlllT_PT11_llSA_llS8_PT12_llPT13_lli.numbered_sgpr, 44
	.set _ZN12_GLOBAL__N_127rocblas_gemm_batched_kernelI19rocblas_complex_numIfELi16ELi16ELi64ELi64ELi4ELi64ELi4ELi4ELi64ELc84ELc67EKPKS2_S5_KPS2_EEvlllT_PT11_llSA_llS8_PT12_llPT13_lli.num_named_barrier, 0
	.set _ZN12_GLOBAL__N_127rocblas_gemm_batched_kernelI19rocblas_complex_numIfELi16ELi16ELi64ELi64ELi4ELi64ELi4ELi4ELi64ELc84ELc67EKPKS2_S5_KPS2_EEvlllT_PT11_llSA_llS8_PT12_llPT13_lli.private_seg_size, 0
	.set _ZN12_GLOBAL__N_127rocblas_gemm_batched_kernelI19rocblas_complex_numIfELi16ELi16ELi64ELi64ELi4ELi64ELi4ELi4ELi64ELc84ELc67EKPKS2_S5_KPS2_EEvlllT_PT11_llSA_llS8_PT12_llPT13_lli.uses_vcc, 1
	.set _ZN12_GLOBAL__N_127rocblas_gemm_batched_kernelI19rocblas_complex_numIfELi16ELi16ELi64ELi64ELi4ELi64ELi4ELi4ELi64ELc84ELc67EKPKS2_S5_KPS2_EEvlllT_PT11_llSA_llS8_PT12_llPT13_lli.uses_flat_scratch, 0
	.set _ZN12_GLOBAL__N_127rocblas_gemm_batched_kernelI19rocblas_complex_numIfELi16ELi16ELi64ELi64ELi4ELi64ELi4ELi4ELi64ELc84ELc67EKPKS2_S5_KPS2_EEvlllT_PT11_llSA_llS8_PT12_llPT13_lli.has_dyn_sized_stack, 0
	.set _ZN12_GLOBAL__N_127rocblas_gemm_batched_kernelI19rocblas_complex_numIfELi16ELi16ELi64ELi64ELi4ELi64ELi4ELi4ELi64ELc84ELc67EKPKS2_S5_KPS2_EEvlllT_PT11_llSA_llS8_PT12_llPT13_lli.has_recursion, 0
	.set _ZN12_GLOBAL__N_127rocblas_gemm_batched_kernelI19rocblas_complex_numIfELi16ELi16ELi64ELi64ELi4ELi64ELi4ELi4ELi64ELc84ELc67EKPKS2_S5_KPS2_EEvlllT_PT11_llSA_llS8_PT12_llPT13_lli.has_indirect_call, 0
	.section	.AMDGPU.csdata,"",@progbits
; Kernel info:
; codeLenInByte = 4944
; TotalNumSgprs: 46
; NumVgprs: 188
; ScratchSize: 0
; MemoryBound: 0
; FloatMode: 240
; IeeeMode: 1
; LDSByteSize: 4096 bytes/workgroup (compile time only)
; SGPRBlocks: 0
; VGPRBlocks: 23
; NumSGPRsForWavesPerEU: 46
; NumVGPRsForWavesPerEU: 188
; Occupancy: 5
; WaveLimiterHint : 1
; COMPUTE_PGM_RSRC2:SCRATCH_EN: 0
; COMPUTE_PGM_RSRC2:USER_SGPR: 6
; COMPUTE_PGM_RSRC2:TRAP_HANDLER: 0
; COMPUTE_PGM_RSRC2:TGID_X_EN: 1
; COMPUTE_PGM_RSRC2:TGID_Y_EN: 1
; COMPUTE_PGM_RSRC2:TGID_Z_EN: 1
; COMPUTE_PGM_RSRC2:TIDIG_COMP_CNT: 1
	.section	.text._ZN12_GLOBAL__N_127rocblas_gemm_batched_kernelI19rocblas_complex_numIfELi16ELi16ELi32ELi32ELi8ELi32ELi8ELi8ELi32ELc78ELc78EKPKS2_S5_KPS2_EEvlllT_PT11_llSA_llS8_PT12_llPT13_lli,"axG",@progbits,_ZN12_GLOBAL__N_127rocblas_gemm_batched_kernelI19rocblas_complex_numIfELi16ELi16ELi32ELi32ELi8ELi32ELi8ELi8ELi32ELc78ELc78EKPKS2_S5_KPS2_EEvlllT_PT11_llSA_llS8_PT12_llPT13_lli,comdat
	.globl	_ZN12_GLOBAL__N_127rocblas_gemm_batched_kernelI19rocblas_complex_numIfELi16ELi16ELi32ELi32ELi8ELi32ELi8ELi8ELi32ELc78ELc78EKPKS2_S5_KPS2_EEvlllT_PT11_llSA_llS8_PT12_llPT13_lli ; -- Begin function _ZN12_GLOBAL__N_127rocblas_gemm_batched_kernelI19rocblas_complex_numIfELi16ELi16ELi32ELi32ELi8ELi32ELi8ELi8ELi32ELc78ELc78EKPKS2_S5_KPS2_EEvlllT_PT11_llSA_llS8_PT12_llPT13_lli
	.p2align	8
	.type	_ZN12_GLOBAL__N_127rocblas_gemm_batched_kernelI19rocblas_complex_numIfELi16ELi16ELi32ELi32ELi8ELi32ELi8ELi8ELi32ELc78ELc78EKPKS2_S5_KPS2_EEvlllT_PT11_llSA_llS8_PT12_llPT13_lli,@function
_ZN12_GLOBAL__N_127rocblas_gemm_batched_kernelI19rocblas_complex_numIfELi16ELi16ELi32ELi32ELi8ELi32ELi8ELi8ELi32ELc78ELc78EKPKS2_S5_KPS2_EEvlllT_PT11_llSA_llS8_PT12_llPT13_lli: ; @_ZN12_GLOBAL__N_127rocblas_gemm_batched_kernelI19rocblas_complex_numIfELi16ELi16ELi32ELi32ELi8ELi32ELi8ELi8ELi32ELc78ELc78EKPKS2_S5_KPS2_EEvlllT_PT11_llSA_llS8_PT12_llPT13_lli
; %bb.0:
	s_clause 0x1
	s_load_dwordx8 s[36:43], s[4:5], 0x58
	s_load_dwordx16 s[12:27], s[4:5], 0x10
	s_mov_b32 s9, 0
	s_clause 0x1
	s_load_dwordx4 s[28:31], s[4:5], 0x78
	s_load_dwordx2 s[2:3], s[4:5], 0x50
	s_lshl_b64 s[0:1], s[8:9], 3
	s_mov_b32 s10, s7
	v_mov_b32_e32 v12, 0
	v_mov_b32_e32 v13, 0
	;; [unrolled: 1-line block ×8, first 2 shown]
	s_waitcnt lgkmcnt(0)
	s_add_u32 s4, s36, s0
	s_addc_u32 s5, s37, s1
	s_add_u32 s8, s42, s0
	s_addc_u32 s9, s43, s1
	s_load_dwordx2 s[4:5], s[4:5], 0x0
	s_load_dwordx2 s[8:9], s[8:9], 0x0
	v_cmp_lt_i64_e64 s33, s[12:13], 1
	s_ashr_i32 s7, s6, 31
	s_ashr_i32 s11, s10, 31
	s_lshl_b64 s[6:7], s[6:7], 5
	s_lshl_b64 s[10:11], s[10:11], 5
	s_and_b32 vcc_lo, exec_lo, s33
	s_cbranch_vccnz .LBB243_3
; %bb.1:
	v_lshl_add_u32 v2, v1, 4, v0
	s_add_u32 s16, s16, s0
	s_addc_u32 s17, s17, s1
	s_add_u32 s0, s22, s0
	v_and_b32_e32 v3, 7, v0
	v_lshrrev_b32_e32 v6, 3, v2
	v_lshrrev_b32_e32 v7, 5, v2
	s_load_dwordx2 s[16:17], s[16:17], 0x0
	v_and_b32_e32 v9, 31, v2
	v_lshlrev_b32_e32 v10, 3, v3
	v_add_co_u32 v4, s22, v6, s10
	v_add_co_ci_u32_e64 v5, null, 0, s11, s22
	v_mad_u64_u32 v[2:3], null, s18, v7, s[6:7]
	v_mul_lo_u32 v8, s25, v4
	v_mul_lo_u32 v11, s24, v5
	v_mad_u64_u32 v[4:5], null, s24, v4, 0
	v_lshlrev_b32_e32 v12, 3, v9
	s_addc_u32 s1, s23, s1
	s_lshl_b64 s[20:21], s[20:21], 3
	s_load_dwordx2 s[0:1], s[0:1], 0x0
	v_lshl_or_b32 v13, v6, 6, v10
	v_lshl_or_b32 v14, v7, 8, v12
	v_add3_u32 v5, v5, v11, v8
	v_mad_u64_u32 v[7:8], null, s19, v7, v[3:4]
	v_add_co_u32 v8, vcc_lo, v2, v9
	v_lshlrev_b64 v[3:4], 3, v[4:5]
	s_waitcnt lgkmcnt(0)
	s_add_u32 s20, s16, s20
	s_addc_u32 s21, s17, s21
	s_lshl_b64 s[16:17], s[26:27], 3
	v_add_co_ci_u32_e64 v9, null, 0, v7, vcc_lo
	v_add_co_u32 v5, vcc_lo, v3, s16
	v_add_co_ci_u32_e64 v4, null, s17, v4, vcc_lo
	v_lshlrev_b64 v[2:3], 3, v[8:9]
	v_add_co_u32 v5, vcc_lo, v5, v10
	v_add_co_ci_u32_e64 v7, null, 0, v4, vcc_lo
	v_mov_b32_e32 v6, 0
	v_add_co_u32 v2, vcc_lo, s20, v2
	v_add_co_ci_u32_e64 v3, null, s21, v3, vcc_lo
	v_add_co_u32 v4, vcc_lo, s0, v5
	v_add_nc_u32_e32 v15, 0x800, v13
	v_lshlrev_b32_e32 v16, 3, v0
	v_lshl_add_u32 v17, v1, 6, 0x800
	v_add_co_ci_u32_e64 v5, null, s1, v7, vcc_lo
	v_mov_b32_e32 v7, 0
	v_mov_b32_e32 v9, 0
	;; [unrolled: 1-line block ×7, first 2 shown]
	s_lshl_b64 s[16:17], s[18:19], 6
	s_mov_b64 s[18:19], 0
.LBB243_2:                              ; =>This Inner Loop Header: Depth=1
	flat_load_dwordx2 v[18:19], v[2:3]
	s_add_u32 s18, s18, 8
	s_addc_u32 s19, s19, 0
	v_add_co_u32 v2, vcc_lo, v2, s16
	v_cmp_lt_i64_e64 s0, s[18:19], s[12:13]
	v_add_co_ci_u32_e64 v3, null, s17, v3, vcc_lo
	s_and_b32 vcc_lo, exec_lo, s0
	s_waitcnt vmcnt(0) lgkmcnt(0)
	ds_write_b64 v14, v[18:19]
	flat_load_dwordx2 v[18:19], v[4:5]
	v_add_co_u32 v4, s0, v4, 64
	v_add_co_ci_u32_e64 v5, null, 0, v5, s0
	s_waitcnt vmcnt(0) lgkmcnt(0)
	ds_write_b64 v15, v[18:19]
	s_waitcnt lgkmcnt(0)
	s_barrier
	buffer_gl0_inv
	ds_read_b128 v[18:21], v17
	ds_read2_b64 v[22:25], v16 offset1:16
	ds_read_b128 v[26:29], v17 offset:1024
	ds_read2_b64 v[30:33], v16 offset0:32 offset1:48
	ds_read_b128 v[34:37], v17 offset:16
	ds_read2_b64 v[38:41], v16 offset0:64 offset1:80
	ds_read_b128 v[42:45], v17 offset:1040
	ds_read2_b64 v[46:49], v16 offset0:96 offset1:112
	ds_read2_b64 v[50:53], v16 offset0:128 offset1:144
	ds_read2_b64 v[54:57], v16 offset0:160 offset1:176
	ds_read_b128 v[58:61], v17 offset:32
	ds_read_b128 v[62:65], v17 offset:48
	ds_read2_b64 v[66:69], v16 offset0:192 offset1:208
	ds_read_b128 v[70:73], v17 offset:1056
	ds_read_b128 v[74:77], v17 offset:1072
	ds_read2_b64 v[78:81], v16 offset0:224 offset1:240
	s_waitcnt lgkmcnt(0)
	s_barrier
	buffer_gl0_inv
	v_mul_f32_e32 v82, v19, v23
	v_mul_f32_e32 v83, v18, v23
	v_mul_f32_e32 v84, v19, v25
	v_mul_f32_e32 v85, v18, v25
	v_mul_f32_e32 v86, v27, v23
	v_mul_f32_e32 v23, v26, v23
	v_mul_f32_e32 v87, v27, v25
	v_mul_f32_e32 v25, v26, v25
	v_mul_f32_e32 v88, v21, v31
	v_mul_f32_e32 v89, v20, v31
	v_mul_f32_e32 v90, v21, v33
	v_mul_f32_e32 v91, v20, v33
	v_fma_f32 v82, v18, v22, -v82
	v_fmac_f32_e32 v83, v19, v22
	v_fma_f32 v18, v18, v24, -v84
	v_fmac_f32_e32 v85, v19, v24
	;; [unrolled: 2-line block ×4, first 2 shown]
	v_mul_f32_e32 v24, v29, v31
	v_mul_f32_e32 v26, v28, v31
	;; [unrolled: 1-line block ×4, first 2 shown]
	v_fma_f32 v33, v20, v30, -v88
	v_fmac_f32_e32 v89, v21, v30
	v_fma_f32 v20, v20, v32, -v90
	v_fmac_f32_e32 v91, v21, v32
	v_mul_f32_e32 v21, v35, v39
	v_mul_f32_e32 v84, v34, v39
	v_mul_f32_e32 v86, v35, v41
	v_mul_f32_e32 v87, v34, v41
	v_fma_f32 v24, v28, v30, -v24
	v_fmac_f32_e32 v26, v29, v30
	v_fma_f32 v27, v28, v32, -v27
	v_fmac_f32_e32 v31, v29, v32
	v_mul_f32_e32 v28, v43, v39
	v_mul_f32_e32 v29, v42, v39
	v_mul_f32_e32 v30, v43, v41
	v_mul_f32_e32 v32, v42, v41
	v_add_f32_e32 v12, v12, v82
	v_add_f32_e32 v13, v13, v83
	v_add_f32_e32 v10, v10, v18
	v_add_f32_e32 v11, v11, v85
	v_add_f32_e32 v8, v8, v19
	v_add_f32_e32 v9, v9, v23
	v_add_f32_e32 v7, v7, v22
	v_add_f32_e32 v6, v6, v25
	v_mul_f32_e32 v39, v37, v47
	v_mul_f32_e32 v41, v36, v47
	v_mul_f32_e32 v88, v37, v49
	v_mul_f32_e32 v90, v36, v49
	v_fma_f32 v21, v34, v38, -v21
	v_fmac_f32_e32 v84, v35, v38
	v_fma_f32 v34, v34, v40, -v86
	v_fmac_f32_e32 v87, v35, v40
	v_fma_f32 v28, v42, v38, -v28
	v_fmac_f32_e32 v29, v43, v38
	v_fma_f32 v30, v42, v40, -v30
	v_fmac_f32_e32 v32, v43, v40
	v_mul_f32_e32 v35, v45, v47
	v_mul_f32_e32 v38, v44, v47
	v_mul_f32_e32 v40, v45, v49
	v_mul_f32_e32 v42, v44, v49
	v_add_f32_e32 v12, v12, v33
	v_add_f32_e32 v13, v13, v89
	v_add_f32_e32 v10, v10, v20
	v_add_f32_e32 v11, v11, v91
	v_add_f32_e32 v8, v8, v24
	v_add_f32_e32 v9, v9, v26
	v_add_f32_e32 v7, v7, v27
	v_add_f32_e32 v6, v6, v31
	v_fma_f32 v39, v36, v46, -v39
	v_fmac_f32_e32 v41, v37, v46
	v_fma_f32 v36, v36, v48, -v88
	v_fmac_f32_e32 v90, v37, v48
	v_mul_f32_e32 v37, v59, v51
	v_mul_f32_e32 v43, v58, v51
	v_mul_f32_e32 v47, v59, v53
	v_mul_f32_e32 v49, v58, v53
	v_fma_f32 v35, v44, v46, -v35
	v_fmac_f32_e32 v38, v45, v46
	v_fma_f32 v40, v44, v48, -v40
	v_fmac_f32_e32 v42, v45, v48
	v_mul_f32_e32 v44, v71, v51
	v_mul_f32_e32 v45, v70, v51
	v_mul_f32_e32 v46, v71, v53
	v_mul_f32_e32 v48, v70, v53
	v_add_f32_e32 v12, v12, v21
	v_add_f32_e32 v13, v13, v84
	v_add_f32_e32 v10, v10, v34
	v_add_f32_e32 v11, v11, v87
	v_add_f32_e32 v8, v8, v28
	v_add_f32_e32 v9, v9, v29
	v_add_f32_e32 v7, v7, v30
	v_add_f32_e32 v6, v6, v32
	v_mul_f32_e32 v51, v61, v55
	v_mul_f32_e32 v53, v60, v55
	v_mul_f32_e32 v86, v61, v57
	v_mul_f32_e32 v88, v60, v57
	v_fma_f32 v37, v58, v50, -v37
	v_fmac_f32_e32 v43, v59, v50
	v_fma_f32 v47, v58, v52, -v47
	v_fmac_f32_e32 v49, v59, v52
	v_fma_f32 v44, v70, v50, -v44
	v_fmac_f32_e32 v45, v71, v50
	v_fma_f32 v46, v70, v52, -v46
	v_fmac_f32_e32 v48, v71, v52
	v_mul_f32_e32 v50, v73, v55
	v_mul_f32_e32 v52, v72, v55
	v_mul_f32_e32 v55, v73, v57
	v_mul_f32_e32 v57, v72, v57
	v_add_f32_e32 v12, v12, v39
	v_add_f32_e32 v13, v13, v41
	v_add_f32_e32 v10, v10, v36
	v_add_f32_e32 v11, v11, v90
	v_add_f32_e32 v8, v8, v35
	v_add_f32_e32 v9, v9, v38
	v_add_f32_e32 v7, v7, v40
	v_add_f32_e32 v6, v6, v42
	;; [unrolled: 48-line block ×3, first 2 shown]
	v_fma_f32 v71, v64, v78, -v71
	v_fmac_f32_e32 v72, v65, v78
	v_fma_f32 v64, v64, v80, -v73
	v_fmac_f32_e32 v86, v65, v80
	;; [unrolled: 2-line block ×4, first 2 shown]
	v_add_f32_e32 v12, v12, v59
	v_add_f32_e32 v13, v13, v60
	;; [unrolled: 1-line block ×16, first 2 shown]
	s_cbranch_vccnz .LBB243_2
.LBB243_3:
	s_lshl_b64 s[0:1], s[30:31], 3
	v_add_co_u32 v0, s6, s6, v0
	s_waitcnt lgkmcnt(0)
	s_add_u32 s0, s8, s0
	s_addc_u32 s1, s9, s1
	v_add_co_u32 v4, s9, s10, v1
	s_or_b32 s8, s2, s3
	v_add_co_ci_u32_e64 v5, null, s11, 0, s9
	v_add_co_ci_u32_e64 v1, null, s7, 0, s6
	s_bitset0_b32 s8, 31
	s_mov_b32 s6, 0
	s_cmp_lg_u32 s8, 0
	s_cbranch_scc1 .LBB243_5
; %bb.4:
	v_mul_lo_u32 v14, v5, s28
	v_mul_lo_u32 v15, v4, s29
	v_mad_u64_u32 v[2:3], null, v4, s28, 0
	v_lshlrev_b64 v[17:18], 3, v[0:1]
	s_lshl_b64 s[8:9], s[28:29], 7
	v_mul_f32_e32 v19, s15, v13
	v_mul_f32_e32 v16, s14, v13
	;; [unrolled: 1-line block ×4, first 2 shown]
	v_add3_u32 v3, v3, v15, v14
	v_mul_f32_e32 v14, s15, v11
	v_fma_f32 v15, v12, s14, -v19
	v_mul_f32_e32 v24, s14, v9
	v_mul_f32_e32 v25, s15, v6
	v_lshlrev_b64 v[2:3], 3, v[2:3]
	v_fma_f32 v19, v10, s14, -v14
	v_mul_f32_e32 v14, s14, v6
	v_fmac_f32_e32 v16, s15, v12
	v_fmac_f32_e32 v20, s15, v10
	v_fma_f32 v23, v8, s14, -v23
	v_add_co_u32 v2, vcc_lo, s0, v2
	v_add_co_ci_u32_e64 v3, null, s1, v3, vcc_lo
	v_fmac_f32_e32 v14, s15, v7
	v_add_co_u32 v21, vcc_lo, v2, v17
	v_add_co_ci_u32_e64 v22, null, v3, v18, vcc_lo
	v_add_co_u32 v2, vcc_lo, v2, s8
	v_add_co_ci_u32_e64 v3, null, s9, v3, vcc_lo
	v_fmac_f32_e32 v24, s15, v8
	v_add_co_u32 v17, vcc_lo, v2, v17
	v_add_co_ci_u32_e64 v18, null, v3, v18, vcc_lo
	v_fma_f32 v25, v7, s14, -v25
	v_add_co_u32 v2, vcc_lo, 0x80, v17
	v_add_co_ci_u32_e64 v3, null, 0, v18, vcc_lo
	flat_store_dwordx2 v[21:22], v[15:16]
	flat_store_dwordx2 v[21:22], v[19:20] offset:128
	flat_store_dwordx2 v[17:18], v[23:24]
	flat_store_dword v[17:18], v25 offset:128
	s_andn2_b32 vcc_lo, exec_lo, s6
	s_cbranch_vccz .LBB243_6
	s_branch .LBB243_7
.LBB243_5:
                                        ; implicit-def: $vgpr14
                                        ; implicit-def: $vgpr2_vgpr3
.LBB243_6:
	v_mul_lo_u32 v14, v5, s38
	v_mul_lo_u32 v15, v4, s39
	v_mad_u64_u32 v[2:3], null, v4, s38, 0
	s_lshl_b64 s[6:7], s[40:41], 3
	v_lshlrev_b64 v[0:1], 3, v[0:1]
	s_add_u32 s4, s4, s6
	s_addc_u32 s5, s5, s7
	v_mul_lo_u32 v18, v5, s28
	v_mul_lo_u32 v19, v4, s29
	v_add3_u32 v3, v3, v15, v14
	v_mad_u64_u32 v[4:5], null, v4, s28, 0
	v_lshlrev_b64 v[2:3], 3, v[2:3]
	v_add3_u32 v5, v5, v19, v18
	v_mul_f32_e32 v18, s15, v13
	v_add_co_u32 v16, vcc_lo, s4, v2
	v_add_co_ci_u32_e64 v17, null, s5, v3, vcc_lo
	v_mul_f32_e32 v13, s14, v13
	v_add_co_u32 v2, vcc_lo, v16, v0
	v_add_co_ci_u32_e64 v3, null, v17, v1, vcc_lo
	v_lshlrev_b64 v[4:5], 3, v[4:5]
	v_fma_f32 v18, v12, s14, -v18
	v_fmac_f32_e32 v13, s15, v12
	flat_load_dwordx2 v[14:15], v[2:3]
	v_add_co_u32 v19, vcc_lo, s0, v4
	v_add_co_ci_u32_e64 v20, null, s1, v5, vcc_lo
	s_lshl_b64 s[0:1], s[38:39], 7
	v_add_co_u32 v4, vcc_lo, v19, v0
	v_add_co_ci_u32_e64 v5, null, v20, v1, vcc_lo
	s_waitcnt vmcnt(0) lgkmcnt(0)
	v_mul_f32_e32 v12, s3, v15
	v_mul_f32_e32 v15, s2, v15
	v_fma_f32 v12, v14, s2, -v12
	v_fmac_f32_e32 v15, s3, v14
	v_add_f32_e32 v12, v18, v12
	v_add_f32_e32 v13, v13, v15
	flat_store_dwordx2 v[4:5], v[12:13]
	flat_load_dwordx2 v[2:3], v[2:3] offset:128
	v_mul_f32_e32 v12, s15, v11
	v_mul_f32_e32 v11, s14, v11
	v_fma_f32 v12, v10, s14, -v12
	v_fmac_f32_e32 v11, s15, v10
	s_waitcnt vmcnt(0) lgkmcnt(0)
	v_mul_f32_e32 v13, s3, v3
	v_mul_f32_e32 v3, s2, v3
	v_fma_f32 v10, v2, s2, -v13
	v_add_co_u32 v13, vcc_lo, v16, s0
	v_fmac_f32_e32 v3, s3, v2
	v_add_co_ci_u32_e64 v14, null, s1, v17, vcc_lo
	v_add_f32_e32 v2, v12, v10
	v_add_co_u32 v10, vcc_lo, v13, v0
	v_add_f32_e32 v3, v11, v3
	v_add_co_ci_u32_e64 v11, null, v14, v1, vcc_lo
	s_lshl_b64 s[0:1], s[28:29], 7
	flat_store_dwordx2 v[4:5], v[2:3] offset:128
	flat_load_dwordx2 v[2:3], v[10:11]
	v_mul_f32_e32 v4, s15, v9
	v_mul_f32_e32 v5, s14, v9
	v_add_co_u32 v9, vcc_lo, v19, s0
	v_add_co_ci_u32_e64 v12, null, s1, v20, vcc_lo
	v_fma_f32 v4, v8, s14, -v4
	v_fmac_f32_e32 v5, s15, v8
	v_add_co_u32 v0, vcc_lo, v9, v0
	v_add_co_ci_u32_e64 v1, null, v12, v1, vcc_lo
	s_waitcnt vmcnt(0) lgkmcnt(0)
	v_mul_f32_e32 v8, s3, v3
	v_mul_f32_e32 v3, s2, v3
	v_fma_f32 v8, v2, s2, -v8
	v_fmac_f32_e32 v3, s3, v2
	v_add_f32_e32 v2, v4, v8
	v_add_f32_e32 v3, v5, v3
	v_mul_f32_e32 v4, s15, v6
	v_mul_f32_e32 v5, s14, v6
	flat_store_dwordx2 v[0:1], v[2:3]
	flat_load_dwordx2 v[2:3], v[10:11] offset:128
	v_fma_f32 v4, v7, s14, -v4
	v_fmac_f32_e32 v5, s15, v7
	s_waitcnt vmcnt(0) lgkmcnt(0)
	v_mul_f32_e32 v6, s3, v3
	v_mul_f32_e32 v3, s2, v3
	v_fma_f32 v6, v2, s2, -v6
	v_fmac_f32_e32 v3, s3, v2
	v_add_co_u32 v2, vcc_lo, 0x80, v0
	v_add_f32_e32 v4, v4, v6
	v_add_f32_e32 v14, v5, v3
	v_add_co_ci_u32_e64 v3, null, 0, v1, vcc_lo
	flat_store_dword v[0:1], v4 offset:128
.LBB243_7:
	flat_store_dword v[2:3], v14 offset:4
	s_endpgm
	.section	.rodata,"a",@progbits
	.p2align	6, 0x0
	.amdhsa_kernel _ZN12_GLOBAL__N_127rocblas_gemm_batched_kernelI19rocblas_complex_numIfELi16ELi16ELi32ELi32ELi8ELi32ELi8ELi8ELi32ELc78ELc78EKPKS2_S5_KPS2_EEvlllT_PT11_llSA_llS8_PT12_llPT13_lli
		.amdhsa_group_segment_fixed_size 4096
		.amdhsa_private_segment_fixed_size 0
		.amdhsa_kernarg_size 140
		.amdhsa_user_sgpr_count 6
		.amdhsa_user_sgpr_private_segment_buffer 1
		.amdhsa_user_sgpr_dispatch_ptr 0
		.amdhsa_user_sgpr_queue_ptr 0
		.amdhsa_user_sgpr_kernarg_segment_ptr 1
		.amdhsa_user_sgpr_dispatch_id 0
		.amdhsa_user_sgpr_flat_scratch_init 0
		.amdhsa_user_sgpr_private_segment_size 0
		.amdhsa_wavefront_size32 1
		.amdhsa_uses_dynamic_stack 0
		.amdhsa_system_sgpr_private_segment_wavefront_offset 0
		.amdhsa_system_sgpr_workgroup_id_x 1
		.amdhsa_system_sgpr_workgroup_id_y 1
		.amdhsa_system_sgpr_workgroup_id_z 1
		.amdhsa_system_sgpr_workgroup_info 0
		.amdhsa_system_vgpr_workitem_id 1
		.amdhsa_next_free_vgpr 92
		.amdhsa_next_free_sgpr 44
		.amdhsa_reserve_vcc 1
		.amdhsa_reserve_flat_scratch 0
		.amdhsa_float_round_mode_32 0
		.amdhsa_float_round_mode_16_64 0
		.amdhsa_float_denorm_mode_32 3
		.amdhsa_float_denorm_mode_16_64 3
		.amdhsa_dx10_clamp 1
		.amdhsa_ieee_mode 1
		.amdhsa_fp16_overflow 0
		.amdhsa_workgroup_processor_mode 1
		.amdhsa_memory_ordered 1
		.amdhsa_forward_progress 1
		.amdhsa_shared_vgpr_count 0
		.amdhsa_exception_fp_ieee_invalid_op 0
		.amdhsa_exception_fp_denorm_src 0
		.amdhsa_exception_fp_ieee_div_zero 0
		.amdhsa_exception_fp_ieee_overflow 0
		.amdhsa_exception_fp_ieee_underflow 0
		.amdhsa_exception_fp_ieee_inexact 0
		.amdhsa_exception_int_div_zero 0
	.end_amdhsa_kernel
	.section	.text._ZN12_GLOBAL__N_127rocblas_gemm_batched_kernelI19rocblas_complex_numIfELi16ELi16ELi32ELi32ELi8ELi32ELi8ELi8ELi32ELc78ELc78EKPKS2_S5_KPS2_EEvlllT_PT11_llSA_llS8_PT12_llPT13_lli,"axG",@progbits,_ZN12_GLOBAL__N_127rocblas_gemm_batched_kernelI19rocblas_complex_numIfELi16ELi16ELi32ELi32ELi8ELi32ELi8ELi8ELi32ELc78ELc78EKPKS2_S5_KPS2_EEvlllT_PT11_llSA_llS8_PT12_llPT13_lli,comdat
.Lfunc_end243:
	.size	_ZN12_GLOBAL__N_127rocblas_gemm_batched_kernelI19rocblas_complex_numIfELi16ELi16ELi32ELi32ELi8ELi32ELi8ELi8ELi32ELc78ELc78EKPKS2_S5_KPS2_EEvlllT_PT11_llSA_llS8_PT12_llPT13_lli, .Lfunc_end243-_ZN12_GLOBAL__N_127rocblas_gemm_batched_kernelI19rocblas_complex_numIfELi16ELi16ELi32ELi32ELi8ELi32ELi8ELi8ELi32ELc78ELc78EKPKS2_S5_KPS2_EEvlllT_PT11_llSA_llS8_PT12_llPT13_lli
                                        ; -- End function
	.set _ZN12_GLOBAL__N_127rocblas_gemm_batched_kernelI19rocblas_complex_numIfELi16ELi16ELi32ELi32ELi8ELi32ELi8ELi8ELi32ELc78ELc78EKPKS2_S5_KPS2_EEvlllT_PT11_llSA_llS8_PT12_llPT13_lli.num_vgpr, 92
	.set _ZN12_GLOBAL__N_127rocblas_gemm_batched_kernelI19rocblas_complex_numIfELi16ELi16ELi32ELi32ELi8ELi32ELi8ELi8ELi32ELc78ELc78EKPKS2_S5_KPS2_EEvlllT_PT11_llSA_llS8_PT12_llPT13_lli.num_agpr, 0
	.set _ZN12_GLOBAL__N_127rocblas_gemm_batched_kernelI19rocblas_complex_numIfELi16ELi16ELi32ELi32ELi8ELi32ELi8ELi8ELi32ELc78ELc78EKPKS2_S5_KPS2_EEvlllT_PT11_llSA_llS8_PT12_llPT13_lli.numbered_sgpr, 44
	.set _ZN12_GLOBAL__N_127rocblas_gemm_batched_kernelI19rocblas_complex_numIfELi16ELi16ELi32ELi32ELi8ELi32ELi8ELi8ELi32ELc78ELc78EKPKS2_S5_KPS2_EEvlllT_PT11_llSA_llS8_PT12_llPT13_lli.num_named_barrier, 0
	.set _ZN12_GLOBAL__N_127rocblas_gemm_batched_kernelI19rocblas_complex_numIfELi16ELi16ELi32ELi32ELi8ELi32ELi8ELi8ELi32ELc78ELc78EKPKS2_S5_KPS2_EEvlllT_PT11_llSA_llS8_PT12_llPT13_lli.private_seg_size, 0
	.set _ZN12_GLOBAL__N_127rocblas_gemm_batched_kernelI19rocblas_complex_numIfELi16ELi16ELi32ELi32ELi8ELi32ELi8ELi8ELi32ELc78ELc78EKPKS2_S5_KPS2_EEvlllT_PT11_llSA_llS8_PT12_llPT13_lli.uses_vcc, 1
	.set _ZN12_GLOBAL__N_127rocblas_gemm_batched_kernelI19rocblas_complex_numIfELi16ELi16ELi32ELi32ELi8ELi32ELi8ELi8ELi32ELc78ELc78EKPKS2_S5_KPS2_EEvlllT_PT11_llSA_llS8_PT12_llPT13_lli.uses_flat_scratch, 0
	.set _ZN12_GLOBAL__N_127rocblas_gemm_batched_kernelI19rocblas_complex_numIfELi16ELi16ELi32ELi32ELi8ELi32ELi8ELi8ELi32ELc78ELc78EKPKS2_S5_KPS2_EEvlllT_PT11_llSA_llS8_PT12_llPT13_lli.has_dyn_sized_stack, 0
	.set _ZN12_GLOBAL__N_127rocblas_gemm_batched_kernelI19rocblas_complex_numIfELi16ELi16ELi32ELi32ELi8ELi32ELi8ELi8ELi32ELc78ELc78EKPKS2_S5_KPS2_EEvlllT_PT11_llSA_llS8_PT12_llPT13_lli.has_recursion, 0
	.set _ZN12_GLOBAL__N_127rocblas_gemm_batched_kernelI19rocblas_complex_numIfELi16ELi16ELi32ELi32ELi8ELi32ELi8ELi8ELi32ELc78ELc78EKPKS2_S5_KPS2_EEvlllT_PT11_llSA_llS8_PT12_llPT13_lli.has_indirect_call, 0
	.section	.AMDGPU.csdata,"",@progbits
; Kernel info:
; codeLenInByte = 2496
; TotalNumSgprs: 46
; NumVgprs: 92
; ScratchSize: 0
; MemoryBound: 0
; FloatMode: 240
; IeeeMode: 1
; LDSByteSize: 4096 bytes/workgroup (compile time only)
; SGPRBlocks: 0
; VGPRBlocks: 11
; NumSGPRsForWavesPerEU: 46
; NumVGPRsForWavesPerEU: 92
; Occupancy: 10
; WaveLimiterHint : 1
; COMPUTE_PGM_RSRC2:SCRATCH_EN: 0
; COMPUTE_PGM_RSRC2:USER_SGPR: 6
; COMPUTE_PGM_RSRC2:TRAP_HANDLER: 0
; COMPUTE_PGM_RSRC2:TGID_X_EN: 1
; COMPUTE_PGM_RSRC2:TGID_Y_EN: 1
; COMPUTE_PGM_RSRC2:TGID_Z_EN: 1
; COMPUTE_PGM_RSRC2:TIDIG_COMP_CNT: 1
	.section	.text._ZN12_GLOBAL__N_127rocblas_gemm_batched_kernelI19rocblas_complex_numIfELi16ELi16ELi32ELi32ELi8ELi32ELi8ELi8ELi32ELc84ELc78EKPKS2_S5_KPS2_EEvlllT_PT11_llSA_llS8_PT12_llPT13_lli,"axG",@progbits,_ZN12_GLOBAL__N_127rocblas_gemm_batched_kernelI19rocblas_complex_numIfELi16ELi16ELi32ELi32ELi8ELi32ELi8ELi8ELi32ELc84ELc78EKPKS2_S5_KPS2_EEvlllT_PT11_llSA_llS8_PT12_llPT13_lli,comdat
	.globl	_ZN12_GLOBAL__N_127rocblas_gemm_batched_kernelI19rocblas_complex_numIfELi16ELi16ELi32ELi32ELi8ELi32ELi8ELi8ELi32ELc84ELc78EKPKS2_S5_KPS2_EEvlllT_PT11_llSA_llS8_PT12_llPT13_lli ; -- Begin function _ZN12_GLOBAL__N_127rocblas_gemm_batched_kernelI19rocblas_complex_numIfELi16ELi16ELi32ELi32ELi8ELi32ELi8ELi8ELi32ELc84ELc78EKPKS2_S5_KPS2_EEvlllT_PT11_llSA_llS8_PT12_llPT13_lli
	.p2align	8
	.type	_ZN12_GLOBAL__N_127rocblas_gemm_batched_kernelI19rocblas_complex_numIfELi16ELi16ELi32ELi32ELi8ELi32ELi8ELi8ELi32ELc84ELc78EKPKS2_S5_KPS2_EEvlllT_PT11_llSA_llS8_PT12_llPT13_lli,@function
_ZN12_GLOBAL__N_127rocblas_gemm_batched_kernelI19rocblas_complex_numIfELi16ELi16ELi32ELi32ELi8ELi32ELi8ELi8ELi32ELc84ELc78EKPKS2_S5_KPS2_EEvlllT_PT11_llSA_llS8_PT12_llPT13_lli: ; @_ZN12_GLOBAL__N_127rocblas_gemm_batched_kernelI19rocblas_complex_numIfELi16ELi16ELi32ELi32ELi8ELi32ELi8ELi8ELi32ELc84ELc78EKPKS2_S5_KPS2_EEvlllT_PT11_llSA_llS8_PT12_llPT13_lli
; %bb.0:
	s_clause 0x1
	s_load_dwordx8 s[36:43], s[4:5], 0x58
	s_load_dwordx16 s[12:27], s[4:5], 0x10
	s_mov_b32 s9, 0
	s_clause 0x1
	s_load_dwordx4 s[28:31], s[4:5], 0x78
	s_load_dwordx2 s[2:3], s[4:5], 0x50
	s_lshl_b64 s[0:1], s[8:9], 3
	s_mov_b32 s10, s7
	v_mov_b32_e32 v12, 0
	v_mov_b32_e32 v13, 0
	;; [unrolled: 1-line block ×8, first 2 shown]
	s_waitcnt lgkmcnt(0)
	s_add_u32 s4, s36, s0
	s_addc_u32 s5, s37, s1
	s_add_u32 s8, s42, s0
	s_addc_u32 s9, s43, s1
	s_load_dwordx2 s[4:5], s[4:5], 0x0
	s_load_dwordx2 s[8:9], s[8:9], 0x0
	v_cmp_lt_i64_e64 s33, s[12:13], 1
	s_ashr_i32 s7, s6, 31
	s_ashr_i32 s11, s10, 31
	s_lshl_b64 s[6:7], s[6:7], 5
	s_lshl_b64 s[10:11], s[10:11], 5
	s_and_b32 vcc_lo, exec_lo, s33
	s_cbranch_vccnz .LBB244_3
; %bb.1:
	v_lshl_add_u32 v2, v1, 4, v0
	s_add_u32 s16, s16, s0
	s_addc_u32 s17, s17, s1
	s_add_u32 s0, s22, s0
	v_and_b32_e32 v3, 7, v0
	v_and_b32_e32 v6, 31, v2
	v_lshrrev_b32_e32 v7, 3, v2
	v_lshrrev_b32_e32 v10, 5, v2
	s_load_dwordx2 s[16:17], s[16:17], 0x0
	v_lshlrev_b32_e32 v11, 3, v3
	v_add_co_u32 v4, s22, s6, v6
	v_add_co_ci_u32_e64 v5, null, s7, 0, s22
	v_add_co_u32 v8, s22, v7, s10
	v_add_co_ci_u32_e64 v9, null, 0, s11, s22
	v_mul_lo_u32 v12, s19, v4
	v_mul_lo_u32 v13, s18, v5
	v_mad_u64_u32 v[2:3], null, s18, v4, 0
	v_mul_lo_u32 v16, s25, v8
	v_mul_lo_u32 v9, s24, v9
	v_mad_u64_u32 v[4:5], null, s24, v8, 0
	s_addc_u32 s1, s23, s1
	v_lshl_or_b32 v7, v7, 6, v11
	v_add3_u32 v3, v3, v13, v12
	s_load_dwordx2 s[0:1], s[0:1], 0x0
	s_lshl_b64 s[18:19], s[20:21], 3
	v_lshlrev_b32_e32 v8, 3, v6
	v_add3_u32 v5, v5, v9, v16
	v_lshlrev_b64 v[2:3], 3, v[2:3]
	v_add_nc_u32_e32 v15, 0x800, v7
	v_lshlrev_b32_e32 v7, 3, v10
	v_mov_b32_e32 v6, 0
	v_lshlrev_b64 v[4:5], 3, v[4:5]
	v_lshl_or_b32 v14, v10, 8, v8
	v_add_co_u32 v2, vcc_lo, v2, s18
	v_add_co_ci_u32_e64 v3, null, s19, v3, vcc_lo
	s_lshl_b64 s[18:19], s[26:27], 3
	v_lshlrev_b32_e32 v16, 3, v0
	v_add_co_u32 v4, vcc_lo, v4, s18
	v_add_co_ci_u32_e64 v5, null, s19, v5, vcc_lo
	v_add_co_u32 v2, vcc_lo, v2, v7
	v_add_co_ci_u32_e64 v3, null, 0, v3, vcc_lo
	;; [unrolled: 2-line block ×3, first 2 shown]
	s_waitcnt lgkmcnt(0)
	v_add_co_u32 v2, vcc_lo, s16, v2
	v_add_co_ci_u32_e64 v3, null, s17, v3, vcc_lo
	v_add_co_u32 v4, vcc_lo, s0, v4
	v_lshl_add_u32 v17, v1, 6, 0x800
	v_add_co_ci_u32_e64 v5, null, s1, v5, vcc_lo
	v_mov_b32_e32 v7, 0
	v_mov_b32_e32 v9, 0
	;; [unrolled: 1-line block ×7, first 2 shown]
	s_mov_b64 s[16:17], 0
.LBB244_2:                              ; =>This Inner Loop Header: Depth=1
	flat_load_dwordx2 v[18:19], v[2:3]
	s_add_u32 s16, s16, 8
	s_addc_u32 s17, s17, 0
	v_add_co_u32 v2, vcc_lo, v2, 64
	v_cmp_lt_i64_e64 s0, s[16:17], s[12:13]
	v_add_co_ci_u32_e64 v3, null, 0, v3, vcc_lo
	s_and_b32 vcc_lo, exec_lo, s0
	s_waitcnt vmcnt(0) lgkmcnt(0)
	ds_write_b64 v14, v[18:19]
	flat_load_dwordx2 v[18:19], v[4:5]
	v_add_co_u32 v4, s0, v4, 64
	v_add_co_ci_u32_e64 v5, null, 0, v5, s0
	s_waitcnt vmcnt(0) lgkmcnt(0)
	ds_write_b64 v15, v[18:19]
	s_waitcnt lgkmcnt(0)
	s_barrier
	buffer_gl0_inv
	ds_read_b128 v[18:21], v17
	ds_read2_b64 v[22:25], v16 offset1:16
	ds_read_b128 v[26:29], v17 offset:1024
	ds_read2_b64 v[30:33], v16 offset0:32 offset1:48
	ds_read_b128 v[34:37], v17 offset:16
	ds_read2_b64 v[38:41], v16 offset0:64 offset1:80
	;; [unrolled: 2-line block ×3, first 2 shown]
	ds_read2_b64 v[50:53], v16 offset0:128 offset1:144
	ds_read2_b64 v[54:57], v16 offset0:160 offset1:176
	ds_read_b128 v[58:61], v17 offset:32
	ds_read_b128 v[62:65], v17 offset:48
	ds_read2_b64 v[66:69], v16 offset0:192 offset1:208
	ds_read_b128 v[70:73], v17 offset:1056
	ds_read_b128 v[74:77], v17 offset:1072
	ds_read2_b64 v[78:81], v16 offset0:224 offset1:240
	s_waitcnt lgkmcnt(0)
	s_barrier
	buffer_gl0_inv
	v_mul_f32_e32 v82, v19, v23
	v_mul_f32_e32 v83, v18, v23
	;; [unrolled: 1-line block ×12, first 2 shown]
	v_fma_f32 v82, v18, v22, -v82
	v_fmac_f32_e32 v83, v19, v22
	v_fma_f32 v18, v18, v24, -v84
	v_fmac_f32_e32 v85, v19, v24
	v_fma_f32 v19, v26, v22, -v86
	v_fmac_f32_e32 v23, v27, v22
	v_fma_f32 v22, v26, v24, -v87
	v_fmac_f32_e32 v25, v27, v24
	v_mul_f32_e32 v24, v29, v31
	v_mul_f32_e32 v26, v28, v31
	;; [unrolled: 1-line block ×4, first 2 shown]
	v_fma_f32 v33, v20, v30, -v88
	v_fmac_f32_e32 v89, v21, v30
	v_fma_f32 v20, v20, v32, -v90
	v_fmac_f32_e32 v91, v21, v32
	v_mul_f32_e32 v21, v35, v39
	v_mul_f32_e32 v84, v34, v39
	v_mul_f32_e32 v86, v35, v41
	v_mul_f32_e32 v87, v34, v41
	v_fma_f32 v24, v28, v30, -v24
	v_fmac_f32_e32 v26, v29, v30
	v_fma_f32 v27, v28, v32, -v27
	v_fmac_f32_e32 v31, v29, v32
	v_mul_f32_e32 v28, v43, v39
	v_mul_f32_e32 v29, v42, v39
	v_mul_f32_e32 v30, v43, v41
	v_mul_f32_e32 v32, v42, v41
	v_add_f32_e32 v12, v12, v82
	v_add_f32_e32 v13, v13, v83
	v_add_f32_e32 v10, v10, v18
	v_add_f32_e32 v11, v11, v85
	v_add_f32_e32 v8, v8, v19
	v_add_f32_e32 v9, v9, v23
	v_add_f32_e32 v7, v7, v22
	v_add_f32_e32 v6, v6, v25
	v_mul_f32_e32 v39, v37, v47
	v_mul_f32_e32 v41, v36, v47
	v_mul_f32_e32 v88, v37, v49
	v_mul_f32_e32 v90, v36, v49
	v_fma_f32 v21, v34, v38, -v21
	v_fmac_f32_e32 v84, v35, v38
	v_fma_f32 v34, v34, v40, -v86
	v_fmac_f32_e32 v87, v35, v40
	v_fma_f32 v28, v42, v38, -v28
	v_fmac_f32_e32 v29, v43, v38
	v_fma_f32 v30, v42, v40, -v30
	v_fmac_f32_e32 v32, v43, v40
	v_mul_f32_e32 v35, v45, v47
	v_mul_f32_e32 v38, v44, v47
	v_mul_f32_e32 v40, v45, v49
	v_mul_f32_e32 v42, v44, v49
	v_add_f32_e32 v12, v12, v33
	v_add_f32_e32 v13, v13, v89
	v_add_f32_e32 v10, v10, v20
	v_add_f32_e32 v11, v11, v91
	v_add_f32_e32 v8, v8, v24
	v_add_f32_e32 v9, v9, v26
	v_add_f32_e32 v7, v7, v27
	v_add_f32_e32 v6, v6, v31
	v_fma_f32 v39, v36, v46, -v39
	v_fmac_f32_e32 v41, v37, v46
	v_fma_f32 v36, v36, v48, -v88
	v_fmac_f32_e32 v90, v37, v48
	v_mul_f32_e32 v37, v59, v51
	v_mul_f32_e32 v43, v58, v51
	v_mul_f32_e32 v47, v59, v53
	v_mul_f32_e32 v49, v58, v53
	v_fma_f32 v35, v44, v46, -v35
	v_fmac_f32_e32 v38, v45, v46
	v_fma_f32 v40, v44, v48, -v40
	v_fmac_f32_e32 v42, v45, v48
	v_mul_f32_e32 v44, v71, v51
	v_mul_f32_e32 v45, v70, v51
	v_mul_f32_e32 v46, v71, v53
	v_mul_f32_e32 v48, v70, v53
	v_add_f32_e32 v12, v12, v21
	v_add_f32_e32 v13, v13, v84
	v_add_f32_e32 v10, v10, v34
	v_add_f32_e32 v11, v11, v87
	v_add_f32_e32 v8, v8, v28
	v_add_f32_e32 v9, v9, v29
	v_add_f32_e32 v7, v7, v30
	v_add_f32_e32 v6, v6, v32
	v_mul_f32_e32 v51, v61, v55
	v_mul_f32_e32 v53, v60, v55
	v_mul_f32_e32 v86, v61, v57
	v_mul_f32_e32 v88, v60, v57
	v_fma_f32 v37, v58, v50, -v37
	v_fmac_f32_e32 v43, v59, v50
	v_fma_f32 v47, v58, v52, -v47
	v_fmac_f32_e32 v49, v59, v52
	v_fma_f32 v44, v70, v50, -v44
	v_fmac_f32_e32 v45, v71, v50
	v_fma_f32 v46, v70, v52, -v46
	v_fmac_f32_e32 v48, v71, v52
	v_mul_f32_e32 v50, v73, v55
	v_mul_f32_e32 v52, v72, v55
	v_mul_f32_e32 v55, v73, v57
	v_mul_f32_e32 v57, v72, v57
	v_add_f32_e32 v12, v12, v39
	v_add_f32_e32 v13, v13, v41
	v_add_f32_e32 v10, v10, v36
	v_add_f32_e32 v11, v11, v90
	v_add_f32_e32 v8, v8, v35
	v_add_f32_e32 v9, v9, v38
	v_add_f32_e32 v7, v7, v40
	v_add_f32_e32 v6, v6, v42
	;; [unrolled: 48-line block ×3, first 2 shown]
	v_fma_f32 v71, v64, v78, -v71
	v_fmac_f32_e32 v72, v65, v78
	v_fma_f32 v64, v64, v80, -v73
	v_fmac_f32_e32 v86, v65, v80
	v_fma_f32 v63, v76, v78, -v63
	v_fmac_f32_e32 v66, v77, v78
	v_fma_f32 v65, v76, v80, -v67
	v_fmac_f32_e32 v68, v77, v80
	v_add_f32_e32 v12, v12, v59
	v_add_f32_e32 v13, v13, v60
	;; [unrolled: 1-line block ×16, first 2 shown]
	s_cbranch_vccnz .LBB244_2
.LBB244_3:
	s_lshl_b64 s[0:1], s[30:31], 3
	v_add_co_u32 v0, s6, s6, v0
	s_waitcnt lgkmcnt(0)
	s_add_u32 s0, s8, s0
	s_addc_u32 s1, s9, s1
	v_add_co_u32 v4, s9, s10, v1
	s_or_b32 s8, s2, s3
	v_add_co_ci_u32_e64 v5, null, s11, 0, s9
	v_add_co_ci_u32_e64 v1, null, s7, 0, s6
	s_bitset0_b32 s8, 31
	s_mov_b32 s6, 0
	s_cmp_lg_u32 s8, 0
	s_cbranch_scc1 .LBB244_5
; %bb.4:
	v_mul_lo_u32 v14, v5, s28
	v_mul_lo_u32 v15, v4, s29
	v_mad_u64_u32 v[2:3], null, v4, s28, 0
	v_lshlrev_b64 v[17:18], 3, v[0:1]
	s_lshl_b64 s[8:9], s[28:29], 7
	v_mul_f32_e32 v19, s15, v13
	v_mul_f32_e32 v16, s14, v13
	;; [unrolled: 1-line block ×4, first 2 shown]
	v_add3_u32 v3, v3, v15, v14
	v_mul_f32_e32 v14, s15, v11
	v_fma_f32 v15, v12, s14, -v19
	v_mul_f32_e32 v24, s14, v9
	v_mul_f32_e32 v25, s15, v6
	v_lshlrev_b64 v[2:3], 3, v[2:3]
	v_fma_f32 v19, v10, s14, -v14
	v_mul_f32_e32 v14, s14, v6
	v_fmac_f32_e32 v16, s15, v12
	v_fmac_f32_e32 v20, s15, v10
	v_fma_f32 v23, v8, s14, -v23
	v_add_co_u32 v2, vcc_lo, s0, v2
	v_add_co_ci_u32_e64 v3, null, s1, v3, vcc_lo
	v_fmac_f32_e32 v14, s15, v7
	v_add_co_u32 v21, vcc_lo, v2, v17
	v_add_co_ci_u32_e64 v22, null, v3, v18, vcc_lo
	v_add_co_u32 v2, vcc_lo, v2, s8
	v_add_co_ci_u32_e64 v3, null, s9, v3, vcc_lo
	v_fmac_f32_e32 v24, s15, v8
	v_add_co_u32 v17, vcc_lo, v2, v17
	v_add_co_ci_u32_e64 v18, null, v3, v18, vcc_lo
	v_fma_f32 v25, v7, s14, -v25
	v_add_co_u32 v2, vcc_lo, 0x80, v17
	v_add_co_ci_u32_e64 v3, null, 0, v18, vcc_lo
	flat_store_dwordx2 v[21:22], v[15:16]
	flat_store_dwordx2 v[21:22], v[19:20] offset:128
	flat_store_dwordx2 v[17:18], v[23:24]
	flat_store_dword v[17:18], v25 offset:128
	s_andn2_b32 vcc_lo, exec_lo, s6
	s_cbranch_vccz .LBB244_6
	s_branch .LBB244_7
.LBB244_5:
                                        ; implicit-def: $vgpr14
                                        ; implicit-def: $vgpr2_vgpr3
.LBB244_6:
	v_mul_lo_u32 v14, v5, s38
	v_mul_lo_u32 v15, v4, s39
	v_mad_u64_u32 v[2:3], null, v4, s38, 0
	s_lshl_b64 s[6:7], s[40:41], 3
	v_lshlrev_b64 v[0:1], 3, v[0:1]
	s_add_u32 s4, s4, s6
	s_addc_u32 s5, s5, s7
	v_mul_lo_u32 v18, v5, s28
	v_mul_lo_u32 v19, v4, s29
	v_add3_u32 v3, v3, v15, v14
	v_mad_u64_u32 v[4:5], null, v4, s28, 0
	v_lshlrev_b64 v[2:3], 3, v[2:3]
	v_add3_u32 v5, v5, v19, v18
	v_mul_f32_e32 v18, s15, v13
	v_add_co_u32 v16, vcc_lo, s4, v2
	v_add_co_ci_u32_e64 v17, null, s5, v3, vcc_lo
	v_mul_f32_e32 v13, s14, v13
	v_add_co_u32 v2, vcc_lo, v16, v0
	v_add_co_ci_u32_e64 v3, null, v17, v1, vcc_lo
	v_lshlrev_b64 v[4:5], 3, v[4:5]
	v_fma_f32 v18, v12, s14, -v18
	v_fmac_f32_e32 v13, s15, v12
	flat_load_dwordx2 v[14:15], v[2:3]
	v_add_co_u32 v19, vcc_lo, s0, v4
	v_add_co_ci_u32_e64 v20, null, s1, v5, vcc_lo
	s_lshl_b64 s[0:1], s[38:39], 7
	v_add_co_u32 v4, vcc_lo, v19, v0
	v_add_co_ci_u32_e64 v5, null, v20, v1, vcc_lo
	s_waitcnt vmcnt(0) lgkmcnt(0)
	v_mul_f32_e32 v12, s3, v15
	v_mul_f32_e32 v15, s2, v15
	v_fma_f32 v12, v14, s2, -v12
	v_fmac_f32_e32 v15, s3, v14
	v_add_f32_e32 v12, v18, v12
	v_add_f32_e32 v13, v13, v15
	flat_store_dwordx2 v[4:5], v[12:13]
	flat_load_dwordx2 v[2:3], v[2:3] offset:128
	v_mul_f32_e32 v12, s15, v11
	v_mul_f32_e32 v11, s14, v11
	v_fma_f32 v12, v10, s14, -v12
	v_fmac_f32_e32 v11, s15, v10
	s_waitcnt vmcnt(0) lgkmcnt(0)
	v_mul_f32_e32 v13, s3, v3
	v_mul_f32_e32 v3, s2, v3
	v_fma_f32 v10, v2, s2, -v13
	v_add_co_u32 v13, vcc_lo, v16, s0
	v_fmac_f32_e32 v3, s3, v2
	v_add_co_ci_u32_e64 v14, null, s1, v17, vcc_lo
	v_add_f32_e32 v2, v12, v10
	v_add_co_u32 v10, vcc_lo, v13, v0
	v_add_f32_e32 v3, v11, v3
	v_add_co_ci_u32_e64 v11, null, v14, v1, vcc_lo
	s_lshl_b64 s[0:1], s[28:29], 7
	flat_store_dwordx2 v[4:5], v[2:3] offset:128
	flat_load_dwordx2 v[2:3], v[10:11]
	v_mul_f32_e32 v4, s15, v9
	v_mul_f32_e32 v5, s14, v9
	v_add_co_u32 v9, vcc_lo, v19, s0
	v_add_co_ci_u32_e64 v12, null, s1, v20, vcc_lo
	v_fma_f32 v4, v8, s14, -v4
	v_fmac_f32_e32 v5, s15, v8
	v_add_co_u32 v0, vcc_lo, v9, v0
	v_add_co_ci_u32_e64 v1, null, v12, v1, vcc_lo
	s_waitcnt vmcnt(0) lgkmcnt(0)
	v_mul_f32_e32 v8, s3, v3
	v_mul_f32_e32 v3, s2, v3
	v_fma_f32 v8, v2, s2, -v8
	v_fmac_f32_e32 v3, s3, v2
	v_add_f32_e32 v2, v4, v8
	v_add_f32_e32 v3, v5, v3
	v_mul_f32_e32 v4, s15, v6
	v_mul_f32_e32 v5, s14, v6
	flat_store_dwordx2 v[0:1], v[2:3]
	flat_load_dwordx2 v[2:3], v[10:11] offset:128
	v_fma_f32 v4, v7, s14, -v4
	v_fmac_f32_e32 v5, s15, v7
	s_waitcnt vmcnt(0) lgkmcnt(0)
	v_mul_f32_e32 v6, s3, v3
	v_mul_f32_e32 v3, s2, v3
	v_fma_f32 v6, v2, s2, -v6
	v_fmac_f32_e32 v3, s3, v2
	v_add_co_u32 v2, vcc_lo, 0x80, v0
	v_add_f32_e32 v4, v4, v6
	v_add_f32_e32 v14, v5, v3
	v_add_co_ci_u32_e64 v3, null, 0, v1, vcc_lo
	flat_store_dword v[0:1], v4 offset:128
.LBB244_7:
	flat_store_dword v[2:3], v14 offset:4
	s_endpgm
	.section	.rodata,"a",@progbits
	.p2align	6, 0x0
	.amdhsa_kernel _ZN12_GLOBAL__N_127rocblas_gemm_batched_kernelI19rocblas_complex_numIfELi16ELi16ELi32ELi32ELi8ELi32ELi8ELi8ELi32ELc84ELc78EKPKS2_S5_KPS2_EEvlllT_PT11_llSA_llS8_PT12_llPT13_lli
		.amdhsa_group_segment_fixed_size 4096
		.amdhsa_private_segment_fixed_size 0
		.amdhsa_kernarg_size 140
		.amdhsa_user_sgpr_count 6
		.amdhsa_user_sgpr_private_segment_buffer 1
		.amdhsa_user_sgpr_dispatch_ptr 0
		.amdhsa_user_sgpr_queue_ptr 0
		.amdhsa_user_sgpr_kernarg_segment_ptr 1
		.amdhsa_user_sgpr_dispatch_id 0
		.amdhsa_user_sgpr_flat_scratch_init 0
		.amdhsa_user_sgpr_private_segment_size 0
		.amdhsa_wavefront_size32 1
		.amdhsa_uses_dynamic_stack 0
		.amdhsa_system_sgpr_private_segment_wavefront_offset 0
		.amdhsa_system_sgpr_workgroup_id_x 1
		.amdhsa_system_sgpr_workgroup_id_y 1
		.amdhsa_system_sgpr_workgroup_id_z 1
		.amdhsa_system_sgpr_workgroup_info 0
		.amdhsa_system_vgpr_workitem_id 1
		.amdhsa_next_free_vgpr 92
		.amdhsa_next_free_sgpr 44
		.amdhsa_reserve_vcc 1
		.amdhsa_reserve_flat_scratch 0
		.amdhsa_float_round_mode_32 0
		.amdhsa_float_round_mode_16_64 0
		.amdhsa_float_denorm_mode_32 3
		.amdhsa_float_denorm_mode_16_64 3
		.amdhsa_dx10_clamp 1
		.amdhsa_ieee_mode 1
		.amdhsa_fp16_overflow 0
		.amdhsa_workgroup_processor_mode 1
		.amdhsa_memory_ordered 1
		.amdhsa_forward_progress 1
		.amdhsa_shared_vgpr_count 0
		.amdhsa_exception_fp_ieee_invalid_op 0
		.amdhsa_exception_fp_denorm_src 0
		.amdhsa_exception_fp_ieee_div_zero 0
		.amdhsa_exception_fp_ieee_overflow 0
		.amdhsa_exception_fp_ieee_underflow 0
		.amdhsa_exception_fp_ieee_inexact 0
		.amdhsa_exception_int_div_zero 0
	.end_amdhsa_kernel
	.section	.text._ZN12_GLOBAL__N_127rocblas_gemm_batched_kernelI19rocblas_complex_numIfELi16ELi16ELi32ELi32ELi8ELi32ELi8ELi8ELi32ELc84ELc78EKPKS2_S5_KPS2_EEvlllT_PT11_llSA_llS8_PT12_llPT13_lli,"axG",@progbits,_ZN12_GLOBAL__N_127rocblas_gemm_batched_kernelI19rocblas_complex_numIfELi16ELi16ELi32ELi32ELi8ELi32ELi8ELi8ELi32ELc84ELc78EKPKS2_S5_KPS2_EEvlllT_PT11_llSA_llS8_PT12_llPT13_lli,comdat
.Lfunc_end244:
	.size	_ZN12_GLOBAL__N_127rocblas_gemm_batched_kernelI19rocblas_complex_numIfELi16ELi16ELi32ELi32ELi8ELi32ELi8ELi8ELi32ELc84ELc78EKPKS2_S5_KPS2_EEvlllT_PT11_llSA_llS8_PT12_llPT13_lli, .Lfunc_end244-_ZN12_GLOBAL__N_127rocblas_gemm_batched_kernelI19rocblas_complex_numIfELi16ELi16ELi32ELi32ELi8ELi32ELi8ELi8ELi32ELc84ELc78EKPKS2_S5_KPS2_EEvlllT_PT11_llSA_llS8_PT12_llPT13_lli
                                        ; -- End function
	.set _ZN12_GLOBAL__N_127rocblas_gemm_batched_kernelI19rocblas_complex_numIfELi16ELi16ELi32ELi32ELi8ELi32ELi8ELi8ELi32ELc84ELc78EKPKS2_S5_KPS2_EEvlllT_PT11_llSA_llS8_PT12_llPT13_lli.num_vgpr, 92
	.set _ZN12_GLOBAL__N_127rocblas_gemm_batched_kernelI19rocblas_complex_numIfELi16ELi16ELi32ELi32ELi8ELi32ELi8ELi8ELi32ELc84ELc78EKPKS2_S5_KPS2_EEvlllT_PT11_llSA_llS8_PT12_llPT13_lli.num_agpr, 0
	.set _ZN12_GLOBAL__N_127rocblas_gemm_batched_kernelI19rocblas_complex_numIfELi16ELi16ELi32ELi32ELi8ELi32ELi8ELi8ELi32ELc84ELc78EKPKS2_S5_KPS2_EEvlllT_PT11_llSA_llS8_PT12_llPT13_lli.numbered_sgpr, 44
	.set _ZN12_GLOBAL__N_127rocblas_gemm_batched_kernelI19rocblas_complex_numIfELi16ELi16ELi32ELi32ELi8ELi32ELi8ELi8ELi32ELc84ELc78EKPKS2_S5_KPS2_EEvlllT_PT11_llSA_llS8_PT12_llPT13_lli.num_named_barrier, 0
	.set _ZN12_GLOBAL__N_127rocblas_gemm_batched_kernelI19rocblas_complex_numIfELi16ELi16ELi32ELi32ELi8ELi32ELi8ELi8ELi32ELc84ELc78EKPKS2_S5_KPS2_EEvlllT_PT11_llSA_llS8_PT12_llPT13_lli.private_seg_size, 0
	.set _ZN12_GLOBAL__N_127rocblas_gemm_batched_kernelI19rocblas_complex_numIfELi16ELi16ELi32ELi32ELi8ELi32ELi8ELi8ELi32ELc84ELc78EKPKS2_S5_KPS2_EEvlllT_PT11_llSA_llS8_PT12_llPT13_lli.uses_vcc, 1
	.set _ZN12_GLOBAL__N_127rocblas_gemm_batched_kernelI19rocblas_complex_numIfELi16ELi16ELi32ELi32ELi8ELi32ELi8ELi8ELi32ELc84ELc78EKPKS2_S5_KPS2_EEvlllT_PT11_llSA_llS8_PT12_llPT13_lli.uses_flat_scratch, 0
	.set _ZN12_GLOBAL__N_127rocblas_gemm_batched_kernelI19rocblas_complex_numIfELi16ELi16ELi32ELi32ELi8ELi32ELi8ELi8ELi32ELc84ELc78EKPKS2_S5_KPS2_EEvlllT_PT11_llSA_llS8_PT12_llPT13_lli.has_dyn_sized_stack, 0
	.set _ZN12_GLOBAL__N_127rocblas_gemm_batched_kernelI19rocblas_complex_numIfELi16ELi16ELi32ELi32ELi8ELi32ELi8ELi8ELi32ELc84ELc78EKPKS2_S5_KPS2_EEvlllT_PT11_llSA_llS8_PT12_llPT13_lli.has_recursion, 0
	.set _ZN12_GLOBAL__N_127rocblas_gemm_batched_kernelI19rocblas_complex_numIfELi16ELi16ELi32ELi32ELi8ELi32ELi8ELi8ELi32ELc84ELc78EKPKS2_S5_KPS2_EEvlllT_PT11_llSA_llS8_PT12_llPT13_lli.has_indirect_call, 0
	.section	.AMDGPU.csdata,"",@progbits
; Kernel info:
; codeLenInByte = 2536
; TotalNumSgprs: 46
; NumVgprs: 92
; ScratchSize: 0
; MemoryBound: 0
; FloatMode: 240
; IeeeMode: 1
; LDSByteSize: 4096 bytes/workgroup (compile time only)
; SGPRBlocks: 0
; VGPRBlocks: 11
; NumSGPRsForWavesPerEU: 46
; NumVGPRsForWavesPerEU: 92
; Occupancy: 10
; WaveLimiterHint : 1
; COMPUTE_PGM_RSRC2:SCRATCH_EN: 0
; COMPUTE_PGM_RSRC2:USER_SGPR: 6
; COMPUTE_PGM_RSRC2:TRAP_HANDLER: 0
; COMPUTE_PGM_RSRC2:TGID_X_EN: 1
; COMPUTE_PGM_RSRC2:TGID_Y_EN: 1
; COMPUTE_PGM_RSRC2:TGID_Z_EN: 1
; COMPUTE_PGM_RSRC2:TIDIG_COMP_CNT: 1
	.section	.text._ZN12_GLOBAL__N_127rocblas_gemm_batched_kernelI19rocblas_complex_numIfELi16ELi16ELi32ELi32ELi8ELi32ELi8ELi8ELi32ELc78ELc84EKPKS2_S5_KPS2_EEvlllT_PT11_llSA_llS8_PT12_llPT13_lli,"axG",@progbits,_ZN12_GLOBAL__N_127rocblas_gemm_batched_kernelI19rocblas_complex_numIfELi16ELi16ELi32ELi32ELi8ELi32ELi8ELi8ELi32ELc78ELc84EKPKS2_S5_KPS2_EEvlllT_PT11_llSA_llS8_PT12_llPT13_lli,comdat
	.globl	_ZN12_GLOBAL__N_127rocblas_gemm_batched_kernelI19rocblas_complex_numIfELi16ELi16ELi32ELi32ELi8ELi32ELi8ELi8ELi32ELc78ELc84EKPKS2_S5_KPS2_EEvlllT_PT11_llSA_llS8_PT12_llPT13_lli ; -- Begin function _ZN12_GLOBAL__N_127rocblas_gemm_batched_kernelI19rocblas_complex_numIfELi16ELi16ELi32ELi32ELi8ELi32ELi8ELi8ELi32ELc78ELc84EKPKS2_S5_KPS2_EEvlllT_PT11_llSA_llS8_PT12_llPT13_lli
	.p2align	8
	.type	_ZN12_GLOBAL__N_127rocblas_gemm_batched_kernelI19rocblas_complex_numIfELi16ELi16ELi32ELi32ELi8ELi32ELi8ELi8ELi32ELc78ELc84EKPKS2_S5_KPS2_EEvlllT_PT11_llSA_llS8_PT12_llPT13_lli,@function
_ZN12_GLOBAL__N_127rocblas_gemm_batched_kernelI19rocblas_complex_numIfELi16ELi16ELi32ELi32ELi8ELi32ELi8ELi8ELi32ELc78ELc84EKPKS2_S5_KPS2_EEvlllT_PT11_llSA_llS8_PT12_llPT13_lli: ; @_ZN12_GLOBAL__N_127rocblas_gemm_batched_kernelI19rocblas_complex_numIfELi16ELi16ELi32ELi32ELi8ELi32ELi8ELi8ELi32ELc78ELc84EKPKS2_S5_KPS2_EEvlllT_PT11_llSA_llS8_PT12_llPT13_lli
; %bb.0:
	s_clause 0x1
	s_load_dwordx8 s[36:43], s[4:5], 0x58
	s_load_dwordx16 s[12:27], s[4:5], 0x10
	s_mov_b32 s9, 0
	s_clause 0x1
	s_load_dwordx4 s[28:31], s[4:5], 0x78
	s_load_dwordx2 s[2:3], s[4:5], 0x50
	s_lshl_b64 s[0:1], s[8:9], 3
	s_mov_b32 s10, s7
	v_mov_b32_e32 v12, 0
	v_mov_b32_e32 v13, 0
	;; [unrolled: 1-line block ×8, first 2 shown]
	s_waitcnt lgkmcnt(0)
	s_add_u32 s4, s36, s0
	s_addc_u32 s5, s37, s1
	s_add_u32 s8, s42, s0
	s_addc_u32 s9, s43, s1
	s_load_dwordx2 s[4:5], s[4:5], 0x0
	s_load_dwordx2 s[8:9], s[8:9], 0x0
	v_cmp_lt_i64_e64 s33, s[12:13], 1
	s_ashr_i32 s7, s6, 31
	s_ashr_i32 s11, s10, 31
	s_lshl_b64 s[6:7], s[6:7], 5
	s_lshl_b64 s[10:11], s[10:11], 5
	s_and_b32 vcc_lo, exec_lo, s33
	s_cbranch_vccnz .LBB245_3
; %bb.1:
	v_lshl_add_u32 v9, v1, 4, v0
	v_and_b32_e32 v11, 7, v0
	s_add_u32 s16, s16, s0
	s_addc_u32 s17, s17, s1
	s_add_u32 s0, s22, s0
	v_lshrrev_b32_e32 v10, 3, v9
	v_lshrrev_b32_e32 v12, 5, v9
	s_addc_u32 s1, s23, s1
	s_load_dwordx2 s[16:17], s[16:17], 0x0
	s_load_dwordx2 s[0:1], s[0:1], 0x0
	s_lshl_b64 s[20:21], s[20:21], 3
	v_add_co_u32 v2, s33, v10, s10
	v_add_co_ci_u32_e64 v3, null, 0, s11, s33
	v_mad_u64_u32 v[4:5], null, s18, v12, s[6:7]
	v_lshlrev_b32_e32 v13, 3, v11
	v_mad_u64_u32 v[7:8], null, s24, v11, v[2:3]
	v_mov_b32_e32 v6, 0
	v_lshlrev_b32_e32 v14, 3, v0
	v_lshl_or_b32 v10, v10, 6, v13
	v_mov_b32_e32 v2, v5
	v_and_b32_e32 v5, 31, v9
	v_lshl_add_u32 v17, v1, 6, 0x800
	v_mov_b32_e32 v3, v8
	v_add_nc_u32_e32 v16, 0x800, v10
	s_waitcnt lgkmcnt(0)
	s_add_u32 s16, s16, s20
	s_addc_u32 s17, s17, s21
	s_lshl_b64 s[20:21], s[26:27], 3
	v_mad_u64_u32 v[8:9], null, s19, v12, v[2:3]
	v_mad_u64_u32 v[2:3], null, s25, v11, v[3:4]
	v_add_co_u32 v3, vcc_lo, v4, v5
	v_lshlrev_b32_e32 v9, 3, v5
	v_mov_b32_e32 v11, 0
	v_add_co_ci_u32_e64 v4, null, 0, v8, vcc_lo
	v_mov_b32_e32 v8, v2
	v_lshl_or_b32 v15, v12, 8, v9
	v_mov_b32_e32 v9, 0
	v_lshlrev_b64 v[2:3], 3, v[3:4]
	v_mov_b32_e32 v10, 0
	v_lshlrev_b64 v[4:5], 3, v[7:8]
	v_mov_b32_e32 v7, 0
	v_mov_b32_e32 v8, 0
	;; [unrolled: 1-line block ×3, first 2 shown]
	v_add_co_u32 v2, vcc_lo, s16, v2
	v_add_co_ci_u32_e64 v3, null, s17, v3, vcc_lo
	s_lshl_b64 s[16:17], s[18:19], 6
	s_add_u32 s0, s0, s20
	s_addc_u32 s1, s1, s21
	v_add_co_u32 v4, vcc_lo, s0, v4
	v_add_co_ci_u32_e64 v5, null, s1, v5, vcc_lo
	v_mov_b32_e32 v12, 0
	s_lshl_b64 s[18:19], s[24:25], 6
	s_mov_b64 s[20:21], 0
.LBB245_2:                              ; =>This Inner Loop Header: Depth=1
	flat_load_dwordx2 v[18:19], v[2:3]
	s_add_u32 s20, s20, 8
	s_addc_u32 s21, s21, 0
	v_add_co_u32 v2, vcc_lo, v2, s16
	v_cmp_lt_i64_e64 s0, s[20:21], s[12:13]
	v_add_co_ci_u32_e64 v3, null, s17, v3, vcc_lo
	s_and_b32 vcc_lo, exec_lo, s0
	s_waitcnt vmcnt(0) lgkmcnt(0)
	ds_write_b64 v15, v[18:19]
	flat_load_dwordx2 v[18:19], v[4:5]
	v_add_co_u32 v4, s0, v4, s18
	v_add_co_ci_u32_e64 v5, null, s19, v5, s0
	s_waitcnt vmcnt(0) lgkmcnt(0)
	ds_write_b64 v16, v[18:19]
	s_waitcnt lgkmcnt(0)
	s_barrier
	buffer_gl0_inv
	ds_read_b128 v[18:21], v17
	ds_read2_b64 v[22:25], v14 offset1:16
	ds_read_b128 v[26:29], v17 offset:1024
	ds_read2_b64 v[30:33], v14 offset0:32 offset1:48
	ds_read_b128 v[34:37], v17 offset:16
	ds_read2_b64 v[38:41], v14 offset0:64 offset1:80
	ds_read_b128 v[42:45], v17 offset:1040
	ds_read2_b64 v[46:49], v14 offset0:96 offset1:112
	ds_read2_b64 v[50:53], v14 offset0:128 offset1:144
	ds_read2_b64 v[54:57], v14 offset0:160 offset1:176
	ds_read_b128 v[58:61], v17 offset:32
	ds_read_b128 v[62:65], v17 offset:48
	ds_read2_b64 v[66:69], v14 offset0:192 offset1:208
	ds_read_b128 v[70:73], v17 offset:1056
	ds_read_b128 v[74:77], v17 offset:1072
	ds_read2_b64 v[78:81], v14 offset0:224 offset1:240
	s_waitcnt lgkmcnt(0)
	s_barrier
	buffer_gl0_inv
	v_mul_f32_e32 v82, v19, v23
	v_mul_f32_e32 v83, v18, v23
	;; [unrolled: 1-line block ×12, first 2 shown]
	v_fma_f32 v82, v18, v22, -v82
	v_fmac_f32_e32 v83, v19, v22
	v_fma_f32 v18, v18, v24, -v84
	v_fmac_f32_e32 v85, v19, v24
	;; [unrolled: 2-line block ×4, first 2 shown]
	v_mul_f32_e32 v24, v29, v31
	v_mul_f32_e32 v26, v28, v31
	;; [unrolled: 1-line block ×4, first 2 shown]
	v_fma_f32 v33, v20, v30, -v88
	v_fmac_f32_e32 v89, v21, v30
	v_fma_f32 v20, v20, v32, -v90
	v_fmac_f32_e32 v91, v21, v32
	v_mul_f32_e32 v21, v35, v39
	v_mul_f32_e32 v84, v34, v39
	v_mul_f32_e32 v86, v35, v41
	v_mul_f32_e32 v87, v34, v41
	v_fma_f32 v24, v28, v30, -v24
	v_fmac_f32_e32 v26, v29, v30
	v_fma_f32 v27, v28, v32, -v27
	v_fmac_f32_e32 v31, v29, v32
	v_mul_f32_e32 v28, v43, v39
	v_mul_f32_e32 v29, v42, v39
	v_mul_f32_e32 v30, v43, v41
	v_mul_f32_e32 v32, v42, v41
	v_add_f32_e32 v12, v12, v82
	v_add_f32_e32 v13, v13, v83
	v_add_f32_e32 v10, v10, v18
	v_add_f32_e32 v11, v11, v85
	v_add_f32_e32 v8, v8, v19
	v_add_f32_e32 v9, v9, v23
	v_add_f32_e32 v7, v7, v22
	v_add_f32_e32 v6, v6, v25
	v_mul_f32_e32 v39, v37, v47
	v_mul_f32_e32 v41, v36, v47
	v_mul_f32_e32 v88, v37, v49
	v_mul_f32_e32 v90, v36, v49
	v_fma_f32 v21, v34, v38, -v21
	v_fmac_f32_e32 v84, v35, v38
	v_fma_f32 v34, v34, v40, -v86
	v_fmac_f32_e32 v87, v35, v40
	v_fma_f32 v28, v42, v38, -v28
	v_fmac_f32_e32 v29, v43, v38
	v_fma_f32 v30, v42, v40, -v30
	v_fmac_f32_e32 v32, v43, v40
	v_mul_f32_e32 v35, v45, v47
	v_mul_f32_e32 v38, v44, v47
	v_mul_f32_e32 v40, v45, v49
	v_mul_f32_e32 v42, v44, v49
	v_add_f32_e32 v12, v12, v33
	v_add_f32_e32 v13, v13, v89
	v_add_f32_e32 v10, v10, v20
	v_add_f32_e32 v11, v11, v91
	v_add_f32_e32 v8, v8, v24
	v_add_f32_e32 v9, v9, v26
	v_add_f32_e32 v7, v7, v27
	v_add_f32_e32 v6, v6, v31
	v_fma_f32 v39, v36, v46, -v39
	v_fmac_f32_e32 v41, v37, v46
	v_fma_f32 v36, v36, v48, -v88
	v_fmac_f32_e32 v90, v37, v48
	v_mul_f32_e32 v37, v59, v51
	v_mul_f32_e32 v43, v58, v51
	v_mul_f32_e32 v47, v59, v53
	v_mul_f32_e32 v49, v58, v53
	v_fma_f32 v35, v44, v46, -v35
	v_fmac_f32_e32 v38, v45, v46
	v_fma_f32 v40, v44, v48, -v40
	v_fmac_f32_e32 v42, v45, v48
	v_mul_f32_e32 v44, v71, v51
	v_mul_f32_e32 v45, v70, v51
	v_mul_f32_e32 v46, v71, v53
	v_mul_f32_e32 v48, v70, v53
	v_add_f32_e32 v12, v12, v21
	v_add_f32_e32 v13, v13, v84
	v_add_f32_e32 v10, v10, v34
	v_add_f32_e32 v11, v11, v87
	v_add_f32_e32 v8, v8, v28
	v_add_f32_e32 v9, v9, v29
	v_add_f32_e32 v7, v7, v30
	v_add_f32_e32 v6, v6, v32
	v_mul_f32_e32 v51, v61, v55
	v_mul_f32_e32 v53, v60, v55
	v_mul_f32_e32 v86, v61, v57
	v_mul_f32_e32 v88, v60, v57
	v_fma_f32 v37, v58, v50, -v37
	v_fmac_f32_e32 v43, v59, v50
	v_fma_f32 v47, v58, v52, -v47
	v_fmac_f32_e32 v49, v59, v52
	v_fma_f32 v44, v70, v50, -v44
	v_fmac_f32_e32 v45, v71, v50
	v_fma_f32 v46, v70, v52, -v46
	v_fmac_f32_e32 v48, v71, v52
	v_mul_f32_e32 v50, v73, v55
	v_mul_f32_e32 v52, v72, v55
	v_mul_f32_e32 v55, v73, v57
	v_mul_f32_e32 v57, v72, v57
	v_add_f32_e32 v12, v12, v39
	v_add_f32_e32 v13, v13, v41
	v_add_f32_e32 v10, v10, v36
	v_add_f32_e32 v11, v11, v90
	v_add_f32_e32 v8, v8, v35
	v_add_f32_e32 v9, v9, v38
	v_add_f32_e32 v7, v7, v40
	v_add_f32_e32 v6, v6, v42
	;; [unrolled: 48-line block ×3, first 2 shown]
	v_fma_f32 v71, v64, v78, -v71
	v_fmac_f32_e32 v72, v65, v78
	v_fma_f32 v64, v64, v80, -v73
	v_fmac_f32_e32 v86, v65, v80
	;; [unrolled: 2-line block ×4, first 2 shown]
	v_add_f32_e32 v12, v12, v59
	v_add_f32_e32 v13, v13, v60
	;; [unrolled: 1-line block ×16, first 2 shown]
	s_cbranch_vccnz .LBB245_2
.LBB245_3:
	s_lshl_b64 s[0:1], s[30:31], 3
	v_add_co_u32 v0, s6, s6, v0
	s_waitcnt lgkmcnt(0)
	s_add_u32 s0, s8, s0
	s_addc_u32 s1, s9, s1
	v_add_co_u32 v4, s9, s10, v1
	s_or_b32 s8, s2, s3
	v_add_co_ci_u32_e64 v5, null, s11, 0, s9
	v_add_co_ci_u32_e64 v1, null, s7, 0, s6
	s_bitset0_b32 s8, 31
	s_mov_b32 s6, 0
	s_cmp_lg_u32 s8, 0
	s_cbranch_scc1 .LBB245_5
; %bb.4:
	v_mul_lo_u32 v14, v5, s28
	v_mul_lo_u32 v15, v4, s29
	v_mad_u64_u32 v[2:3], null, v4, s28, 0
	v_lshlrev_b64 v[17:18], 3, v[0:1]
	s_lshl_b64 s[8:9], s[28:29], 7
	v_mul_f32_e32 v19, s15, v13
	v_mul_f32_e32 v16, s14, v13
	;; [unrolled: 1-line block ×4, first 2 shown]
	v_add3_u32 v3, v3, v15, v14
	v_mul_f32_e32 v14, s15, v11
	v_fma_f32 v15, v12, s14, -v19
	v_mul_f32_e32 v24, s14, v9
	v_mul_f32_e32 v25, s15, v6
	v_lshlrev_b64 v[2:3], 3, v[2:3]
	v_fma_f32 v19, v10, s14, -v14
	v_mul_f32_e32 v14, s14, v6
	v_fmac_f32_e32 v16, s15, v12
	v_fmac_f32_e32 v20, s15, v10
	v_fma_f32 v23, v8, s14, -v23
	v_add_co_u32 v2, vcc_lo, s0, v2
	v_add_co_ci_u32_e64 v3, null, s1, v3, vcc_lo
	v_fmac_f32_e32 v14, s15, v7
	v_add_co_u32 v21, vcc_lo, v2, v17
	v_add_co_ci_u32_e64 v22, null, v3, v18, vcc_lo
	v_add_co_u32 v2, vcc_lo, v2, s8
	v_add_co_ci_u32_e64 v3, null, s9, v3, vcc_lo
	v_fmac_f32_e32 v24, s15, v8
	v_add_co_u32 v17, vcc_lo, v2, v17
	v_add_co_ci_u32_e64 v18, null, v3, v18, vcc_lo
	v_fma_f32 v25, v7, s14, -v25
	v_add_co_u32 v2, vcc_lo, 0x80, v17
	v_add_co_ci_u32_e64 v3, null, 0, v18, vcc_lo
	flat_store_dwordx2 v[21:22], v[15:16]
	flat_store_dwordx2 v[21:22], v[19:20] offset:128
	flat_store_dwordx2 v[17:18], v[23:24]
	flat_store_dword v[17:18], v25 offset:128
	s_andn2_b32 vcc_lo, exec_lo, s6
	s_cbranch_vccz .LBB245_6
	s_branch .LBB245_7
.LBB245_5:
                                        ; implicit-def: $vgpr14
                                        ; implicit-def: $vgpr2_vgpr3
.LBB245_6:
	v_mul_lo_u32 v14, v5, s38
	v_mul_lo_u32 v15, v4, s39
	v_mad_u64_u32 v[2:3], null, v4, s38, 0
	s_lshl_b64 s[6:7], s[40:41], 3
	v_lshlrev_b64 v[0:1], 3, v[0:1]
	s_add_u32 s4, s4, s6
	s_addc_u32 s5, s5, s7
	v_mul_lo_u32 v18, v5, s28
	v_mul_lo_u32 v19, v4, s29
	v_add3_u32 v3, v3, v15, v14
	v_mad_u64_u32 v[4:5], null, v4, s28, 0
	v_lshlrev_b64 v[2:3], 3, v[2:3]
	v_add3_u32 v5, v5, v19, v18
	v_mul_f32_e32 v18, s15, v13
	v_add_co_u32 v16, vcc_lo, s4, v2
	v_add_co_ci_u32_e64 v17, null, s5, v3, vcc_lo
	v_mul_f32_e32 v13, s14, v13
	v_add_co_u32 v2, vcc_lo, v16, v0
	v_add_co_ci_u32_e64 v3, null, v17, v1, vcc_lo
	v_lshlrev_b64 v[4:5], 3, v[4:5]
	v_fma_f32 v18, v12, s14, -v18
	v_fmac_f32_e32 v13, s15, v12
	flat_load_dwordx2 v[14:15], v[2:3]
	v_add_co_u32 v19, vcc_lo, s0, v4
	v_add_co_ci_u32_e64 v20, null, s1, v5, vcc_lo
	s_lshl_b64 s[0:1], s[38:39], 7
	v_add_co_u32 v4, vcc_lo, v19, v0
	v_add_co_ci_u32_e64 v5, null, v20, v1, vcc_lo
	s_waitcnt vmcnt(0) lgkmcnt(0)
	v_mul_f32_e32 v12, s3, v15
	v_mul_f32_e32 v15, s2, v15
	v_fma_f32 v12, v14, s2, -v12
	v_fmac_f32_e32 v15, s3, v14
	v_add_f32_e32 v12, v18, v12
	v_add_f32_e32 v13, v13, v15
	flat_store_dwordx2 v[4:5], v[12:13]
	flat_load_dwordx2 v[2:3], v[2:3] offset:128
	v_mul_f32_e32 v12, s15, v11
	v_mul_f32_e32 v11, s14, v11
	v_fma_f32 v12, v10, s14, -v12
	v_fmac_f32_e32 v11, s15, v10
	s_waitcnt vmcnt(0) lgkmcnt(0)
	v_mul_f32_e32 v13, s3, v3
	v_mul_f32_e32 v3, s2, v3
	v_fma_f32 v10, v2, s2, -v13
	v_add_co_u32 v13, vcc_lo, v16, s0
	v_fmac_f32_e32 v3, s3, v2
	v_add_co_ci_u32_e64 v14, null, s1, v17, vcc_lo
	v_add_f32_e32 v2, v12, v10
	v_add_co_u32 v10, vcc_lo, v13, v0
	v_add_f32_e32 v3, v11, v3
	v_add_co_ci_u32_e64 v11, null, v14, v1, vcc_lo
	s_lshl_b64 s[0:1], s[28:29], 7
	flat_store_dwordx2 v[4:5], v[2:3] offset:128
	flat_load_dwordx2 v[2:3], v[10:11]
	v_mul_f32_e32 v4, s15, v9
	v_mul_f32_e32 v5, s14, v9
	v_add_co_u32 v9, vcc_lo, v19, s0
	v_add_co_ci_u32_e64 v12, null, s1, v20, vcc_lo
	v_fma_f32 v4, v8, s14, -v4
	v_fmac_f32_e32 v5, s15, v8
	v_add_co_u32 v0, vcc_lo, v9, v0
	v_add_co_ci_u32_e64 v1, null, v12, v1, vcc_lo
	s_waitcnt vmcnt(0) lgkmcnt(0)
	v_mul_f32_e32 v8, s3, v3
	v_mul_f32_e32 v3, s2, v3
	v_fma_f32 v8, v2, s2, -v8
	v_fmac_f32_e32 v3, s3, v2
	v_add_f32_e32 v2, v4, v8
	v_add_f32_e32 v3, v5, v3
	v_mul_f32_e32 v4, s15, v6
	v_mul_f32_e32 v5, s14, v6
	flat_store_dwordx2 v[0:1], v[2:3]
	flat_load_dwordx2 v[2:3], v[10:11] offset:128
	v_fma_f32 v4, v7, s14, -v4
	v_fmac_f32_e32 v5, s15, v7
	s_waitcnt vmcnt(0) lgkmcnt(0)
	v_mul_f32_e32 v6, s3, v3
	v_mul_f32_e32 v3, s2, v3
	v_fma_f32 v6, v2, s2, -v6
	v_fmac_f32_e32 v3, s3, v2
	v_add_co_u32 v2, vcc_lo, 0x80, v0
	v_add_f32_e32 v4, v4, v6
	v_add_f32_e32 v14, v5, v3
	v_add_co_ci_u32_e64 v3, null, 0, v1, vcc_lo
	flat_store_dword v[0:1], v4 offset:128
.LBB245_7:
	flat_store_dword v[2:3], v14 offset:4
	s_endpgm
	.section	.rodata,"a",@progbits
	.p2align	6, 0x0
	.amdhsa_kernel _ZN12_GLOBAL__N_127rocblas_gemm_batched_kernelI19rocblas_complex_numIfELi16ELi16ELi32ELi32ELi8ELi32ELi8ELi8ELi32ELc78ELc84EKPKS2_S5_KPS2_EEvlllT_PT11_llSA_llS8_PT12_llPT13_lli
		.amdhsa_group_segment_fixed_size 4096
		.amdhsa_private_segment_fixed_size 0
		.amdhsa_kernarg_size 140
		.amdhsa_user_sgpr_count 6
		.amdhsa_user_sgpr_private_segment_buffer 1
		.amdhsa_user_sgpr_dispatch_ptr 0
		.amdhsa_user_sgpr_queue_ptr 0
		.amdhsa_user_sgpr_kernarg_segment_ptr 1
		.amdhsa_user_sgpr_dispatch_id 0
		.amdhsa_user_sgpr_flat_scratch_init 0
		.amdhsa_user_sgpr_private_segment_size 0
		.amdhsa_wavefront_size32 1
		.amdhsa_uses_dynamic_stack 0
		.amdhsa_system_sgpr_private_segment_wavefront_offset 0
		.amdhsa_system_sgpr_workgroup_id_x 1
		.amdhsa_system_sgpr_workgroup_id_y 1
		.amdhsa_system_sgpr_workgroup_id_z 1
		.amdhsa_system_sgpr_workgroup_info 0
		.amdhsa_system_vgpr_workitem_id 1
		.amdhsa_next_free_vgpr 92
		.amdhsa_next_free_sgpr 44
		.amdhsa_reserve_vcc 1
		.amdhsa_reserve_flat_scratch 0
		.amdhsa_float_round_mode_32 0
		.amdhsa_float_round_mode_16_64 0
		.amdhsa_float_denorm_mode_32 3
		.amdhsa_float_denorm_mode_16_64 3
		.amdhsa_dx10_clamp 1
		.amdhsa_ieee_mode 1
		.amdhsa_fp16_overflow 0
		.amdhsa_workgroup_processor_mode 1
		.amdhsa_memory_ordered 1
		.amdhsa_forward_progress 1
		.amdhsa_shared_vgpr_count 0
		.amdhsa_exception_fp_ieee_invalid_op 0
		.amdhsa_exception_fp_denorm_src 0
		.amdhsa_exception_fp_ieee_div_zero 0
		.amdhsa_exception_fp_ieee_overflow 0
		.amdhsa_exception_fp_ieee_underflow 0
		.amdhsa_exception_fp_ieee_inexact 0
		.amdhsa_exception_int_div_zero 0
	.end_amdhsa_kernel
	.section	.text._ZN12_GLOBAL__N_127rocblas_gemm_batched_kernelI19rocblas_complex_numIfELi16ELi16ELi32ELi32ELi8ELi32ELi8ELi8ELi32ELc78ELc84EKPKS2_S5_KPS2_EEvlllT_PT11_llSA_llS8_PT12_llPT13_lli,"axG",@progbits,_ZN12_GLOBAL__N_127rocblas_gemm_batched_kernelI19rocblas_complex_numIfELi16ELi16ELi32ELi32ELi8ELi32ELi8ELi8ELi32ELc78ELc84EKPKS2_S5_KPS2_EEvlllT_PT11_llSA_llS8_PT12_llPT13_lli,comdat
.Lfunc_end245:
	.size	_ZN12_GLOBAL__N_127rocblas_gemm_batched_kernelI19rocblas_complex_numIfELi16ELi16ELi32ELi32ELi8ELi32ELi8ELi8ELi32ELc78ELc84EKPKS2_S5_KPS2_EEvlllT_PT11_llSA_llS8_PT12_llPT13_lli, .Lfunc_end245-_ZN12_GLOBAL__N_127rocblas_gemm_batched_kernelI19rocblas_complex_numIfELi16ELi16ELi32ELi32ELi8ELi32ELi8ELi8ELi32ELc78ELc84EKPKS2_S5_KPS2_EEvlllT_PT11_llSA_llS8_PT12_llPT13_lli
                                        ; -- End function
	.set _ZN12_GLOBAL__N_127rocblas_gemm_batched_kernelI19rocblas_complex_numIfELi16ELi16ELi32ELi32ELi8ELi32ELi8ELi8ELi32ELc78ELc84EKPKS2_S5_KPS2_EEvlllT_PT11_llSA_llS8_PT12_llPT13_lli.num_vgpr, 92
	.set _ZN12_GLOBAL__N_127rocblas_gemm_batched_kernelI19rocblas_complex_numIfELi16ELi16ELi32ELi32ELi8ELi32ELi8ELi8ELi32ELc78ELc84EKPKS2_S5_KPS2_EEvlllT_PT11_llSA_llS8_PT12_llPT13_lli.num_agpr, 0
	.set _ZN12_GLOBAL__N_127rocblas_gemm_batched_kernelI19rocblas_complex_numIfELi16ELi16ELi32ELi32ELi8ELi32ELi8ELi8ELi32ELc78ELc84EKPKS2_S5_KPS2_EEvlllT_PT11_llSA_llS8_PT12_llPT13_lli.numbered_sgpr, 44
	.set _ZN12_GLOBAL__N_127rocblas_gemm_batched_kernelI19rocblas_complex_numIfELi16ELi16ELi32ELi32ELi8ELi32ELi8ELi8ELi32ELc78ELc84EKPKS2_S5_KPS2_EEvlllT_PT11_llSA_llS8_PT12_llPT13_lli.num_named_barrier, 0
	.set _ZN12_GLOBAL__N_127rocblas_gemm_batched_kernelI19rocblas_complex_numIfELi16ELi16ELi32ELi32ELi8ELi32ELi8ELi8ELi32ELc78ELc84EKPKS2_S5_KPS2_EEvlllT_PT11_llSA_llS8_PT12_llPT13_lli.private_seg_size, 0
	.set _ZN12_GLOBAL__N_127rocblas_gemm_batched_kernelI19rocblas_complex_numIfELi16ELi16ELi32ELi32ELi8ELi32ELi8ELi8ELi32ELc78ELc84EKPKS2_S5_KPS2_EEvlllT_PT11_llSA_llS8_PT12_llPT13_lli.uses_vcc, 1
	.set _ZN12_GLOBAL__N_127rocblas_gemm_batched_kernelI19rocblas_complex_numIfELi16ELi16ELi32ELi32ELi8ELi32ELi8ELi8ELi32ELc78ELc84EKPKS2_S5_KPS2_EEvlllT_PT11_llSA_llS8_PT12_llPT13_lli.uses_flat_scratch, 0
	.set _ZN12_GLOBAL__N_127rocblas_gemm_batched_kernelI19rocblas_complex_numIfELi16ELi16ELi32ELi32ELi8ELi32ELi8ELi8ELi32ELc78ELc84EKPKS2_S5_KPS2_EEvlllT_PT11_llSA_llS8_PT12_llPT13_lli.has_dyn_sized_stack, 0
	.set _ZN12_GLOBAL__N_127rocblas_gemm_batched_kernelI19rocblas_complex_numIfELi16ELi16ELi32ELi32ELi8ELi32ELi8ELi8ELi32ELc78ELc84EKPKS2_S5_KPS2_EEvlllT_PT11_llSA_llS8_PT12_llPT13_lli.has_recursion, 0
	.set _ZN12_GLOBAL__N_127rocblas_gemm_batched_kernelI19rocblas_complex_numIfELi16ELi16ELi32ELi32ELi8ELi32ELi8ELi8ELi32ELc78ELc84EKPKS2_S5_KPS2_EEvlllT_PT11_llSA_llS8_PT12_llPT13_lli.has_indirect_call, 0
	.section	.AMDGPU.csdata,"",@progbits
; Kernel info:
; codeLenInByte = 2472
; TotalNumSgprs: 46
; NumVgprs: 92
; ScratchSize: 0
; MemoryBound: 0
; FloatMode: 240
; IeeeMode: 1
; LDSByteSize: 4096 bytes/workgroup (compile time only)
; SGPRBlocks: 0
; VGPRBlocks: 11
; NumSGPRsForWavesPerEU: 46
; NumVGPRsForWavesPerEU: 92
; Occupancy: 10
; WaveLimiterHint : 1
; COMPUTE_PGM_RSRC2:SCRATCH_EN: 0
; COMPUTE_PGM_RSRC2:USER_SGPR: 6
; COMPUTE_PGM_RSRC2:TRAP_HANDLER: 0
; COMPUTE_PGM_RSRC2:TGID_X_EN: 1
; COMPUTE_PGM_RSRC2:TGID_Y_EN: 1
; COMPUTE_PGM_RSRC2:TGID_Z_EN: 1
; COMPUTE_PGM_RSRC2:TIDIG_COMP_CNT: 1
	.section	.text._ZN12_GLOBAL__N_127rocblas_gemm_batched_kernelI19rocblas_complex_numIfELi16ELi16ELi32ELi32ELi8ELi32ELi8ELi8ELi32ELc84ELc84EKPKS2_S5_KPS2_EEvlllT_PT11_llSA_llS8_PT12_llPT13_lli,"axG",@progbits,_ZN12_GLOBAL__N_127rocblas_gemm_batched_kernelI19rocblas_complex_numIfELi16ELi16ELi32ELi32ELi8ELi32ELi8ELi8ELi32ELc84ELc84EKPKS2_S5_KPS2_EEvlllT_PT11_llSA_llS8_PT12_llPT13_lli,comdat
	.globl	_ZN12_GLOBAL__N_127rocblas_gemm_batched_kernelI19rocblas_complex_numIfELi16ELi16ELi32ELi32ELi8ELi32ELi8ELi8ELi32ELc84ELc84EKPKS2_S5_KPS2_EEvlllT_PT11_llSA_llS8_PT12_llPT13_lli ; -- Begin function _ZN12_GLOBAL__N_127rocblas_gemm_batched_kernelI19rocblas_complex_numIfELi16ELi16ELi32ELi32ELi8ELi32ELi8ELi8ELi32ELc84ELc84EKPKS2_S5_KPS2_EEvlllT_PT11_llSA_llS8_PT12_llPT13_lli
	.p2align	8
	.type	_ZN12_GLOBAL__N_127rocblas_gemm_batched_kernelI19rocblas_complex_numIfELi16ELi16ELi32ELi32ELi8ELi32ELi8ELi8ELi32ELc84ELc84EKPKS2_S5_KPS2_EEvlllT_PT11_llSA_llS8_PT12_llPT13_lli,@function
_ZN12_GLOBAL__N_127rocblas_gemm_batched_kernelI19rocblas_complex_numIfELi16ELi16ELi32ELi32ELi8ELi32ELi8ELi8ELi32ELc84ELc84EKPKS2_S5_KPS2_EEvlllT_PT11_llSA_llS8_PT12_llPT13_lli: ; @_ZN12_GLOBAL__N_127rocblas_gemm_batched_kernelI19rocblas_complex_numIfELi16ELi16ELi32ELi32ELi8ELi32ELi8ELi8ELi32ELc84ELc84EKPKS2_S5_KPS2_EEvlllT_PT11_llSA_llS8_PT12_llPT13_lli
; %bb.0:
	s_clause 0x1
	s_load_dwordx8 s[36:43], s[4:5], 0x58
	s_load_dwordx16 s[12:27], s[4:5], 0x10
	s_mov_b32 s9, 0
	s_clause 0x1
	s_load_dwordx4 s[28:31], s[4:5], 0x78
	s_load_dwordx2 s[2:3], s[4:5], 0x50
	s_lshl_b64 s[0:1], s[8:9], 3
	s_mov_b32 s10, s7
	v_mov_b32_e32 v12, 0
	v_mov_b32_e32 v13, 0
	;; [unrolled: 1-line block ×8, first 2 shown]
	s_waitcnt lgkmcnt(0)
	s_add_u32 s4, s36, s0
	s_addc_u32 s5, s37, s1
	s_add_u32 s8, s42, s0
	s_addc_u32 s9, s43, s1
	s_load_dwordx2 s[4:5], s[4:5], 0x0
	s_load_dwordx2 s[8:9], s[8:9], 0x0
	v_cmp_lt_i64_e64 s33, s[12:13], 1
	s_ashr_i32 s7, s6, 31
	s_ashr_i32 s11, s10, 31
	s_lshl_b64 s[6:7], s[6:7], 5
	s_lshl_b64 s[10:11], s[10:11], 5
	s_and_b32 vcc_lo, exec_lo, s33
	s_cbranch_vccnz .LBB246_3
; %bb.1:
	v_lshl_add_u32 v7, v1, 4, v0
	v_and_b32_e32 v8, 7, v0
	s_add_u32 s16, s16, s0
	s_addc_u32 s17, s17, s1
	s_add_u32 s0, s22, s0
	v_lshrrev_b32_e32 v9, 3, v7
	v_and_b32_e32 v10, 31, v7
	s_addc_u32 s1, s23, s1
	v_lshlrev_b32_e32 v13, 3, v8
	s_load_dwordx2 s[16:17], s[16:17], 0x0
	s_load_dwordx2 s[0:1], s[0:1], 0x0
	v_add_co_u32 v2, s33, v9, s10
	v_add_co_ci_u32_e64 v3, null, 0, s11, s33
	v_add_co_u32 v4, s33, s6, v10
	v_add_co_ci_u32_e64 v5, null, s7, 0, s33
	v_mad_u64_u32 v[2:3], null, s24, v8, v[2:3]
	v_mul_lo_u32 v11, s19, v4
	v_mul_lo_u32 v12, s18, v5
	v_mad_u64_u32 v[4:5], null, s18, v4, 0
	v_lshrrev_b32_e32 v17, 5, v7
	s_lshl_b64 s[18:19], s[20:21], 3
	v_lshlrev_b32_e32 v10, 3, v10
	v_mov_b32_e32 v6, 0
	v_lshlrev_b32_e32 v16, 3, v0
	v_add3_u32 v5, v5, v12, v11
	v_mad_u64_u32 v[7:8], null, s25, v8, v[3:4]
	v_lshl_or_b32 v3, v9, 6, v13
	v_lshl_or_b32 v14, v17, 8, v10
	v_lshlrev_b64 v[4:5], 3, v[4:5]
	v_mov_b32_e32 v9, 0
	v_mov_b32_e32 v11, 0
	v_add_nc_u32_e32 v15, 0x800, v3
	v_mov_b32_e32 v3, v7
	v_lshlrev_b32_e32 v7, 3, v17
	v_add_co_u32 v4, vcc_lo, v4, s18
	v_add_co_ci_u32_e64 v5, null, s19, v5, vcc_lo
	s_lshl_b64 s[18:19], s[26:27], 3
	v_add_co_u32 v7, vcc_lo, v4, v7
	v_add_co_ci_u32_e64 v8, null, 0, v5, vcc_lo
	v_lshlrev_b64 v[4:5], 3, v[2:3]
	s_waitcnt lgkmcnt(0)
	v_add_co_u32 v2, vcc_lo, s16, v7
	s_add_u32 s0, s0, s18
	v_add_co_ci_u32_e64 v3, null, s17, v8, vcc_lo
	s_addc_u32 s1, s1, s19
	v_add_co_u32 v4, vcc_lo, s0, v4
	v_lshl_add_u32 v17, v1, 6, 0x800
	v_add_co_ci_u32_e64 v5, null, s1, v5, vcc_lo
	v_mov_b32_e32 v7, 0
	v_mov_b32_e32 v8, 0
	;; [unrolled: 1-line block ×5, first 2 shown]
	s_lshl_b64 s[16:17], s[24:25], 6
	s_mov_b64 s[18:19], 0
.LBB246_2:                              ; =>This Inner Loop Header: Depth=1
	flat_load_dwordx2 v[18:19], v[2:3]
	s_add_u32 s18, s18, 8
	s_addc_u32 s19, s19, 0
	v_add_co_u32 v2, vcc_lo, v2, 64
	v_cmp_lt_i64_e64 s0, s[18:19], s[12:13]
	v_add_co_ci_u32_e64 v3, null, 0, v3, vcc_lo
	s_and_b32 vcc_lo, exec_lo, s0
	s_waitcnt vmcnt(0) lgkmcnt(0)
	ds_write_b64 v14, v[18:19]
	flat_load_dwordx2 v[18:19], v[4:5]
	v_add_co_u32 v4, s0, v4, s16
	v_add_co_ci_u32_e64 v5, null, s17, v5, s0
	s_waitcnt vmcnt(0) lgkmcnt(0)
	ds_write_b64 v15, v[18:19]
	s_waitcnt lgkmcnt(0)
	s_barrier
	buffer_gl0_inv
	ds_read_b128 v[18:21], v17
	ds_read2_b64 v[22:25], v16 offset1:16
	ds_read_b128 v[26:29], v17 offset:1024
	ds_read2_b64 v[30:33], v16 offset0:32 offset1:48
	ds_read_b128 v[34:37], v17 offset:16
	ds_read2_b64 v[38:41], v16 offset0:64 offset1:80
	;; [unrolled: 2-line block ×3, first 2 shown]
	ds_read2_b64 v[50:53], v16 offset0:128 offset1:144
	ds_read2_b64 v[54:57], v16 offset0:160 offset1:176
	ds_read_b128 v[58:61], v17 offset:32
	ds_read_b128 v[62:65], v17 offset:48
	ds_read2_b64 v[66:69], v16 offset0:192 offset1:208
	ds_read_b128 v[70:73], v17 offset:1056
	ds_read_b128 v[74:77], v17 offset:1072
	ds_read2_b64 v[78:81], v16 offset0:224 offset1:240
	s_waitcnt lgkmcnt(0)
	s_barrier
	buffer_gl0_inv
	v_mul_f32_e32 v82, v19, v23
	v_mul_f32_e32 v83, v18, v23
	;; [unrolled: 1-line block ×12, first 2 shown]
	v_fma_f32 v82, v18, v22, -v82
	v_fmac_f32_e32 v83, v19, v22
	v_fma_f32 v18, v18, v24, -v84
	v_fmac_f32_e32 v85, v19, v24
	;; [unrolled: 2-line block ×4, first 2 shown]
	v_mul_f32_e32 v24, v29, v31
	v_mul_f32_e32 v26, v28, v31
	;; [unrolled: 1-line block ×4, first 2 shown]
	v_fma_f32 v33, v20, v30, -v88
	v_fmac_f32_e32 v89, v21, v30
	v_fma_f32 v20, v20, v32, -v90
	v_fmac_f32_e32 v91, v21, v32
	v_mul_f32_e32 v21, v35, v39
	v_mul_f32_e32 v84, v34, v39
	v_mul_f32_e32 v86, v35, v41
	v_mul_f32_e32 v87, v34, v41
	v_fma_f32 v24, v28, v30, -v24
	v_fmac_f32_e32 v26, v29, v30
	v_fma_f32 v27, v28, v32, -v27
	v_fmac_f32_e32 v31, v29, v32
	v_mul_f32_e32 v28, v43, v39
	v_mul_f32_e32 v29, v42, v39
	v_mul_f32_e32 v30, v43, v41
	v_mul_f32_e32 v32, v42, v41
	v_add_f32_e32 v12, v12, v82
	v_add_f32_e32 v13, v13, v83
	v_add_f32_e32 v10, v10, v18
	v_add_f32_e32 v11, v11, v85
	v_add_f32_e32 v8, v8, v19
	v_add_f32_e32 v9, v9, v23
	v_add_f32_e32 v7, v7, v22
	v_add_f32_e32 v6, v6, v25
	v_mul_f32_e32 v39, v37, v47
	v_mul_f32_e32 v41, v36, v47
	v_mul_f32_e32 v88, v37, v49
	v_mul_f32_e32 v90, v36, v49
	v_fma_f32 v21, v34, v38, -v21
	v_fmac_f32_e32 v84, v35, v38
	v_fma_f32 v34, v34, v40, -v86
	v_fmac_f32_e32 v87, v35, v40
	v_fma_f32 v28, v42, v38, -v28
	v_fmac_f32_e32 v29, v43, v38
	v_fma_f32 v30, v42, v40, -v30
	v_fmac_f32_e32 v32, v43, v40
	v_mul_f32_e32 v35, v45, v47
	v_mul_f32_e32 v38, v44, v47
	v_mul_f32_e32 v40, v45, v49
	v_mul_f32_e32 v42, v44, v49
	v_add_f32_e32 v12, v12, v33
	v_add_f32_e32 v13, v13, v89
	v_add_f32_e32 v10, v10, v20
	v_add_f32_e32 v11, v11, v91
	v_add_f32_e32 v8, v8, v24
	v_add_f32_e32 v9, v9, v26
	v_add_f32_e32 v7, v7, v27
	v_add_f32_e32 v6, v6, v31
	v_fma_f32 v39, v36, v46, -v39
	v_fmac_f32_e32 v41, v37, v46
	v_fma_f32 v36, v36, v48, -v88
	v_fmac_f32_e32 v90, v37, v48
	v_mul_f32_e32 v37, v59, v51
	v_mul_f32_e32 v43, v58, v51
	v_mul_f32_e32 v47, v59, v53
	v_mul_f32_e32 v49, v58, v53
	v_fma_f32 v35, v44, v46, -v35
	v_fmac_f32_e32 v38, v45, v46
	v_fma_f32 v40, v44, v48, -v40
	v_fmac_f32_e32 v42, v45, v48
	v_mul_f32_e32 v44, v71, v51
	v_mul_f32_e32 v45, v70, v51
	v_mul_f32_e32 v46, v71, v53
	v_mul_f32_e32 v48, v70, v53
	v_add_f32_e32 v12, v12, v21
	v_add_f32_e32 v13, v13, v84
	v_add_f32_e32 v10, v10, v34
	v_add_f32_e32 v11, v11, v87
	v_add_f32_e32 v8, v8, v28
	v_add_f32_e32 v9, v9, v29
	v_add_f32_e32 v7, v7, v30
	v_add_f32_e32 v6, v6, v32
	v_mul_f32_e32 v51, v61, v55
	v_mul_f32_e32 v53, v60, v55
	v_mul_f32_e32 v86, v61, v57
	v_mul_f32_e32 v88, v60, v57
	v_fma_f32 v37, v58, v50, -v37
	v_fmac_f32_e32 v43, v59, v50
	v_fma_f32 v47, v58, v52, -v47
	v_fmac_f32_e32 v49, v59, v52
	v_fma_f32 v44, v70, v50, -v44
	v_fmac_f32_e32 v45, v71, v50
	v_fma_f32 v46, v70, v52, -v46
	v_fmac_f32_e32 v48, v71, v52
	v_mul_f32_e32 v50, v73, v55
	v_mul_f32_e32 v52, v72, v55
	v_mul_f32_e32 v55, v73, v57
	v_mul_f32_e32 v57, v72, v57
	v_add_f32_e32 v12, v12, v39
	v_add_f32_e32 v13, v13, v41
	v_add_f32_e32 v10, v10, v36
	v_add_f32_e32 v11, v11, v90
	v_add_f32_e32 v8, v8, v35
	v_add_f32_e32 v9, v9, v38
	v_add_f32_e32 v7, v7, v40
	v_add_f32_e32 v6, v6, v42
	;; [unrolled: 48-line block ×3, first 2 shown]
	v_fma_f32 v71, v64, v78, -v71
	v_fmac_f32_e32 v72, v65, v78
	v_fma_f32 v64, v64, v80, -v73
	v_fmac_f32_e32 v86, v65, v80
	;; [unrolled: 2-line block ×4, first 2 shown]
	v_add_f32_e32 v12, v12, v59
	v_add_f32_e32 v13, v13, v60
	;; [unrolled: 1-line block ×16, first 2 shown]
	s_cbranch_vccnz .LBB246_2
.LBB246_3:
	s_lshl_b64 s[0:1], s[30:31], 3
	v_add_co_u32 v0, s6, s6, v0
	s_waitcnt lgkmcnt(0)
	s_add_u32 s0, s8, s0
	s_addc_u32 s1, s9, s1
	v_add_co_u32 v4, s9, s10, v1
	s_or_b32 s8, s2, s3
	v_add_co_ci_u32_e64 v5, null, s11, 0, s9
	v_add_co_ci_u32_e64 v1, null, s7, 0, s6
	s_bitset0_b32 s8, 31
	s_mov_b32 s6, 0
	s_cmp_lg_u32 s8, 0
	s_cbranch_scc1 .LBB246_5
; %bb.4:
	v_mul_lo_u32 v14, v5, s28
	v_mul_lo_u32 v15, v4, s29
	v_mad_u64_u32 v[2:3], null, v4, s28, 0
	v_lshlrev_b64 v[17:18], 3, v[0:1]
	s_lshl_b64 s[8:9], s[28:29], 7
	v_mul_f32_e32 v19, s15, v13
	v_mul_f32_e32 v16, s14, v13
	;; [unrolled: 1-line block ×4, first 2 shown]
	v_add3_u32 v3, v3, v15, v14
	v_mul_f32_e32 v14, s15, v11
	v_fma_f32 v15, v12, s14, -v19
	v_mul_f32_e32 v24, s14, v9
	v_mul_f32_e32 v25, s15, v6
	v_lshlrev_b64 v[2:3], 3, v[2:3]
	v_fma_f32 v19, v10, s14, -v14
	v_mul_f32_e32 v14, s14, v6
	v_fmac_f32_e32 v16, s15, v12
	v_fmac_f32_e32 v20, s15, v10
	v_fma_f32 v23, v8, s14, -v23
	v_add_co_u32 v2, vcc_lo, s0, v2
	v_add_co_ci_u32_e64 v3, null, s1, v3, vcc_lo
	v_fmac_f32_e32 v14, s15, v7
	v_add_co_u32 v21, vcc_lo, v2, v17
	v_add_co_ci_u32_e64 v22, null, v3, v18, vcc_lo
	v_add_co_u32 v2, vcc_lo, v2, s8
	v_add_co_ci_u32_e64 v3, null, s9, v3, vcc_lo
	v_fmac_f32_e32 v24, s15, v8
	v_add_co_u32 v17, vcc_lo, v2, v17
	v_add_co_ci_u32_e64 v18, null, v3, v18, vcc_lo
	v_fma_f32 v25, v7, s14, -v25
	v_add_co_u32 v2, vcc_lo, 0x80, v17
	v_add_co_ci_u32_e64 v3, null, 0, v18, vcc_lo
	flat_store_dwordx2 v[21:22], v[15:16]
	flat_store_dwordx2 v[21:22], v[19:20] offset:128
	flat_store_dwordx2 v[17:18], v[23:24]
	flat_store_dword v[17:18], v25 offset:128
	s_andn2_b32 vcc_lo, exec_lo, s6
	s_cbranch_vccz .LBB246_6
	s_branch .LBB246_7
.LBB246_5:
                                        ; implicit-def: $vgpr14
                                        ; implicit-def: $vgpr2_vgpr3
.LBB246_6:
	v_mul_lo_u32 v14, v5, s38
	v_mul_lo_u32 v15, v4, s39
	v_mad_u64_u32 v[2:3], null, v4, s38, 0
	s_lshl_b64 s[6:7], s[40:41], 3
	v_lshlrev_b64 v[0:1], 3, v[0:1]
	s_add_u32 s4, s4, s6
	s_addc_u32 s5, s5, s7
	v_mul_lo_u32 v18, v5, s28
	v_mul_lo_u32 v19, v4, s29
	v_add3_u32 v3, v3, v15, v14
	v_mad_u64_u32 v[4:5], null, v4, s28, 0
	v_lshlrev_b64 v[2:3], 3, v[2:3]
	v_add3_u32 v5, v5, v19, v18
	v_mul_f32_e32 v18, s15, v13
	v_add_co_u32 v16, vcc_lo, s4, v2
	v_add_co_ci_u32_e64 v17, null, s5, v3, vcc_lo
	v_mul_f32_e32 v13, s14, v13
	v_add_co_u32 v2, vcc_lo, v16, v0
	v_add_co_ci_u32_e64 v3, null, v17, v1, vcc_lo
	v_lshlrev_b64 v[4:5], 3, v[4:5]
	v_fma_f32 v18, v12, s14, -v18
	v_fmac_f32_e32 v13, s15, v12
	flat_load_dwordx2 v[14:15], v[2:3]
	v_add_co_u32 v19, vcc_lo, s0, v4
	v_add_co_ci_u32_e64 v20, null, s1, v5, vcc_lo
	s_lshl_b64 s[0:1], s[38:39], 7
	v_add_co_u32 v4, vcc_lo, v19, v0
	v_add_co_ci_u32_e64 v5, null, v20, v1, vcc_lo
	s_waitcnt vmcnt(0) lgkmcnt(0)
	v_mul_f32_e32 v12, s3, v15
	v_mul_f32_e32 v15, s2, v15
	v_fma_f32 v12, v14, s2, -v12
	v_fmac_f32_e32 v15, s3, v14
	v_add_f32_e32 v12, v18, v12
	v_add_f32_e32 v13, v13, v15
	flat_store_dwordx2 v[4:5], v[12:13]
	flat_load_dwordx2 v[2:3], v[2:3] offset:128
	v_mul_f32_e32 v12, s15, v11
	v_mul_f32_e32 v11, s14, v11
	v_fma_f32 v12, v10, s14, -v12
	v_fmac_f32_e32 v11, s15, v10
	s_waitcnt vmcnt(0) lgkmcnt(0)
	v_mul_f32_e32 v13, s3, v3
	v_mul_f32_e32 v3, s2, v3
	v_fma_f32 v10, v2, s2, -v13
	v_add_co_u32 v13, vcc_lo, v16, s0
	v_fmac_f32_e32 v3, s3, v2
	v_add_co_ci_u32_e64 v14, null, s1, v17, vcc_lo
	v_add_f32_e32 v2, v12, v10
	v_add_co_u32 v10, vcc_lo, v13, v0
	v_add_f32_e32 v3, v11, v3
	v_add_co_ci_u32_e64 v11, null, v14, v1, vcc_lo
	s_lshl_b64 s[0:1], s[28:29], 7
	flat_store_dwordx2 v[4:5], v[2:3] offset:128
	flat_load_dwordx2 v[2:3], v[10:11]
	v_mul_f32_e32 v4, s15, v9
	v_mul_f32_e32 v5, s14, v9
	v_add_co_u32 v9, vcc_lo, v19, s0
	v_add_co_ci_u32_e64 v12, null, s1, v20, vcc_lo
	v_fma_f32 v4, v8, s14, -v4
	v_fmac_f32_e32 v5, s15, v8
	v_add_co_u32 v0, vcc_lo, v9, v0
	v_add_co_ci_u32_e64 v1, null, v12, v1, vcc_lo
	s_waitcnt vmcnt(0) lgkmcnt(0)
	v_mul_f32_e32 v8, s3, v3
	v_mul_f32_e32 v3, s2, v3
	v_fma_f32 v8, v2, s2, -v8
	v_fmac_f32_e32 v3, s3, v2
	v_add_f32_e32 v2, v4, v8
	v_add_f32_e32 v3, v5, v3
	v_mul_f32_e32 v4, s15, v6
	v_mul_f32_e32 v5, s14, v6
	flat_store_dwordx2 v[0:1], v[2:3]
	flat_load_dwordx2 v[2:3], v[10:11] offset:128
	v_fma_f32 v4, v7, s14, -v4
	v_fmac_f32_e32 v5, s15, v7
	s_waitcnt vmcnt(0) lgkmcnt(0)
	v_mul_f32_e32 v6, s3, v3
	v_mul_f32_e32 v3, s2, v3
	v_fma_f32 v6, v2, s2, -v6
	v_fmac_f32_e32 v3, s3, v2
	v_add_co_u32 v2, vcc_lo, 0x80, v0
	v_add_f32_e32 v4, v4, v6
	v_add_f32_e32 v14, v5, v3
	v_add_co_ci_u32_e64 v3, null, 0, v1, vcc_lo
	flat_store_dword v[0:1], v4 offset:128
.LBB246_7:
	flat_store_dword v[2:3], v14 offset:4
	s_endpgm
	.section	.rodata,"a",@progbits
	.p2align	6, 0x0
	.amdhsa_kernel _ZN12_GLOBAL__N_127rocblas_gemm_batched_kernelI19rocblas_complex_numIfELi16ELi16ELi32ELi32ELi8ELi32ELi8ELi8ELi32ELc84ELc84EKPKS2_S5_KPS2_EEvlllT_PT11_llSA_llS8_PT12_llPT13_lli
		.amdhsa_group_segment_fixed_size 4096
		.amdhsa_private_segment_fixed_size 0
		.amdhsa_kernarg_size 140
		.amdhsa_user_sgpr_count 6
		.amdhsa_user_sgpr_private_segment_buffer 1
		.amdhsa_user_sgpr_dispatch_ptr 0
		.amdhsa_user_sgpr_queue_ptr 0
		.amdhsa_user_sgpr_kernarg_segment_ptr 1
		.amdhsa_user_sgpr_dispatch_id 0
		.amdhsa_user_sgpr_flat_scratch_init 0
		.amdhsa_user_sgpr_private_segment_size 0
		.amdhsa_wavefront_size32 1
		.amdhsa_uses_dynamic_stack 0
		.amdhsa_system_sgpr_private_segment_wavefront_offset 0
		.amdhsa_system_sgpr_workgroup_id_x 1
		.amdhsa_system_sgpr_workgroup_id_y 1
		.amdhsa_system_sgpr_workgroup_id_z 1
		.amdhsa_system_sgpr_workgroup_info 0
		.amdhsa_system_vgpr_workitem_id 1
		.amdhsa_next_free_vgpr 92
		.amdhsa_next_free_sgpr 44
		.amdhsa_reserve_vcc 1
		.amdhsa_reserve_flat_scratch 0
		.amdhsa_float_round_mode_32 0
		.amdhsa_float_round_mode_16_64 0
		.amdhsa_float_denorm_mode_32 3
		.amdhsa_float_denorm_mode_16_64 3
		.amdhsa_dx10_clamp 1
		.amdhsa_ieee_mode 1
		.amdhsa_fp16_overflow 0
		.amdhsa_workgroup_processor_mode 1
		.amdhsa_memory_ordered 1
		.amdhsa_forward_progress 1
		.amdhsa_shared_vgpr_count 0
		.amdhsa_exception_fp_ieee_invalid_op 0
		.amdhsa_exception_fp_denorm_src 0
		.amdhsa_exception_fp_ieee_div_zero 0
		.amdhsa_exception_fp_ieee_overflow 0
		.amdhsa_exception_fp_ieee_underflow 0
		.amdhsa_exception_fp_ieee_inexact 0
		.amdhsa_exception_int_div_zero 0
	.end_amdhsa_kernel
	.section	.text._ZN12_GLOBAL__N_127rocblas_gemm_batched_kernelI19rocblas_complex_numIfELi16ELi16ELi32ELi32ELi8ELi32ELi8ELi8ELi32ELc84ELc84EKPKS2_S5_KPS2_EEvlllT_PT11_llSA_llS8_PT12_llPT13_lli,"axG",@progbits,_ZN12_GLOBAL__N_127rocblas_gemm_batched_kernelI19rocblas_complex_numIfELi16ELi16ELi32ELi32ELi8ELi32ELi8ELi8ELi32ELc84ELc84EKPKS2_S5_KPS2_EEvlllT_PT11_llSA_llS8_PT12_llPT13_lli,comdat
.Lfunc_end246:
	.size	_ZN12_GLOBAL__N_127rocblas_gemm_batched_kernelI19rocblas_complex_numIfELi16ELi16ELi32ELi32ELi8ELi32ELi8ELi8ELi32ELc84ELc84EKPKS2_S5_KPS2_EEvlllT_PT11_llSA_llS8_PT12_llPT13_lli, .Lfunc_end246-_ZN12_GLOBAL__N_127rocblas_gemm_batched_kernelI19rocblas_complex_numIfELi16ELi16ELi32ELi32ELi8ELi32ELi8ELi8ELi32ELc84ELc84EKPKS2_S5_KPS2_EEvlllT_PT11_llSA_llS8_PT12_llPT13_lli
                                        ; -- End function
	.set _ZN12_GLOBAL__N_127rocblas_gemm_batched_kernelI19rocblas_complex_numIfELi16ELi16ELi32ELi32ELi8ELi32ELi8ELi8ELi32ELc84ELc84EKPKS2_S5_KPS2_EEvlllT_PT11_llSA_llS8_PT12_llPT13_lli.num_vgpr, 92
	.set _ZN12_GLOBAL__N_127rocblas_gemm_batched_kernelI19rocblas_complex_numIfELi16ELi16ELi32ELi32ELi8ELi32ELi8ELi8ELi32ELc84ELc84EKPKS2_S5_KPS2_EEvlllT_PT11_llSA_llS8_PT12_llPT13_lli.num_agpr, 0
	.set _ZN12_GLOBAL__N_127rocblas_gemm_batched_kernelI19rocblas_complex_numIfELi16ELi16ELi32ELi32ELi8ELi32ELi8ELi8ELi32ELc84ELc84EKPKS2_S5_KPS2_EEvlllT_PT11_llSA_llS8_PT12_llPT13_lli.numbered_sgpr, 44
	.set _ZN12_GLOBAL__N_127rocblas_gemm_batched_kernelI19rocblas_complex_numIfELi16ELi16ELi32ELi32ELi8ELi32ELi8ELi8ELi32ELc84ELc84EKPKS2_S5_KPS2_EEvlllT_PT11_llSA_llS8_PT12_llPT13_lli.num_named_barrier, 0
	.set _ZN12_GLOBAL__N_127rocblas_gemm_batched_kernelI19rocblas_complex_numIfELi16ELi16ELi32ELi32ELi8ELi32ELi8ELi8ELi32ELc84ELc84EKPKS2_S5_KPS2_EEvlllT_PT11_llSA_llS8_PT12_llPT13_lli.private_seg_size, 0
	.set _ZN12_GLOBAL__N_127rocblas_gemm_batched_kernelI19rocblas_complex_numIfELi16ELi16ELi32ELi32ELi8ELi32ELi8ELi8ELi32ELc84ELc84EKPKS2_S5_KPS2_EEvlllT_PT11_llSA_llS8_PT12_llPT13_lli.uses_vcc, 1
	.set _ZN12_GLOBAL__N_127rocblas_gemm_batched_kernelI19rocblas_complex_numIfELi16ELi16ELi32ELi32ELi8ELi32ELi8ELi8ELi32ELc84ELc84EKPKS2_S5_KPS2_EEvlllT_PT11_llSA_llS8_PT12_llPT13_lli.uses_flat_scratch, 0
	.set _ZN12_GLOBAL__N_127rocblas_gemm_batched_kernelI19rocblas_complex_numIfELi16ELi16ELi32ELi32ELi8ELi32ELi8ELi8ELi32ELc84ELc84EKPKS2_S5_KPS2_EEvlllT_PT11_llSA_llS8_PT12_llPT13_lli.has_dyn_sized_stack, 0
	.set _ZN12_GLOBAL__N_127rocblas_gemm_batched_kernelI19rocblas_complex_numIfELi16ELi16ELi32ELi32ELi8ELi32ELi8ELi8ELi32ELc84ELc84EKPKS2_S5_KPS2_EEvlllT_PT11_llSA_llS8_PT12_llPT13_lli.has_recursion, 0
	.set _ZN12_GLOBAL__N_127rocblas_gemm_batched_kernelI19rocblas_complex_numIfELi16ELi16ELi32ELi32ELi8ELi32ELi8ELi8ELi32ELc84ELc84EKPKS2_S5_KPS2_EEvlllT_PT11_llSA_llS8_PT12_llPT13_lli.has_indirect_call, 0
	.section	.AMDGPU.csdata,"",@progbits
; Kernel info:
; codeLenInByte = 2504
; TotalNumSgprs: 46
; NumVgprs: 92
; ScratchSize: 0
; MemoryBound: 0
; FloatMode: 240
; IeeeMode: 1
; LDSByteSize: 4096 bytes/workgroup (compile time only)
; SGPRBlocks: 0
; VGPRBlocks: 11
; NumSGPRsForWavesPerEU: 46
; NumVGPRsForWavesPerEU: 92
; Occupancy: 10
; WaveLimiterHint : 1
; COMPUTE_PGM_RSRC2:SCRATCH_EN: 0
; COMPUTE_PGM_RSRC2:USER_SGPR: 6
; COMPUTE_PGM_RSRC2:TRAP_HANDLER: 0
; COMPUTE_PGM_RSRC2:TGID_X_EN: 1
; COMPUTE_PGM_RSRC2:TGID_Y_EN: 1
; COMPUTE_PGM_RSRC2:TGID_Z_EN: 1
; COMPUTE_PGM_RSRC2:TIDIG_COMP_CNT: 1
	.section	.text._ZN12_GLOBAL__N_127rocblas_gemm_batched_kernelI19rocblas_complex_numIfELi16ELi16ELi32ELi32ELi8ELi32ELi8ELi8ELi32ELc67ELc67EKPKS2_S5_KPS2_EEvlllT_PT11_llSA_llS8_PT12_llPT13_lli,"axG",@progbits,_ZN12_GLOBAL__N_127rocblas_gemm_batched_kernelI19rocblas_complex_numIfELi16ELi16ELi32ELi32ELi8ELi32ELi8ELi8ELi32ELc67ELc67EKPKS2_S5_KPS2_EEvlllT_PT11_llSA_llS8_PT12_llPT13_lli,comdat
	.globl	_ZN12_GLOBAL__N_127rocblas_gemm_batched_kernelI19rocblas_complex_numIfELi16ELi16ELi32ELi32ELi8ELi32ELi8ELi8ELi32ELc67ELc67EKPKS2_S5_KPS2_EEvlllT_PT11_llSA_llS8_PT12_llPT13_lli ; -- Begin function _ZN12_GLOBAL__N_127rocblas_gemm_batched_kernelI19rocblas_complex_numIfELi16ELi16ELi32ELi32ELi8ELi32ELi8ELi8ELi32ELc67ELc67EKPKS2_S5_KPS2_EEvlllT_PT11_llSA_llS8_PT12_llPT13_lli
	.p2align	8
	.type	_ZN12_GLOBAL__N_127rocblas_gemm_batched_kernelI19rocblas_complex_numIfELi16ELi16ELi32ELi32ELi8ELi32ELi8ELi8ELi32ELc67ELc67EKPKS2_S5_KPS2_EEvlllT_PT11_llSA_llS8_PT12_llPT13_lli,@function
_ZN12_GLOBAL__N_127rocblas_gemm_batched_kernelI19rocblas_complex_numIfELi16ELi16ELi32ELi32ELi8ELi32ELi8ELi8ELi32ELc67ELc67EKPKS2_S5_KPS2_EEvlllT_PT11_llSA_llS8_PT12_llPT13_lli: ; @_ZN12_GLOBAL__N_127rocblas_gemm_batched_kernelI19rocblas_complex_numIfELi16ELi16ELi32ELi32ELi8ELi32ELi8ELi8ELi32ELc67ELc67EKPKS2_S5_KPS2_EEvlllT_PT11_llSA_llS8_PT12_llPT13_lli
; %bb.0:
	s_clause 0x1
	s_load_dwordx8 s[36:43], s[4:5], 0x58
	s_load_dwordx16 s[12:27], s[4:5], 0x10
	s_mov_b32 s9, 0
	s_clause 0x1
	s_load_dwordx4 s[28:31], s[4:5], 0x78
	s_load_dwordx2 s[2:3], s[4:5], 0x50
	s_lshl_b64 s[0:1], s[8:9], 3
	s_mov_b32 s10, s7
	v_mov_b32_e32 v12, 0
	v_mov_b32_e32 v13, 0
	;; [unrolled: 1-line block ×8, first 2 shown]
	s_waitcnt lgkmcnt(0)
	s_add_u32 s4, s36, s0
	s_addc_u32 s5, s37, s1
	s_add_u32 s8, s42, s0
	s_addc_u32 s9, s43, s1
	s_load_dwordx2 s[4:5], s[4:5], 0x0
	s_load_dwordx2 s[8:9], s[8:9], 0x0
	v_cmp_lt_i64_e64 s33, s[12:13], 1
	s_ashr_i32 s7, s6, 31
	s_ashr_i32 s11, s10, 31
	s_lshl_b64 s[6:7], s[6:7], 5
	s_lshl_b64 s[10:11], s[10:11], 5
	s_and_b32 vcc_lo, exec_lo, s33
	s_cbranch_vccnz .LBB247_3
; %bb.1:
	v_lshl_add_u32 v7, v1, 4, v0
	v_and_b32_e32 v8, 7, v0
	s_add_u32 s16, s16, s0
	s_addc_u32 s17, s17, s1
	s_add_u32 s0, s22, s0
	v_lshrrev_b32_e32 v9, 3, v7
	v_and_b32_e32 v10, 31, v7
	s_addc_u32 s1, s23, s1
	v_lshlrev_b32_e32 v13, 3, v8
	s_load_dwordx2 s[16:17], s[16:17], 0x0
	s_load_dwordx2 s[0:1], s[0:1], 0x0
	v_add_co_u32 v2, s33, v9, s10
	v_add_co_ci_u32_e64 v3, null, 0, s11, s33
	v_add_co_u32 v4, s33, s6, v10
	v_add_co_ci_u32_e64 v5, null, s7, 0, s33
	v_mad_u64_u32 v[2:3], null, s24, v8, v[2:3]
	v_mul_lo_u32 v11, s19, v4
	v_mul_lo_u32 v12, s18, v5
	v_mad_u64_u32 v[4:5], null, s18, v4, 0
	v_lshrrev_b32_e32 v17, 5, v7
	s_lshl_b64 s[18:19], s[20:21], 3
	v_lshlrev_b32_e32 v10, 3, v10
	v_mov_b32_e32 v6, 0
	v_lshlrev_b32_e32 v16, 3, v0
	v_add3_u32 v5, v5, v12, v11
	v_mad_u64_u32 v[7:8], null, s25, v8, v[3:4]
	v_lshl_or_b32 v3, v9, 6, v13
	v_lshl_or_b32 v14, v17, 8, v10
	v_lshlrev_b64 v[4:5], 3, v[4:5]
	v_mov_b32_e32 v9, 0
	v_mov_b32_e32 v11, 0
	v_add_nc_u32_e32 v15, 0x800, v3
	v_mov_b32_e32 v3, v7
	v_lshlrev_b32_e32 v7, 3, v17
	v_add_co_u32 v4, vcc_lo, v4, s18
	v_add_co_ci_u32_e64 v5, null, s19, v5, vcc_lo
	s_lshl_b64 s[18:19], s[26:27], 3
	v_add_co_u32 v7, vcc_lo, v4, v7
	v_add_co_ci_u32_e64 v8, null, 0, v5, vcc_lo
	v_lshlrev_b64 v[4:5], 3, v[2:3]
	s_waitcnt lgkmcnt(0)
	v_add_co_u32 v2, vcc_lo, s16, v7
	s_add_u32 s0, s0, s18
	v_add_co_ci_u32_e64 v3, null, s17, v8, vcc_lo
	s_addc_u32 s1, s1, s19
	v_add_co_u32 v4, vcc_lo, s0, v4
	v_lshl_add_u32 v17, v1, 6, 0x800
	v_add_co_ci_u32_e64 v5, null, s1, v5, vcc_lo
	v_mov_b32_e32 v7, 0
	v_mov_b32_e32 v8, 0
	;; [unrolled: 1-line block ×5, first 2 shown]
	s_lshl_b64 s[16:17], s[24:25], 6
	s_mov_b64 s[18:19], 0
.LBB247_2:                              ; =>This Inner Loop Header: Depth=1
	flat_load_dwordx2 v[18:19], v[2:3]
	s_add_u32 s18, s18, 8
	s_addc_u32 s19, s19, 0
	v_add_co_u32 v2, vcc_lo, v2, 64
	v_cmp_lt_i64_e64 s0, s[18:19], s[12:13]
	v_add_co_ci_u32_e64 v3, null, 0, v3, vcc_lo
	s_and_b32 vcc_lo, exec_lo, s0
	s_waitcnt vmcnt(0) lgkmcnt(0)
	v_xor_b32_e32 v19, 0x80000000, v19
	ds_write_b64 v14, v[18:19]
	flat_load_dwordx2 v[18:19], v[4:5]
	v_add_co_u32 v4, s0, v4, s16
	v_add_co_ci_u32_e64 v5, null, s17, v5, s0
	s_waitcnt vmcnt(0) lgkmcnt(0)
	v_xor_b32_e32 v19, 0x80000000, v19
	ds_write_b64 v15, v[18:19]
	s_waitcnt lgkmcnt(0)
	s_barrier
	buffer_gl0_inv
	ds_read_b128 v[18:21], v17
	ds_read2_b64 v[22:25], v16 offset1:16
	ds_read_b128 v[26:29], v17 offset:1024
	ds_read2_b64 v[30:33], v16 offset0:32 offset1:48
	ds_read_b128 v[34:37], v17 offset:16
	ds_read2_b64 v[38:41], v16 offset0:64 offset1:80
	ds_read_b128 v[42:45], v17 offset:1040
	ds_read2_b64 v[46:49], v16 offset0:96 offset1:112
	ds_read2_b64 v[50:53], v16 offset0:128 offset1:144
	ds_read2_b64 v[54:57], v16 offset0:160 offset1:176
	ds_read_b128 v[58:61], v17 offset:32
	ds_read_b128 v[62:65], v17 offset:48
	ds_read2_b64 v[66:69], v16 offset0:192 offset1:208
	ds_read_b128 v[70:73], v17 offset:1056
	ds_read_b128 v[74:77], v17 offset:1072
	ds_read2_b64 v[78:81], v16 offset0:224 offset1:240
	s_waitcnt lgkmcnt(0)
	s_barrier
	buffer_gl0_inv
	v_mul_f32_e32 v82, v19, v23
	v_mul_f32_e32 v83, v18, v23
	;; [unrolled: 1-line block ×12, first 2 shown]
	v_fma_f32 v82, v18, v22, -v82
	v_fmac_f32_e32 v83, v19, v22
	v_fma_f32 v18, v18, v24, -v84
	v_fmac_f32_e32 v85, v19, v24
	v_fma_f32 v19, v26, v22, -v86
	v_fmac_f32_e32 v23, v27, v22
	v_fma_f32 v22, v26, v24, -v87
	v_fmac_f32_e32 v25, v27, v24
	v_mul_f32_e32 v24, v29, v31
	v_mul_f32_e32 v26, v28, v31
	;; [unrolled: 1-line block ×4, first 2 shown]
	v_fma_f32 v33, v20, v30, -v88
	v_fmac_f32_e32 v89, v21, v30
	v_fma_f32 v20, v20, v32, -v90
	v_fmac_f32_e32 v91, v21, v32
	v_mul_f32_e32 v21, v35, v39
	v_mul_f32_e32 v84, v34, v39
	v_mul_f32_e32 v86, v35, v41
	v_mul_f32_e32 v87, v34, v41
	v_fma_f32 v24, v28, v30, -v24
	v_fmac_f32_e32 v26, v29, v30
	v_fma_f32 v27, v28, v32, -v27
	v_fmac_f32_e32 v31, v29, v32
	v_mul_f32_e32 v28, v43, v39
	v_mul_f32_e32 v29, v42, v39
	v_mul_f32_e32 v30, v43, v41
	v_mul_f32_e32 v32, v42, v41
	v_add_f32_e32 v12, v12, v82
	v_add_f32_e32 v13, v13, v83
	v_add_f32_e32 v10, v10, v18
	v_add_f32_e32 v11, v11, v85
	v_add_f32_e32 v8, v8, v19
	v_add_f32_e32 v9, v9, v23
	v_add_f32_e32 v7, v7, v22
	v_add_f32_e32 v6, v6, v25
	v_mul_f32_e32 v39, v37, v47
	v_mul_f32_e32 v41, v36, v47
	v_mul_f32_e32 v88, v37, v49
	v_mul_f32_e32 v90, v36, v49
	v_fma_f32 v21, v34, v38, -v21
	v_fmac_f32_e32 v84, v35, v38
	v_fma_f32 v34, v34, v40, -v86
	v_fmac_f32_e32 v87, v35, v40
	v_fma_f32 v28, v42, v38, -v28
	v_fmac_f32_e32 v29, v43, v38
	v_fma_f32 v30, v42, v40, -v30
	v_fmac_f32_e32 v32, v43, v40
	v_mul_f32_e32 v35, v45, v47
	v_mul_f32_e32 v38, v44, v47
	v_mul_f32_e32 v40, v45, v49
	v_mul_f32_e32 v42, v44, v49
	v_add_f32_e32 v12, v12, v33
	v_add_f32_e32 v13, v13, v89
	v_add_f32_e32 v10, v10, v20
	v_add_f32_e32 v11, v11, v91
	v_add_f32_e32 v8, v8, v24
	v_add_f32_e32 v9, v9, v26
	v_add_f32_e32 v7, v7, v27
	v_add_f32_e32 v6, v6, v31
	v_fma_f32 v39, v36, v46, -v39
	v_fmac_f32_e32 v41, v37, v46
	v_fma_f32 v36, v36, v48, -v88
	v_fmac_f32_e32 v90, v37, v48
	v_mul_f32_e32 v37, v59, v51
	v_mul_f32_e32 v43, v58, v51
	v_mul_f32_e32 v47, v59, v53
	v_mul_f32_e32 v49, v58, v53
	v_fma_f32 v35, v44, v46, -v35
	v_fmac_f32_e32 v38, v45, v46
	v_fma_f32 v40, v44, v48, -v40
	v_fmac_f32_e32 v42, v45, v48
	v_mul_f32_e32 v44, v71, v51
	v_mul_f32_e32 v45, v70, v51
	v_mul_f32_e32 v46, v71, v53
	v_mul_f32_e32 v48, v70, v53
	v_add_f32_e32 v12, v12, v21
	v_add_f32_e32 v13, v13, v84
	v_add_f32_e32 v10, v10, v34
	v_add_f32_e32 v11, v11, v87
	v_add_f32_e32 v8, v8, v28
	v_add_f32_e32 v9, v9, v29
	v_add_f32_e32 v7, v7, v30
	v_add_f32_e32 v6, v6, v32
	v_mul_f32_e32 v51, v61, v55
	v_mul_f32_e32 v53, v60, v55
	v_mul_f32_e32 v86, v61, v57
	v_mul_f32_e32 v88, v60, v57
	v_fma_f32 v37, v58, v50, -v37
	v_fmac_f32_e32 v43, v59, v50
	v_fma_f32 v47, v58, v52, -v47
	v_fmac_f32_e32 v49, v59, v52
	v_fma_f32 v44, v70, v50, -v44
	v_fmac_f32_e32 v45, v71, v50
	v_fma_f32 v46, v70, v52, -v46
	v_fmac_f32_e32 v48, v71, v52
	v_mul_f32_e32 v50, v73, v55
	v_mul_f32_e32 v52, v72, v55
	v_mul_f32_e32 v55, v73, v57
	v_mul_f32_e32 v57, v72, v57
	v_add_f32_e32 v12, v12, v39
	v_add_f32_e32 v13, v13, v41
	v_add_f32_e32 v10, v10, v36
	v_add_f32_e32 v11, v11, v90
	v_add_f32_e32 v8, v8, v35
	v_add_f32_e32 v9, v9, v38
	v_add_f32_e32 v7, v7, v40
	v_add_f32_e32 v6, v6, v42
	v_fma_f32 v51, v60, v54, -v51
	v_fmac_f32_e32 v53, v61, v54
	v_fma_f32 v58, v60, v56, -v86
	v_fmac_f32_e32 v88, v61, v56
	v_mul_f32_e32 v59, v63, v67
	v_mul_f32_e32 v60, v62, v67
	v_mul_f32_e32 v61, v63, v69
	v_mul_f32_e32 v70, v62, v69
	v_fma_f32 v50, v72, v54, -v50
	v_fmac_f32_e32 v52, v73, v54
	v_fma_f32 v54, v72, v56, -v55
	v_fmac_f32_e32 v57, v73, v56
	v_mul_f32_e32 v55, v75, v67
	v_mul_f32_e32 v56, v74, v67
	v_mul_f32_e32 v67, v75, v69
	v_mul_f32_e32 v69, v74, v69
	v_add_f32_e32 v12, v12, v37
	v_add_f32_e32 v13, v13, v43
	v_add_f32_e32 v10, v10, v47
	v_add_f32_e32 v11, v11, v49
	v_add_f32_e32 v8, v8, v44
	v_add_f32_e32 v9, v9, v45
	v_add_f32_e32 v7, v7, v46
	v_add_f32_e32 v6, v6, v48
	v_mul_f32_e32 v71, v65, v79
	v_mul_f32_e32 v72, v64, v79
	v_mul_f32_e32 v73, v65, v81
	v_mul_f32_e32 v86, v64, v81
	v_fma_f32 v59, v62, v66, -v59
	v_fmac_f32_e32 v60, v63, v66
	v_fma_f32 v61, v62, v68, -v61
	v_fmac_f32_e32 v70, v63, v68
	v_fma_f32 v55, v74, v66, -v55
	v_fmac_f32_e32 v56, v75, v66
	v_fma_f32 v62, v74, v68, -v67
	v_fmac_f32_e32 v69, v75, v68
	v_mul_f32_e32 v63, v77, v79
	v_mul_f32_e32 v66, v76, v79
	v_mul_f32_e32 v67, v77, v81
	v_mul_f32_e32 v68, v76, v81
	v_add_f32_e32 v12, v12, v51
	v_add_f32_e32 v13, v13, v53
	v_add_f32_e32 v10, v10, v58
	v_add_f32_e32 v11, v11, v88
	v_add_f32_e32 v8, v8, v50
	v_add_f32_e32 v9, v9, v52
	v_add_f32_e32 v7, v7, v54
	v_add_f32_e32 v6, v6, v57
	v_fma_f32 v71, v64, v78, -v71
	v_fmac_f32_e32 v72, v65, v78
	v_fma_f32 v64, v64, v80, -v73
	v_fmac_f32_e32 v86, v65, v80
	;; [unrolled: 2-line block ×4, first 2 shown]
	v_add_f32_e32 v12, v12, v59
	v_add_f32_e32 v13, v13, v60
	;; [unrolled: 1-line block ×16, first 2 shown]
	s_cbranch_vccnz .LBB247_2
.LBB247_3:
	s_lshl_b64 s[0:1], s[30:31], 3
	v_add_co_u32 v0, s6, s6, v0
	s_waitcnt lgkmcnt(0)
	s_add_u32 s0, s8, s0
	s_addc_u32 s1, s9, s1
	v_add_co_u32 v4, s9, s10, v1
	s_or_b32 s8, s2, s3
	v_add_co_ci_u32_e64 v5, null, s11, 0, s9
	v_add_co_ci_u32_e64 v1, null, s7, 0, s6
	s_bitset0_b32 s8, 31
	s_mov_b32 s6, 0
	s_cmp_lg_u32 s8, 0
	s_cbranch_scc1 .LBB247_5
; %bb.4:
	v_mul_lo_u32 v14, v5, s28
	v_mul_lo_u32 v15, v4, s29
	v_mad_u64_u32 v[2:3], null, v4, s28, 0
	v_lshlrev_b64 v[17:18], 3, v[0:1]
	s_lshl_b64 s[8:9], s[28:29], 7
	v_mul_f32_e32 v19, s15, v13
	v_mul_f32_e32 v16, s14, v13
	;; [unrolled: 1-line block ×4, first 2 shown]
	v_add3_u32 v3, v3, v15, v14
	v_mul_f32_e32 v14, s15, v11
	v_fma_f32 v15, v12, s14, -v19
	v_mul_f32_e32 v24, s14, v9
	v_mul_f32_e32 v25, s15, v6
	v_lshlrev_b64 v[2:3], 3, v[2:3]
	v_fma_f32 v19, v10, s14, -v14
	v_mul_f32_e32 v14, s14, v6
	v_fmac_f32_e32 v16, s15, v12
	v_fmac_f32_e32 v20, s15, v10
	v_fma_f32 v23, v8, s14, -v23
	v_add_co_u32 v2, vcc_lo, s0, v2
	v_add_co_ci_u32_e64 v3, null, s1, v3, vcc_lo
	v_fmac_f32_e32 v14, s15, v7
	v_add_co_u32 v21, vcc_lo, v2, v17
	v_add_co_ci_u32_e64 v22, null, v3, v18, vcc_lo
	v_add_co_u32 v2, vcc_lo, v2, s8
	v_add_co_ci_u32_e64 v3, null, s9, v3, vcc_lo
	v_fmac_f32_e32 v24, s15, v8
	v_add_co_u32 v17, vcc_lo, v2, v17
	v_add_co_ci_u32_e64 v18, null, v3, v18, vcc_lo
	v_fma_f32 v25, v7, s14, -v25
	v_add_co_u32 v2, vcc_lo, 0x80, v17
	v_add_co_ci_u32_e64 v3, null, 0, v18, vcc_lo
	flat_store_dwordx2 v[21:22], v[15:16]
	flat_store_dwordx2 v[21:22], v[19:20] offset:128
	flat_store_dwordx2 v[17:18], v[23:24]
	flat_store_dword v[17:18], v25 offset:128
	s_andn2_b32 vcc_lo, exec_lo, s6
	s_cbranch_vccz .LBB247_6
	s_branch .LBB247_7
.LBB247_5:
                                        ; implicit-def: $vgpr14
                                        ; implicit-def: $vgpr2_vgpr3
.LBB247_6:
	v_mul_lo_u32 v14, v5, s38
	v_mul_lo_u32 v15, v4, s39
	v_mad_u64_u32 v[2:3], null, v4, s38, 0
	s_lshl_b64 s[6:7], s[40:41], 3
	v_lshlrev_b64 v[0:1], 3, v[0:1]
	s_add_u32 s4, s4, s6
	s_addc_u32 s5, s5, s7
	v_mul_lo_u32 v18, v5, s28
	v_mul_lo_u32 v19, v4, s29
	v_add3_u32 v3, v3, v15, v14
	v_mad_u64_u32 v[4:5], null, v4, s28, 0
	v_lshlrev_b64 v[2:3], 3, v[2:3]
	v_add3_u32 v5, v5, v19, v18
	v_mul_f32_e32 v18, s15, v13
	v_add_co_u32 v16, vcc_lo, s4, v2
	v_add_co_ci_u32_e64 v17, null, s5, v3, vcc_lo
	v_mul_f32_e32 v13, s14, v13
	v_add_co_u32 v2, vcc_lo, v16, v0
	v_add_co_ci_u32_e64 v3, null, v17, v1, vcc_lo
	v_lshlrev_b64 v[4:5], 3, v[4:5]
	v_fma_f32 v18, v12, s14, -v18
	v_fmac_f32_e32 v13, s15, v12
	flat_load_dwordx2 v[14:15], v[2:3]
	v_add_co_u32 v19, vcc_lo, s0, v4
	v_add_co_ci_u32_e64 v20, null, s1, v5, vcc_lo
	s_lshl_b64 s[0:1], s[38:39], 7
	v_add_co_u32 v4, vcc_lo, v19, v0
	v_add_co_ci_u32_e64 v5, null, v20, v1, vcc_lo
	s_waitcnt vmcnt(0) lgkmcnt(0)
	v_mul_f32_e32 v12, s3, v15
	v_mul_f32_e32 v15, s2, v15
	v_fma_f32 v12, v14, s2, -v12
	v_fmac_f32_e32 v15, s3, v14
	v_add_f32_e32 v12, v18, v12
	v_add_f32_e32 v13, v13, v15
	flat_store_dwordx2 v[4:5], v[12:13]
	flat_load_dwordx2 v[2:3], v[2:3] offset:128
	v_mul_f32_e32 v12, s15, v11
	v_mul_f32_e32 v11, s14, v11
	v_fma_f32 v12, v10, s14, -v12
	v_fmac_f32_e32 v11, s15, v10
	s_waitcnt vmcnt(0) lgkmcnt(0)
	v_mul_f32_e32 v13, s3, v3
	v_mul_f32_e32 v3, s2, v3
	v_fma_f32 v10, v2, s2, -v13
	v_add_co_u32 v13, vcc_lo, v16, s0
	v_fmac_f32_e32 v3, s3, v2
	v_add_co_ci_u32_e64 v14, null, s1, v17, vcc_lo
	v_add_f32_e32 v2, v12, v10
	v_add_co_u32 v10, vcc_lo, v13, v0
	v_add_f32_e32 v3, v11, v3
	v_add_co_ci_u32_e64 v11, null, v14, v1, vcc_lo
	s_lshl_b64 s[0:1], s[28:29], 7
	flat_store_dwordx2 v[4:5], v[2:3] offset:128
	flat_load_dwordx2 v[2:3], v[10:11]
	v_mul_f32_e32 v4, s15, v9
	v_mul_f32_e32 v5, s14, v9
	v_add_co_u32 v9, vcc_lo, v19, s0
	v_add_co_ci_u32_e64 v12, null, s1, v20, vcc_lo
	v_fma_f32 v4, v8, s14, -v4
	v_fmac_f32_e32 v5, s15, v8
	v_add_co_u32 v0, vcc_lo, v9, v0
	v_add_co_ci_u32_e64 v1, null, v12, v1, vcc_lo
	s_waitcnt vmcnt(0) lgkmcnt(0)
	v_mul_f32_e32 v8, s3, v3
	v_mul_f32_e32 v3, s2, v3
	v_fma_f32 v8, v2, s2, -v8
	v_fmac_f32_e32 v3, s3, v2
	v_add_f32_e32 v2, v4, v8
	v_add_f32_e32 v3, v5, v3
	v_mul_f32_e32 v4, s15, v6
	v_mul_f32_e32 v5, s14, v6
	flat_store_dwordx2 v[0:1], v[2:3]
	flat_load_dwordx2 v[2:3], v[10:11] offset:128
	v_fma_f32 v4, v7, s14, -v4
	v_fmac_f32_e32 v5, s15, v7
	s_waitcnt vmcnt(0) lgkmcnt(0)
	v_mul_f32_e32 v6, s3, v3
	v_mul_f32_e32 v3, s2, v3
	v_fma_f32 v6, v2, s2, -v6
	v_fmac_f32_e32 v3, s3, v2
	v_add_co_u32 v2, vcc_lo, 0x80, v0
	v_add_f32_e32 v4, v4, v6
	v_add_f32_e32 v14, v5, v3
	v_add_co_ci_u32_e64 v3, null, 0, v1, vcc_lo
	flat_store_dword v[0:1], v4 offset:128
.LBB247_7:
	flat_store_dword v[2:3], v14 offset:4
	s_endpgm
	.section	.rodata,"a",@progbits
	.p2align	6, 0x0
	.amdhsa_kernel _ZN12_GLOBAL__N_127rocblas_gemm_batched_kernelI19rocblas_complex_numIfELi16ELi16ELi32ELi32ELi8ELi32ELi8ELi8ELi32ELc67ELc67EKPKS2_S5_KPS2_EEvlllT_PT11_llSA_llS8_PT12_llPT13_lli
		.amdhsa_group_segment_fixed_size 4096
		.amdhsa_private_segment_fixed_size 0
		.amdhsa_kernarg_size 140
		.amdhsa_user_sgpr_count 6
		.amdhsa_user_sgpr_private_segment_buffer 1
		.amdhsa_user_sgpr_dispatch_ptr 0
		.amdhsa_user_sgpr_queue_ptr 0
		.amdhsa_user_sgpr_kernarg_segment_ptr 1
		.amdhsa_user_sgpr_dispatch_id 0
		.amdhsa_user_sgpr_flat_scratch_init 0
		.amdhsa_user_sgpr_private_segment_size 0
		.amdhsa_wavefront_size32 1
		.amdhsa_uses_dynamic_stack 0
		.amdhsa_system_sgpr_private_segment_wavefront_offset 0
		.amdhsa_system_sgpr_workgroup_id_x 1
		.amdhsa_system_sgpr_workgroup_id_y 1
		.amdhsa_system_sgpr_workgroup_id_z 1
		.amdhsa_system_sgpr_workgroup_info 0
		.amdhsa_system_vgpr_workitem_id 1
		.amdhsa_next_free_vgpr 92
		.amdhsa_next_free_sgpr 44
		.amdhsa_reserve_vcc 1
		.amdhsa_reserve_flat_scratch 0
		.amdhsa_float_round_mode_32 0
		.amdhsa_float_round_mode_16_64 0
		.amdhsa_float_denorm_mode_32 3
		.amdhsa_float_denorm_mode_16_64 3
		.amdhsa_dx10_clamp 1
		.amdhsa_ieee_mode 1
		.amdhsa_fp16_overflow 0
		.amdhsa_workgroup_processor_mode 1
		.amdhsa_memory_ordered 1
		.amdhsa_forward_progress 1
		.amdhsa_shared_vgpr_count 0
		.amdhsa_exception_fp_ieee_invalid_op 0
		.amdhsa_exception_fp_denorm_src 0
		.amdhsa_exception_fp_ieee_div_zero 0
		.amdhsa_exception_fp_ieee_overflow 0
		.amdhsa_exception_fp_ieee_underflow 0
		.amdhsa_exception_fp_ieee_inexact 0
		.amdhsa_exception_int_div_zero 0
	.end_amdhsa_kernel
	.section	.text._ZN12_GLOBAL__N_127rocblas_gemm_batched_kernelI19rocblas_complex_numIfELi16ELi16ELi32ELi32ELi8ELi32ELi8ELi8ELi32ELc67ELc67EKPKS2_S5_KPS2_EEvlllT_PT11_llSA_llS8_PT12_llPT13_lli,"axG",@progbits,_ZN12_GLOBAL__N_127rocblas_gemm_batched_kernelI19rocblas_complex_numIfELi16ELi16ELi32ELi32ELi8ELi32ELi8ELi8ELi32ELc67ELc67EKPKS2_S5_KPS2_EEvlllT_PT11_llSA_llS8_PT12_llPT13_lli,comdat
.Lfunc_end247:
	.size	_ZN12_GLOBAL__N_127rocblas_gemm_batched_kernelI19rocblas_complex_numIfELi16ELi16ELi32ELi32ELi8ELi32ELi8ELi8ELi32ELc67ELc67EKPKS2_S5_KPS2_EEvlllT_PT11_llSA_llS8_PT12_llPT13_lli, .Lfunc_end247-_ZN12_GLOBAL__N_127rocblas_gemm_batched_kernelI19rocblas_complex_numIfELi16ELi16ELi32ELi32ELi8ELi32ELi8ELi8ELi32ELc67ELc67EKPKS2_S5_KPS2_EEvlllT_PT11_llSA_llS8_PT12_llPT13_lli
                                        ; -- End function
	.set _ZN12_GLOBAL__N_127rocblas_gemm_batched_kernelI19rocblas_complex_numIfELi16ELi16ELi32ELi32ELi8ELi32ELi8ELi8ELi32ELc67ELc67EKPKS2_S5_KPS2_EEvlllT_PT11_llSA_llS8_PT12_llPT13_lli.num_vgpr, 92
	.set _ZN12_GLOBAL__N_127rocblas_gemm_batched_kernelI19rocblas_complex_numIfELi16ELi16ELi32ELi32ELi8ELi32ELi8ELi8ELi32ELc67ELc67EKPKS2_S5_KPS2_EEvlllT_PT11_llSA_llS8_PT12_llPT13_lli.num_agpr, 0
	.set _ZN12_GLOBAL__N_127rocblas_gemm_batched_kernelI19rocblas_complex_numIfELi16ELi16ELi32ELi32ELi8ELi32ELi8ELi8ELi32ELc67ELc67EKPKS2_S5_KPS2_EEvlllT_PT11_llSA_llS8_PT12_llPT13_lli.numbered_sgpr, 44
	.set _ZN12_GLOBAL__N_127rocblas_gemm_batched_kernelI19rocblas_complex_numIfELi16ELi16ELi32ELi32ELi8ELi32ELi8ELi8ELi32ELc67ELc67EKPKS2_S5_KPS2_EEvlllT_PT11_llSA_llS8_PT12_llPT13_lli.num_named_barrier, 0
	.set _ZN12_GLOBAL__N_127rocblas_gemm_batched_kernelI19rocblas_complex_numIfELi16ELi16ELi32ELi32ELi8ELi32ELi8ELi8ELi32ELc67ELc67EKPKS2_S5_KPS2_EEvlllT_PT11_llSA_llS8_PT12_llPT13_lli.private_seg_size, 0
	.set _ZN12_GLOBAL__N_127rocblas_gemm_batched_kernelI19rocblas_complex_numIfELi16ELi16ELi32ELi32ELi8ELi32ELi8ELi8ELi32ELc67ELc67EKPKS2_S5_KPS2_EEvlllT_PT11_llSA_llS8_PT12_llPT13_lli.uses_vcc, 1
	.set _ZN12_GLOBAL__N_127rocblas_gemm_batched_kernelI19rocblas_complex_numIfELi16ELi16ELi32ELi32ELi8ELi32ELi8ELi8ELi32ELc67ELc67EKPKS2_S5_KPS2_EEvlllT_PT11_llSA_llS8_PT12_llPT13_lli.uses_flat_scratch, 0
	.set _ZN12_GLOBAL__N_127rocblas_gemm_batched_kernelI19rocblas_complex_numIfELi16ELi16ELi32ELi32ELi8ELi32ELi8ELi8ELi32ELc67ELc67EKPKS2_S5_KPS2_EEvlllT_PT11_llSA_llS8_PT12_llPT13_lli.has_dyn_sized_stack, 0
	.set _ZN12_GLOBAL__N_127rocblas_gemm_batched_kernelI19rocblas_complex_numIfELi16ELi16ELi32ELi32ELi8ELi32ELi8ELi8ELi32ELc67ELc67EKPKS2_S5_KPS2_EEvlllT_PT11_llSA_llS8_PT12_llPT13_lli.has_recursion, 0
	.set _ZN12_GLOBAL__N_127rocblas_gemm_batched_kernelI19rocblas_complex_numIfELi16ELi16ELi32ELi32ELi8ELi32ELi8ELi8ELi32ELc67ELc67EKPKS2_S5_KPS2_EEvlllT_PT11_llSA_llS8_PT12_llPT13_lli.has_indirect_call, 0
	.section	.AMDGPU.csdata,"",@progbits
; Kernel info:
; codeLenInByte = 2520
; TotalNumSgprs: 46
; NumVgprs: 92
; ScratchSize: 0
; MemoryBound: 0
; FloatMode: 240
; IeeeMode: 1
; LDSByteSize: 4096 bytes/workgroup (compile time only)
; SGPRBlocks: 0
; VGPRBlocks: 11
; NumSGPRsForWavesPerEU: 46
; NumVGPRsForWavesPerEU: 92
; Occupancy: 10
; WaveLimiterHint : 1
; COMPUTE_PGM_RSRC2:SCRATCH_EN: 0
; COMPUTE_PGM_RSRC2:USER_SGPR: 6
; COMPUTE_PGM_RSRC2:TRAP_HANDLER: 0
; COMPUTE_PGM_RSRC2:TGID_X_EN: 1
; COMPUTE_PGM_RSRC2:TGID_Y_EN: 1
; COMPUTE_PGM_RSRC2:TGID_Z_EN: 1
; COMPUTE_PGM_RSRC2:TIDIG_COMP_CNT: 1
	.section	.text._ZN12_GLOBAL__N_127rocblas_gemm_batched_kernelI19rocblas_complex_numIfELi16ELi16ELi32ELi32ELi8ELi32ELi8ELi8ELi32ELc67ELc78EKPKS2_S5_KPS2_EEvlllT_PT11_llSA_llS8_PT12_llPT13_lli,"axG",@progbits,_ZN12_GLOBAL__N_127rocblas_gemm_batched_kernelI19rocblas_complex_numIfELi16ELi16ELi32ELi32ELi8ELi32ELi8ELi8ELi32ELc67ELc78EKPKS2_S5_KPS2_EEvlllT_PT11_llSA_llS8_PT12_llPT13_lli,comdat
	.globl	_ZN12_GLOBAL__N_127rocblas_gemm_batched_kernelI19rocblas_complex_numIfELi16ELi16ELi32ELi32ELi8ELi32ELi8ELi8ELi32ELc67ELc78EKPKS2_S5_KPS2_EEvlllT_PT11_llSA_llS8_PT12_llPT13_lli ; -- Begin function _ZN12_GLOBAL__N_127rocblas_gemm_batched_kernelI19rocblas_complex_numIfELi16ELi16ELi32ELi32ELi8ELi32ELi8ELi8ELi32ELc67ELc78EKPKS2_S5_KPS2_EEvlllT_PT11_llSA_llS8_PT12_llPT13_lli
	.p2align	8
	.type	_ZN12_GLOBAL__N_127rocblas_gemm_batched_kernelI19rocblas_complex_numIfELi16ELi16ELi32ELi32ELi8ELi32ELi8ELi8ELi32ELc67ELc78EKPKS2_S5_KPS2_EEvlllT_PT11_llSA_llS8_PT12_llPT13_lli,@function
_ZN12_GLOBAL__N_127rocblas_gemm_batched_kernelI19rocblas_complex_numIfELi16ELi16ELi32ELi32ELi8ELi32ELi8ELi8ELi32ELc67ELc78EKPKS2_S5_KPS2_EEvlllT_PT11_llSA_llS8_PT12_llPT13_lli: ; @_ZN12_GLOBAL__N_127rocblas_gemm_batched_kernelI19rocblas_complex_numIfELi16ELi16ELi32ELi32ELi8ELi32ELi8ELi8ELi32ELc67ELc78EKPKS2_S5_KPS2_EEvlllT_PT11_llSA_llS8_PT12_llPT13_lli
; %bb.0:
	s_clause 0x1
	s_load_dwordx8 s[36:43], s[4:5], 0x58
	s_load_dwordx16 s[12:27], s[4:5], 0x10
	s_mov_b32 s9, 0
	s_clause 0x1
	s_load_dwordx4 s[28:31], s[4:5], 0x78
	s_load_dwordx2 s[2:3], s[4:5], 0x50
	s_lshl_b64 s[0:1], s[8:9], 3
	s_mov_b32 s10, s7
	v_mov_b32_e32 v12, 0
	v_mov_b32_e32 v13, 0
	;; [unrolled: 1-line block ×8, first 2 shown]
	s_waitcnt lgkmcnt(0)
	s_add_u32 s4, s36, s0
	s_addc_u32 s5, s37, s1
	s_add_u32 s8, s42, s0
	s_addc_u32 s9, s43, s1
	s_load_dwordx2 s[4:5], s[4:5], 0x0
	s_load_dwordx2 s[8:9], s[8:9], 0x0
	v_cmp_lt_i64_e64 s33, s[12:13], 1
	s_ashr_i32 s7, s6, 31
	s_ashr_i32 s11, s10, 31
	s_lshl_b64 s[6:7], s[6:7], 5
	s_lshl_b64 s[10:11], s[10:11], 5
	s_and_b32 vcc_lo, exec_lo, s33
	s_cbranch_vccnz .LBB248_3
; %bb.1:
	v_lshl_add_u32 v2, v1, 4, v0
	s_add_u32 s16, s16, s0
	s_addc_u32 s17, s17, s1
	s_add_u32 s0, s22, s0
	v_and_b32_e32 v3, 7, v0
	v_and_b32_e32 v6, 31, v2
	v_lshrrev_b32_e32 v7, 3, v2
	v_lshrrev_b32_e32 v10, 5, v2
	s_load_dwordx2 s[16:17], s[16:17], 0x0
	v_lshlrev_b32_e32 v11, 3, v3
	v_add_co_u32 v4, s22, s6, v6
	v_add_co_ci_u32_e64 v5, null, s7, 0, s22
	v_add_co_u32 v8, s22, v7, s10
	v_add_co_ci_u32_e64 v9, null, 0, s11, s22
	v_mul_lo_u32 v12, s19, v4
	v_mul_lo_u32 v13, s18, v5
	v_mad_u64_u32 v[2:3], null, s18, v4, 0
	v_mul_lo_u32 v16, s25, v8
	v_mul_lo_u32 v9, s24, v9
	v_mad_u64_u32 v[4:5], null, s24, v8, 0
	s_addc_u32 s1, s23, s1
	v_lshl_or_b32 v7, v7, 6, v11
	v_add3_u32 v3, v3, v13, v12
	s_load_dwordx2 s[0:1], s[0:1], 0x0
	s_lshl_b64 s[18:19], s[20:21], 3
	v_lshlrev_b32_e32 v8, 3, v6
	v_add3_u32 v5, v5, v9, v16
	v_lshlrev_b64 v[2:3], 3, v[2:3]
	v_add_nc_u32_e32 v15, 0x800, v7
	v_lshlrev_b32_e32 v7, 3, v10
	v_mov_b32_e32 v6, 0
	v_lshlrev_b64 v[4:5], 3, v[4:5]
	v_lshl_or_b32 v14, v10, 8, v8
	v_add_co_u32 v2, vcc_lo, v2, s18
	v_add_co_ci_u32_e64 v3, null, s19, v3, vcc_lo
	s_lshl_b64 s[18:19], s[26:27], 3
	v_lshlrev_b32_e32 v16, 3, v0
	v_add_co_u32 v4, vcc_lo, v4, s18
	v_add_co_ci_u32_e64 v5, null, s19, v5, vcc_lo
	v_add_co_u32 v2, vcc_lo, v2, v7
	v_add_co_ci_u32_e64 v3, null, 0, v3, vcc_lo
	;; [unrolled: 2-line block ×3, first 2 shown]
	s_waitcnt lgkmcnt(0)
	v_add_co_u32 v2, vcc_lo, s16, v2
	v_add_co_ci_u32_e64 v3, null, s17, v3, vcc_lo
	v_add_co_u32 v4, vcc_lo, s0, v4
	v_lshl_add_u32 v17, v1, 6, 0x800
	v_add_co_ci_u32_e64 v5, null, s1, v5, vcc_lo
	v_mov_b32_e32 v7, 0
	v_mov_b32_e32 v9, 0
	;; [unrolled: 1-line block ×7, first 2 shown]
	s_mov_b64 s[16:17], 0
.LBB248_2:                              ; =>This Inner Loop Header: Depth=1
	flat_load_dwordx2 v[18:19], v[2:3]
	s_add_u32 s16, s16, 8
	s_addc_u32 s17, s17, 0
	v_add_co_u32 v2, vcc_lo, v2, 64
	v_cmp_lt_i64_e64 s0, s[16:17], s[12:13]
	v_add_co_ci_u32_e64 v3, null, 0, v3, vcc_lo
	s_and_b32 vcc_lo, exec_lo, s0
	s_waitcnt vmcnt(0) lgkmcnt(0)
	v_xor_b32_e32 v19, 0x80000000, v19
	ds_write_b64 v14, v[18:19]
	flat_load_dwordx2 v[18:19], v[4:5]
	v_add_co_u32 v4, s0, v4, 64
	v_add_co_ci_u32_e64 v5, null, 0, v5, s0
	s_waitcnt vmcnt(0) lgkmcnt(0)
	ds_write_b64 v15, v[18:19]
	s_waitcnt lgkmcnt(0)
	s_barrier
	buffer_gl0_inv
	ds_read_b128 v[18:21], v17
	ds_read2_b64 v[22:25], v16 offset1:16
	ds_read_b128 v[26:29], v17 offset:1024
	ds_read2_b64 v[30:33], v16 offset0:32 offset1:48
	ds_read_b128 v[34:37], v17 offset:16
	ds_read2_b64 v[38:41], v16 offset0:64 offset1:80
	;; [unrolled: 2-line block ×3, first 2 shown]
	ds_read2_b64 v[50:53], v16 offset0:128 offset1:144
	ds_read2_b64 v[54:57], v16 offset0:160 offset1:176
	ds_read_b128 v[58:61], v17 offset:32
	ds_read_b128 v[62:65], v17 offset:48
	ds_read2_b64 v[66:69], v16 offset0:192 offset1:208
	ds_read_b128 v[70:73], v17 offset:1056
	ds_read_b128 v[74:77], v17 offset:1072
	ds_read2_b64 v[78:81], v16 offset0:224 offset1:240
	s_waitcnt lgkmcnt(0)
	s_barrier
	buffer_gl0_inv
	v_mul_f32_e32 v82, v19, v23
	v_mul_f32_e32 v83, v18, v23
	;; [unrolled: 1-line block ×12, first 2 shown]
	v_fma_f32 v82, v18, v22, -v82
	v_fmac_f32_e32 v83, v19, v22
	v_fma_f32 v18, v18, v24, -v84
	v_fmac_f32_e32 v85, v19, v24
	;; [unrolled: 2-line block ×4, first 2 shown]
	v_mul_f32_e32 v24, v29, v31
	v_mul_f32_e32 v26, v28, v31
	;; [unrolled: 1-line block ×4, first 2 shown]
	v_fma_f32 v33, v20, v30, -v88
	v_fmac_f32_e32 v89, v21, v30
	v_fma_f32 v20, v20, v32, -v90
	v_fmac_f32_e32 v91, v21, v32
	v_mul_f32_e32 v21, v35, v39
	v_mul_f32_e32 v84, v34, v39
	v_mul_f32_e32 v86, v35, v41
	v_mul_f32_e32 v87, v34, v41
	v_fma_f32 v24, v28, v30, -v24
	v_fmac_f32_e32 v26, v29, v30
	v_fma_f32 v27, v28, v32, -v27
	v_fmac_f32_e32 v31, v29, v32
	v_mul_f32_e32 v28, v43, v39
	v_mul_f32_e32 v29, v42, v39
	v_mul_f32_e32 v30, v43, v41
	v_mul_f32_e32 v32, v42, v41
	v_add_f32_e32 v12, v12, v82
	v_add_f32_e32 v13, v13, v83
	v_add_f32_e32 v10, v10, v18
	v_add_f32_e32 v11, v11, v85
	v_add_f32_e32 v8, v8, v19
	v_add_f32_e32 v9, v9, v23
	v_add_f32_e32 v7, v7, v22
	v_add_f32_e32 v6, v6, v25
	v_mul_f32_e32 v39, v37, v47
	v_mul_f32_e32 v41, v36, v47
	v_mul_f32_e32 v88, v37, v49
	v_mul_f32_e32 v90, v36, v49
	v_fma_f32 v21, v34, v38, -v21
	v_fmac_f32_e32 v84, v35, v38
	v_fma_f32 v34, v34, v40, -v86
	v_fmac_f32_e32 v87, v35, v40
	v_fma_f32 v28, v42, v38, -v28
	v_fmac_f32_e32 v29, v43, v38
	v_fma_f32 v30, v42, v40, -v30
	v_fmac_f32_e32 v32, v43, v40
	v_mul_f32_e32 v35, v45, v47
	v_mul_f32_e32 v38, v44, v47
	v_mul_f32_e32 v40, v45, v49
	v_mul_f32_e32 v42, v44, v49
	v_add_f32_e32 v12, v12, v33
	v_add_f32_e32 v13, v13, v89
	v_add_f32_e32 v10, v10, v20
	v_add_f32_e32 v11, v11, v91
	v_add_f32_e32 v8, v8, v24
	v_add_f32_e32 v9, v9, v26
	v_add_f32_e32 v7, v7, v27
	v_add_f32_e32 v6, v6, v31
	v_fma_f32 v39, v36, v46, -v39
	v_fmac_f32_e32 v41, v37, v46
	v_fma_f32 v36, v36, v48, -v88
	v_fmac_f32_e32 v90, v37, v48
	v_mul_f32_e32 v37, v59, v51
	v_mul_f32_e32 v43, v58, v51
	v_mul_f32_e32 v47, v59, v53
	v_mul_f32_e32 v49, v58, v53
	v_fma_f32 v35, v44, v46, -v35
	v_fmac_f32_e32 v38, v45, v46
	v_fma_f32 v40, v44, v48, -v40
	v_fmac_f32_e32 v42, v45, v48
	v_mul_f32_e32 v44, v71, v51
	v_mul_f32_e32 v45, v70, v51
	v_mul_f32_e32 v46, v71, v53
	v_mul_f32_e32 v48, v70, v53
	v_add_f32_e32 v12, v12, v21
	v_add_f32_e32 v13, v13, v84
	v_add_f32_e32 v10, v10, v34
	v_add_f32_e32 v11, v11, v87
	v_add_f32_e32 v8, v8, v28
	v_add_f32_e32 v9, v9, v29
	v_add_f32_e32 v7, v7, v30
	v_add_f32_e32 v6, v6, v32
	v_mul_f32_e32 v51, v61, v55
	v_mul_f32_e32 v53, v60, v55
	v_mul_f32_e32 v86, v61, v57
	v_mul_f32_e32 v88, v60, v57
	v_fma_f32 v37, v58, v50, -v37
	v_fmac_f32_e32 v43, v59, v50
	v_fma_f32 v47, v58, v52, -v47
	v_fmac_f32_e32 v49, v59, v52
	v_fma_f32 v44, v70, v50, -v44
	v_fmac_f32_e32 v45, v71, v50
	v_fma_f32 v46, v70, v52, -v46
	v_fmac_f32_e32 v48, v71, v52
	v_mul_f32_e32 v50, v73, v55
	v_mul_f32_e32 v52, v72, v55
	v_mul_f32_e32 v55, v73, v57
	v_mul_f32_e32 v57, v72, v57
	v_add_f32_e32 v12, v12, v39
	v_add_f32_e32 v13, v13, v41
	v_add_f32_e32 v10, v10, v36
	v_add_f32_e32 v11, v11, v90
	v_add_f32_e32 v8, v8, v35
	v_add_f32_e32 v9, v9, v38
	v_add_f32_e32 v7, v7, v40
	v_add_f32_e32 v6, v6, v42
	;; [unrolled: 48-line block ×3, first 2 shown]
	v_fma_f32 v71, v64, v78, -v71
	v_fmac_f32_e32 v72, v65, v78
	v_fma_f32 v64, v64, v80, -v73
	v_fmac_f32_e32 v86, v65, v80
	;; [unrolled: 2-line block ×4, first 2 shown]
	v_add_f32_e32 v12, v12, v59
	v_add_f32_e32 v13, v13, v60
	;; [unrolled: 1-line block ×16, first 2 shown]
	s_cbranch_vccnz .LBB248_2
.LBB248_3:
	s_lshl_b64 s[0:1], s[30:31], 3
	v_add_co_u32 v0, s6, s6, v0
	s_waitcnt lgkmcnt(0)
	s_add_u32 s0, s8, s0
	s_addc_u32 s1, s9, s1
	v_add_co_u32 v4, s9, s10, v1
	s_or_b32 s8, s2, s3
	v_add_co_ci_u32_e64 v5, null, s11, 0, s9
	v_add_co_ci_u32_e64 v1, null, s7, 0, s6
	s_bitset0_b32 s8, 31
	s_mov_b32 s6, 0
	s_cmp_lg_u32 s8, 0
	s_cbranch_scc1 .LBB248_5
; %bb.4:
	v_mul_lo_u32 v14, v5, s28
	v_mul_lo_u32 v15, v4, s29
	v_mad_u64_u32 v[2:3], null, v4, s28, 0
	v_lshlrev_b64 v[17:18], 3, v[0:1]
	s_lshl_b64 s[8:9], s[28:29], 7
	v_mul_f32_e32 v19, s15, v13
	v_mul_f32_e32 v16, s14, v13
	;; [unrolled: 1-line block ×4, first 2 shown]
	v_add3_u32 v3, v3, v15, v14
	v_mul_f32_e32 v14, s15, v11
	v_fma_f32 v15, v12, s14, -v19
	v_mul_f32_e32 v24, s14, v9
	v_mul_f32_e32 v25, s15, v6
	v_lshlrev_b64 v[2:3], 3, v[2:3]
	v_fma_f32 v19, v10, s14, -v14
	v_mul_f32_e32 v14, s14, v6
	v_fmac_f32_e32 v16, s15, v12
	v_fmac_f32_e32 v20, s15, v10
	v_fma_f32 v23, v8, s14, -v23
	v_add_co_u32 v2, vcc_lo, s0, v2
	v_add_co_ci_u32_e64 v3, null, s1, v3, vcc_lo
	v_fmac_f32_e32 v14, s15, v7
	v_add_co_u32 v21, vcc_lo, v2, v17
	v_add_co_ci_u32_e64 v22, null, v3, v18, vcc_lo
	v_add_co_u32 v2, vcc_lo, v2, s8
	v_add_co_ci_u32_e64 v3, null, s9, v3, vcc_lo
	v_fmac_f32_e32 v24, s15, v8
	v_add_co_u32 v17, vcc_lo, v2, v17
	v_add_co_ci_u32_e64 v18, null, v3, v18, vcc_lo
	v_fma_f32 v25, v7, s14, -v25
	v_add_co_u32 v2, vcc_lo, 0x80, v17
	v_add_co_ci_u32_e64 v3, null, 0, v18, vcc_lo
	flat_store_dwordx2 v[21:22], v[15:16]
	flat_store_dwordx2 v[21:22], v[19:20] offset:128
	flat_store_dwordx2 v[17:18], v[23:24]
	flat_store_dword v[17:18], v25 offset:128
	s_andn2_b32 vcc_lo, exec_lo, s6
	s_cbranch_vccz .LBB248_6
	s_branch .LBB248_7
.LBB248_5:
                                        ; implicit-def: $vgpr14
                                        ; implicit-def: $vgpr2_vgpr3
.LBB248_6:
	v_mul_lo_u32 v14, v5, s38
	v_mul_lo_u32 v15, v4, s39
	v_mad_u64_u32 v[2:3], null, v4, s38, 0
	s_lshl_b64 s[6:7], s[40:41], 3
	v_lshlrev_b64 v[0:1], 3, v[0:1]
	s_add_u32 s4, s4, s6
	s_addc_u32 s5, s5, s7
	v_mul_lo_u32 v18, v5, s28
	v_mul_lo_u32 v19, v4, s29
	v_add3_u32 v3, v3, v15, v14
	v_mad_u64_u32 v[4:5], null, v4, s28, 0
	v_lshlrev_b64 v[2:3], 3, v[2:3]
	v_add3_u32 v5, v5, v19, v18
	v_mul_f32_e32 v18, s15, v13
	v_add_co_u32 v16, vcc_lo, s4, v2
	v_add_co_ci_u32_e64 v17, null, s5, v3, vcc_lo
	v_mul_f32_e32 v13, s14, v13
	v_add_co_u32 v2, vcc_lo, v16, v0
	v_add_co_ci_u32_e64 v3, null, v17, v1, vcc_lo
	v_lshlrev_b64 v[4:5], 3, v[4:5]
	v_fma_f32 v18, v12, s14, -v18
	v_fmac_f32_e32 v13, s15, v12
	flat_load_dwordx2 v[14:15], v[2:3]
	v_add_co_u32 v19, vcc_lo, s0, v4
	v_add_co_ci_u32_e64 v20, null, s1, v5, vcc_lo
	s_lshl_b64 s[0:1], s[38:39], 7
	v_add_co_u32 v4, vcc_lo, v19, v0
	v_add_co_ci_u32_e64 v5, null, v20, v1, vcc_lo
	s_waitcnt vmcnt(0) lgkmcnt(0)
	v_mul_f32_e32 v12, s3, v15
	v_mul_f32_e32 v15, s2, v15
	v_fma_f32 v12, v14, s2, -v12
	v_fmac_f32_e32 v15, s3, v14
	v_add_f32_e32 v12, v18, v12
	v_add_f32_e32 v13, v13, v15
	flat_store_dwordx2 v[4:5], v[12:13]
	flat_load_dwordx2 v[2:3], v[2:3] offset:128
	v_mul_f32_e32 v12, s15, v11
	v_mul_f32_e32 v11, s14, v11
	v_fma_f32 v12, v10, s14, -v12
	v_fmac_f32_e32 v11, s15, v10
	s_waitcnt vmcnt(0) lgkmcnt(0)
	v_mul_f32_e32 v13, s3, v3
	v_mul_f32_e32 v3, s2, v3
	v_fma_f32 v10, v2, s2, -v13
	v_add_co_u32 v13, vcc_lo, v16, s0
	v_fmac_f32_e32 v3, s3, v2
	v_add_co_ci_u32_e64 v14, null, s1, v17, vcc_lo
	v_add_f32_e32 v2, v12, v10
	v_add_co_u32 v10, vcc_lo, v13, v0
	v_add_f32_e32 v3, v11, v3
	v_add_co_ci_u32_e64 v11, null, v14, v1, vcc_lo
	s_lshl_b64 s[0:1], s[28:29], 7
	flat_store_dwordx2 v[4:5], v[2:3] offset:128
	flat_load_dwordx2 v[2:3], v[10:11]
	v_mul_f32_e32 v4, s15, v9
	v_mul_f32_e32 v5, s14, v9
	v_add_co_u32 v9, vcc_lo, v19, s0
	v_add_co_ci_u32_e64 v12, null, s1, v20, vcc_lo
	v_fma_f32 v4, v8, s14, -v4
	v_fmac_f32_e32 v5, s15, v8
	v_add_co_u32 v0, vcc_lo, v9, v0
	v_add_co_ci_u32_e64 v1, null, v12, v1, vcc_lo
	s_waitcnt vmcnt(0) lgkmcnt(0)
	v_mul_f32_e32 v8, s3, v3
	v_mul_f32_e32 v3, s2, v3
	v_fma_f32 v8, v2, s2, -v8
	v_fmac_f32_e32 v3, s3, v2
	v_add_f32_e32 v2, v4, v8
	v_add_f32_e32 v3, v5, v3
	v_mul_f32_e32 v4, s15, v6
	v_mul_f32_e32 v5, s14, v6
	flat_store_dwordx2 v[0:1], v[2:3]
	flat_load_dwordx2 v[2:3], v[10:11] offset:128
	v_fma_f32 v4, v7, s14, -v4
	v_fmac_f32_e32 v5, s15, v7
	s_waitcnt vmcnt(0) lgkmcnt(0)
	v_mul_f32_e32 v6, s3, v3
	v_mul_f32_e32 v3, s2, v3
	v_fma_f32 v6, v2, s2, -v6
	v_fmac_f32_e32 v3, s3, v2
	v_add_co_u32 v2, vcc_lo, 0x80, v0
	v_add_f32_e32 v4, v4, v6
	v_add_f32_e32 v14, v5, v3
	v_add_co_ci_u32_e64 v3, null, 0, v1, vcc_lo
	flat_store_dword v[0:1], v4 offset:128
.LBB248_7:
	flat_store_dword v[2:3], v14 offset:4
	s_endpgm
	.section	.rodata,"a",@progbits
	.p2align	6, 0x0
	.amdhsa_kernel _ZN12_GLOBAL__N_127rocblas_gemm_batched_kernelI19rocblas_complex_numIfELi16ELi16ELi32ELi32ELi8ELi32ELi8ELi8ELi32ELc67ELc78EKPKS2_S5_KPS2_EEvlllT_PT11_llSA_llS8_PT12_llPT13_lli
		.amdhsa_group_segment_fixed_size 4096
		.amdhsa_private_segment_fixed_size 0
		.amdhsa_kernarg_size 140
		.amdhsa_user_sgpr_count 6
		.amdhsa_user_sgpr_private_segment_buffer 1
		.amdhsa_user_sgpr_dispatch_ptr 0
		.amdhsa_user_sgpr_queue_ptr 0
		.amdhsa_user_sgpr_kernarg_segment_ptr 1
		.amdhsa_user_sgpr_dispatch_id 0
		.amdhsa_user_sgpr_flat_scratch_init 0
		.amdhsa_user_sgpr_private_segment_size 0
		.amdhsa_wavefront_size32 1
		.amdhsa_uses_dynamic_stack 0
		.amdhsa_system_sgpr_private_segment_wavefront_offset 0
		.amdhsa_system_sgpr_workgroup_id_x 1
		.amdhsa_system_sgpr_workgroup_id_y 1
		.amdhsa_system_sgpr_workgroup_id_z 1
		.amdhsa_system_sgpr_workgroup_info 0
		.amdhsa_system_vgpr_workitem_id 1
		.amdhsa_next_free_vgpr 92
		.amdhsa_next_free_sgpr 44
		.amdhsa_reserve_vcc 1
		.amdhsa_reserve_flat_scratch 0
		.amdhsa_float_round_mode_32 0
		.amdhsa_float_round_mode_16_64 0
		.amdhsa_float_denorm_mode_32 3
		.amdhsa_float_denorm_mode_16_64 3
		.amdhsa_dx10_clamp 1
		.amdhsa_ieee_mode 1
		.amdhsa_fp16_overflow 0
		.amdhsa_workgroup_processor_mode 1
		.amdhsa_memory_ordered 1
		.amdhsa_forward_progress 1
		.amdhsa_shared_vgpr_count 0
		.amdhsa_exception_fp_ieee_invalid_op 0
		.amdhsa_exception_fp_denorm_src 0
		.amdhsa_exception_fp_ieee_div_zero 0
		.amdhsa_exception_fp_ieee_overflow 0
		.amdhsa_exception_fp_ieee_underflow 0
		.amdhsa_exception_fp_ieee_inexact 0
		.amdhsa_exception_int_div_zero 0
	.end_amdhsa_kernel
	.section	.text._ZN12_GLOBAL__N_127rocblas_gemm_batched_kernelI19rocblas_complex_numIfELi16ELi16ELi32ELi32ELi8ELi32ELi8ELi8ELi32ELc67ELc78EKPKS2_S5_KPS2_EEvlllT_PT11_llSA_llS8_PT12_llPT13_lli,"axG",@progbits,_ZN12_GLOBAL__N_127rocblas_gemm_batched_kernelI19rocblas_complex_numIfELi16ELi16ELi32ELi32ELi8ELi32ELi8ELi8ELi32ELc67ELc78EKPKS2_S5_KPS2_EEvlllT_PT11_llSA_llS8_PT12_llPT13_lli,comdat
.Lfunc_end248:
	.size	_ZN12_GLOBAL__N_127rocblas_gemm_batched_kernelI19rocblas_complex_numIfELi16ELi16ELi32ELi32ELi8ELi32ELi8ELi8ELi32ELc67ELc78EKPKS2_S5_KPS2_EEvlllT_PT11_llSA_llS8_PT12_llPT13_lli, .Lfunc_end248-_ZN12_GLOBAL__N_127rocblas_gemm_batched_kernelI19rocblas_complex_numIfELi16ELi16ELi32ELi32ELi8ELi32ELi8ELi8ELi32ELc67ELc78EKPKS2_S5_KPS2_EEvlllT_PT11_llSA_llS8_PT12_llPT13_lli
                                        ; -- End function
	.set _ZN12_GLOBAL__N_127rocblas_gemm_batched_kernelI19rocblas_complex_numIfELi16ELi16ELi32ELi32ELi8ELi32ELi8ELi8ELi32ELc67ELc78EKPKS2_S5_KPS2_EEvlllT_PT11_llSA_llS8_PT12_llPT13_lli.num_vgpr, 92
	.set _ZN12_GLOBAL__N_127rocblas_gemm_batched_kernelI19rocblas_complex_numIfELi16ELi16ELi32ELi32ELi8ELi32ELi8ELi8ELi32ELc67ELc78EKPKS2_S5_KPS2_EEvlllT_PT11_llSA_llS8_PT12_llPT13_lli.num_agpr, 0
	.set _ZN12_GLOBAL__N_127rocblas_gemm_batched_kernelI19rocblas_complex_numIfELi16ELi16ELi32ELi32ELi8ELi32ELi8ELi8ELi32ELc67ELc78EKPKS2_S5_KPS2_EEvlllT_PT11_llSA_llS8_PT12_llPT13_lli.numbered_sgpr, 44
	.set _ZN12_GLOBAL__N_127rocblas_gemm_batched_kernelI19rocblas_complex_numIfELi16ELi16ELi32ELi32ELi8ELi32ELi8ELi8ELi32ELc67ELc78EKPKS2_S5_KPS2_EEvlllT_PT11_llSA_llS8_PT12_llPT13_lli.num_named_barrier, 0
	.set _ZN12_GLOBAL__N_127rocblas_gemm_batched_kernelI19rocblas_complex_numIfELi16ELi16ELi32ELi32ELi8ELi32ELi8ELi8ELi32ELc67ELc78EKPKS2_S5_KPS2_EEvlllT_PT11_llSA_llS8_PT12_llPT13_lli.private_seg_size, 0
	.set _ZN12_GLOBAL__N_127rocblas_gemm_batched_kernelI19rocblas_complex_numIfELi16ELi16ELi32ELi32ELi8ELi32ELi8ELi8ELi32ELc67ELc78EKPKS2_S5_KPS2_EEvlllT_PT11_llSA_llS8_PT12_llPT13_lli.uses_vcc, 1
	.set _ZN12_GLOBAL__N_127rocblas_gemm_batched_kernelI19rocblas_complex_numIfELi16ELi16ELi32ELi32ELi8ELi32ELi8ELi8ELi32ELc67ELc78EKPKS2_S5_KPS2_EEvlllT_PT11_llSA_llS8_PT12_llPT13_lli.uses_flat_scratch, 0
	.set _ZN12_GLOBAL__N_127rocblas_gemm_batched_kernelI19rocblas_complex_numIfELi16ELi16ELi32ELi32ELi8ELi32ELi8ELi8ELi32ELc67ELc78EKPKS2_S5_KPS2_EEvlllT_PT11_llSA_llS8_PT12_llPT13_lli.has_dyn_sized_stack, 0
	.set _ZN12_GLOBAL__N_127rocblas_gemm_batched_kernelI19rocblas_complex_numIfELi16ELi16ELi32ELi32ELi8ELi32ELi8ELi8ELi32ELc67ELc78EKPKS2_S5_KPS2_EEvlllT_PT11_llSA_llS8_PT12_llPT13_lli.has_recursion, 0
	.set _ZN12_GLOBAL__N_127rocblas_gemm_batched_kernelI19rocblas_complex_numIfELi16ELi16ELi32ELi32ELi8ELi32ELi8ELi8ELi32ELc67ELc78EKPKS2_S5_KPS2_EEvlllT_PT11_llSA_llS8_PT12_llPT13_lli.has_indirect_call, 0
	.section	.AMDGPU.csdata,"",@progbits
; Kernel info:
; codeLenInByte = 2544
; TotalNumSgprs: 46
; NumVgprs: 92
; ScratchSize: 0
; MemoryBound: 0
; FloatMode: 240
; IeeeMode: 1
; LDSByteSize: 4096 bytes/workgroup (compile time only)
; SGPRBlocks: 0
; VGPRBlocks: 11
; NumSGPRsForWavesPerEU: 46
; NumVGPRsForWavesPerEU: 92
; Occupancy: 10
; WaveLimiterHint : 1
; COMPUTE_PGM_RSRC2:SCRATCH_EN: 0
; COMPUTE_PGM_RSRC2:USER_SGPR: 6
; COMPUTE_PGM_RSRC2:TRAP_HANDLER: 0
; COMPUTE_PGM_RSRC2:TGID_X_EN: 1
; COMPUTE_PGM_RSRC2:TGID_Y_EN: 1
; COMPUTE_PGM_RSRC2:TGID_Z_EN: 1
; COMPUTE_PGM_RSRC2:TIDIG_COMP_CNT: 1
	.section	.text._ZN12_GLOBAL__N_127rocblas_gemm_batched_kernelI19rocblas_complex_numIfELi16ELi16ELi32ELi32ELi8ELi32ELi8ELi8ELi32ELc67ELc84EKPKS2_S5_KPS2_EEvlllT_PT11_llSA_llS8_PT12_llPT13_lli,"axG",@progbits,_ZN12_GLOBAL__N_127rocblas_gemm_batched_kernelI19rocblas_complex_numIfELi16ELi16ELi32ELi32ELi8ELi32ELi8ELi8ELi32ELc67ELc84EKPKS2_S5_KPS2_EEvlllT_PT11_llSA_llS8_PT12_llPT13_lli,comdat
	.globl	_ZN12_GLOBAL__N_127rocblas_gemm_batched_kernelI19rocblas_complex_numIfELi16ELi16ELi32ELi32ELi8ELi32ELi8ELi8ELi32ELc67ELc84EKPKS2_S5_KPS2_EEvlllT_PT11_llSA_llS8_PT12_llPT13_lli ; -- Begin function _ZN12_GLOBAL__N_127rocblas_gemm_batched_kernelI19rocblas_complex_numIfELi16ELi16ELi32ELi32ELi8ELi32ELi8ELi8ELi32ELc67ELc84EKPKS2_S5_KPS2_EEvlllT_PT11_llSA_llS8_PT12_llPT13_lli
	.p2align	8
	.type	_ZN12_GLOBAL__N_127rocblas_gemm_batched_kernelI19rocblas_complex_numIfELi16ELi16ELi32ELi32ELi8ELi32ELi8ELi8ELi32ELc67ELc84EKPKS2_S5_KPS2_EEvlllT_PT11_llSA_llS8_PT12_llPT13_lli,@function
_ZN12_GLOBAL__N_127rocblas_gemm_batched_kernelI19rocblas_complex_numIfELi16ELi16ELi32ELi32ELi8ELi32ELi8ELi8ELi32ELc67ELc84EKPKS2_S5_KPS2_EEvlllT_PT11_llSA_llS8_PT12_llPT13_lli: ; @_ZN12_GLOBAL__N_127rocblas_gemm_batched_kernelI19rocblas_complex_numIfELi16ELi16ELi32ELi32ELi8ELi32ELi8ELi8ELi32ELc67ELc84EKPKS2_S5_KPS2_EEvlllT_PT11_llSA_llS8_PT12_llPT13_lli
; %bb.0:
	s_clause 0x1
	s_load_dwordx8 s[36:43], s[4:5], 0x58
	s_load_dwordx16 s[12:27], s[4:5], 0x10
	s_mov_b32 s9, 0
	s_clause 0x1
	s_load_dwordx4 s[28:31], s[4:5], 0x78
	s_load_dwordx2 s[2:3], s[4:5], 0x50
	s_lshl_b64 s[0:1], s[8:9], 3
	s_mov_b32 s10, s7
	v_mov_b32_e32 v12, 0
	v_mov_b32_e32 v13, 0
	;; [unrolled: 1-line block ×8, first 2 shown]
	s_waitcnt lgkmcnt(0)
	s_add_u32 s4, s36, s0
	s_addc_u32 s5, s37, s1
	s_add_u32 s8, s42, s0
	s_addc_u32 s9, s43, s1
	s_load_dwordx2 s[4:5], s[4:5], 0x0
	s_load_dwordx2 s[8:9], s[8:9], 0x0
	v_cmp_lt_i64_e64 s33, s[12:13], 1
	s_ashr_i32 s7, s6, 31
	s_ashr_i32 s11, s10, 31
	s_lshl_b64 s[6:7], s[6:7], 5
	s_lshl_b64 s[10:11], s[10:11], 5
	s_and_b32 vcc_lo, exec_lo, s33
	s_cbranch_vccnz .LBB249_3
; %bb.1:
	v_lshl_add_u32 v7, v1, 4, v0
	v_and_b32_e32 v8, 7, v0
	s_add_u32 s16, s16, s0
	s_addc_u32 s17, s17, s1
	s_add_u32 s0, s22, s0
	v_lshrrev_b32_e32 v9, 3, v7
	v_and_b32_e32 v10, 31, v7
	s_addc_u32 s1, s23, s1
	v_lshlrev_b32_e32 v13, 3, v8
	s_load_dwordx2 s[16:17], s[16:17], 0x0
	s_load_dwordx2 s[0:1], s[0:1], 0x0
	v_add_co_u32 v2, s33, v9, s10
	v_add_co_ci_u32_e64 v3, null, 0, s11, s33
	v_add_co_u32 v4, s33, s6, v10
	v_add_co_ci_u32_e64 v5, null, s7, 0, s33
	v_mad_u64_u32 v[2:3], null, s24, v8, v[2:3]
	v_mul_lo_u32 v11, s19, v4
	v_mul_lo_u32 v12, s18, v5
	v_mad_u64_u32 v[4:5], null, s18, v4, 0
	v_lshrrev_b32_e32 v17, 5, v7
	s_lshl_b64 s[18:19], s[20:21], 3
	v_lshlrev_b32_e32 v10, 3, v10
	v_mov_b32_e32 v6, 0
	v_lshlrev_b32_e32 v16, 3, v0
	v_add3_u32 v5, v5, v12, v11
	v_mad_u64_u32 v[7:8], null, s25, v8, v[3:4]
	v_lshl_or_b32 v3, v9, 6, v13
	v_lshl_or_b32 v14, v17, 8, v10
	v_lshlrev_b64 v[4:5], 3, v[4:5]
	v_mov_b32_e32 v9, 0
	v_mov_b32_e32 v11, 0
	v_add_nc_u32_e32 v15, 0x800, v3
	v_mov_b32_e32 v3, v7
	v_lshlrev_b32_e32 v7, 3, v17
	v_add_co_u32 v4, vcc_lo, v4, s18
	v_add_co_ci_u32_e64 v5, null, s19, v5, vcc_lo
	s_lshl_b64 s[18:19], s[26:27], 3
	v_add_co_u32 v7, vcc_lo, v4, v7
	v_add_co_ci_u32_e64 v8, null, 0, v5, vcc_lo
	v_lshlrev_b64 v[4:5], 3, v[2:3]
	s_waitcnt lgkmcnt(0)
	v_add_co_u32 v2, vcc_lo, s16, v7
	s_add_u32 s0, s0, s18
	v_add_co_ci_u32_e64 v3, null, s17, v8, vcc_lo
	s_addc_u32 s1, s1, s19
	v_add_co_u32 v4, vcc_lo, s0, v4
	v_lshl_add_u32 v17, v1, 6, 0x800
	v_add_co_ci_u32_e64 v5, null, s1, v5, vcc_lo
	v_mov_b32_e32 v7, 0
	v_mov_b32_e32 v8, 0
	;; [unrolled: 1-line block ×5, first 2 shown]
	s_lshl_b64 s[16:17], s[24:25], 6
	s_mov_b64 s[18:19], 0
.LBB249_2:                              ; =>This Inner Loop Header: Depth=1
	flat_load_dwordx2 v[18:19], v[2:3]
	s_add_u32 s18, s18, 8
	s_addc_u32 s19, s19, 0
	v_add_co_u32 v2, vcc_lo, v2, 64
	v_cmp_lt_i64_e64 s0, s[18:19], s[12:13]
	v_add_co_ci_u32_e64 v3, null, 0, v3, vcc_lo
	s_and_b32 vcc_lo, exec_lo, s0
	s_waitcnt vmcnt(0) lgkmcnt(0)
	v_xor_b32_e32 v19, 0x80000000, v19
	ds_write_b64 v14, v[18:19]
	flat_load_dwordx2 v[18:19], v[4:5]
	v_add_co_u32 v4, s0, v4, s16
	v_add_co_ci_u32_e64 v5, null, s17, v5, s0
	s_waitcnt vmcnt(0) lgkmcnt(0)
	ds_write_b64 v15, v[18:19]
	s_waitcnt lgkmcnt(0)
	s_barrier
	buffer_gl0_inv
	ds_read_b128 v[18:21], v17
	ds_read2_b64 v[22:25], v16 offset1:16
	ds_read_b128 v[26:29], v17 offset:1024
	ds_read2_b64 v[30:33], v16 offset0:32 offset1:48
	ds_read_b128 v[34:37], v17 offset:16
	ds_read2_b64 v[38:41], v16 offset0:64 offset1:80
	;; [unrolled: 2-line block ×3, first 2 shown]
	ds_read2_b64 v[50:53], v16 offset0:128 offset1:144
	ds_read2_b64 v[54:57], v16 offset0:160 offset1:176
	ds_read_b128 v[58:61], v17 offset:32
	ds_read_b128 v[62:65], v17 offset:48
	ds_read2_b64 v[66:69], v16 offset0:192 offset1:208
	ds_read_b128 v[70:73], v17 offset:1056
	ds_read_b128 v[74:77], v17 offset:1072
	ds_read2_b64 v[78:81], v16 offset0:224 offset1:240
	s_waitcnt lgkmcnt(0)
	s_barrier
	buffer_gl0_inv
	v_mul_f32_e32 v82, v19, v23
	v_mul_f32_e32 v83, v18, v23
	;; [unrolled: 1-line block ×12, first 2 shown]
	v_fma_f32 v82, v18, v22, -v82
	v_fmac_f32_e32 v83, v19, v22
	v_fma_f32 v18, v18, v24, -v84
	v_fmac_f32_e32 v85, v19, v24
	;; [unrolled: 2-line block ×4, first 2 shown]
	v_mul_f32_e32 v24, v29, v31
	v_mul_f32_e32 v26, v28, v31
	;; [unrolled: 1-line block ×4, first 2 shown]
	v_fma_f32 v33, v20, v30, -v88
	v_fmac_f32_e32 v89, v21, v30
	v_fma_f32 v20, v20, v32, -v90
	v_fmac_f32_e32 v91, v21, v32
	v_mul_f32_e32 v21, v35, v39
	v_mul_f32_e32 v84, v34, v39
	v_mul_f32_e32 v86, v35, v41
	v_mul_f32_e32 v87, v34, v41
	v_fma_f32 v24, v28, v30, -v24
	v_fmac_f32_e32 v26, v29, v30
	v_fma_f32 v27, v28, v32, -v27
	v_fmac_f32_e32 v31, v29, v32
	v_mul_f32_e32 v28, v43, v39
	v_mul_f32_e32 v29, v42, v39
	v_mul_f32_e32 v30, v43, v41
	v_mul_f32_e32 v32, v42, v41
	v_add_f32_e32 v12, v12, v82
	v_add_f32_e32 v13, v13, v83
	v_add_f32_e32 v10, v10, v18
	v_add_f32_e32 v11, v11, v85
	v_add_f32_e32 v8, v8, v19
	v_add_f32_e32 v9, v9, v23
	v_add_f32_e32 v7, v7, v22
	v_add_f32_e32 v6, v6, v25
	v_mul_f32_e32 v39, v37, v47
	v_mul_f32_e32 v41, v36, v47
	v_mul_f32_e32 v88, v37, v49
	v_mul_f32_e32 v90, v36, v49
	v_fma_f32 v21, v34, v38, -v21
	v_fmac_f32_e32 v84, v35, v38
	v_fma_f32 v34, v34, v40, -v86
	v_fmac_f32_e32 v87, v35, v40
	v_fma_f32 v28, v42, v38, -v28
	v_fmac_f32_e32 v29, v43, v38
	v_fma_f32 v30, v42, v40, -v30
	v_fmac_f32_e32 v32, v43, v40
	v_mul_f32_e32 v35, v45, v47
	v_mul_f32_e32 v38, v44, v47
	v_mul_f32_e32 v40, v45, v49
	v_mul_f32_e32 v42, v44, v49
	v_add_f32_e32 v12, v12, v33
	v_add_f32_e32 v13, v13, v89
	v_add_f32_e32 v10, v10, v20
	v_add_f32_e32 v11, v11, v91
	v_add_f32_e32 v8, v8, v24
	v_add_f32_e32 v9, v9, v26
	v_add_f32_e32 v7, v7, v27
	v_add_f32_e32 v6, v6, v31
	v_fma_f32 v39, v36, v46, -v39
	v_fmac_f32_e32 v41, v37, v46
	v_fma_f32 v36, v36, v48, -v88
	v_fmac_f32_e32 v90, v37, v48
	v_mul_f32_e32 v37, v59, v51
	v_mul_f32_e32 v43, v58, v51
	v_mul_f32_e32 v47, v59, v53
	v_mul_f32_e32 v49, v58, v53
	v_fma_f32 v35, v44, v46, -v35
	v_fmac_f32_e32 v38, v45, v46
	v_fma_f32 v40, v44, v48, -v40
	v_fmac_f32_e32 v42, v45, v48
	v_mul_f32_e32 v44, v71, v51
	v_mul_f32_e32 v45, v70, v51
	v_mul_f32_e32 v46, v71, v53
	v_mul_f32_e32 v48, v70, v53
	v_add_f32_e32 v12, v12, v21
	v_add_f32_e32 v13, v13, v84
	v_add_f32_e32 v10, v10, v34
	v_add_f32_e32 v11, v11, v87
	v_add_f32_e32 v8, v8, v28
	v_add_f32_e32 v9, v9, v29
	v_add_f32_e32 v7, v7, v30
	v_add_f32_e32 v6, v6, v32
	v_mul_f32_e32 v51, v61, v55
	v_mul_f32_e32 v53, v60, v55
	v_mul_f32_e32 v86, v61, v57
	v_mul_f32_e32 v88, v60, v57
	v_fma_f32 v37, v58, v50, -v37
	v_fmac_f32_e32 v43, v59, v50
	v_fma_f32 v47, v58, v52, -v47
	v_fmac_f32_e32 v49, v59, v52
	v_fma_f32 v44, v70, v50, -v44
	v_fmac_f32_e32 v45, v71, v50
	v_fma_f32 v46, v70, v52, -v46
	v_fmac_f32_e32 v48, v71, v52
	v_mul_f32_e32 v50, v73, v55
	v_mul_f32_e32 v52, v72, v55
	v_mul_f32_e32 v55, v73, v57
	v_mul_f32_e32 v57, v72, v57
	v_add_f32_e32 v12, v12, v39
	v_add_f32_e32 v13, v13, v41
	v_add_f32_e32 v10, v10, v36
	v_add_f32_e32 v11, v11, v90
	v_add_f32_e32 v8, v8, v35
	v_add_f32_e32 v9, v9, v38
	v_add_f32_e32 v7, v7, v40
	v_add_f32_e32 v6, v6, v42
	;; [unrolled: 48-line block ×3, first 2 shown]
	v_fma_f32 v71, v64, v78, -v71
	v_fmac_f32_e32 v72, v65, v78
	v_fma_f32 v64, v64, v80, -v73
	v_fmac_f32_e32 v86, v65, v80
	;; [unrolled: 2-line block ×4, first 2 shown]
	v_add_f32_e32 v12, v12, v59
	v_add_f32_e32 v13, v13, v60
	v_add_f32_e32 v10, v10, v61
	v_add_f32_e32 v11, v11, v70
	v_add_f32_e32 v8, v8, v55
	v_add_f32_e32 v9, v9, v56
	v_add_f32_e32 v7, v7, v62
	v_add_f32_e32 v6, v6, v69
	v_add_f32_e32 v12, v12, v71
	v_add_f32_e32 v13, v13, v72
	v_add_f32_e32 v10, v10, v64
	v_add_f32_e32 v11, v11, v86
	v_add_f32_e32 v8, v8, v63
	v_add_f32_e32 v9, v9, v66
	v_add_f32_e32 v7, v7, v65
	v_add_f32_e32 v6, v6, v68
	s_cbranch_vccnz .LBB249_2
.LBB249_3:
	s_lshl_b64 s[0:1], s[30:31], 3
	v_add_co_u32 v0, s6, s6, v0
	s_waitcnt lgkmcnt(0)
	s_add_u32 s0, s8, s0
	s_addc_u32 s1, s9, s1
	v_add_co_u32 v4, s9, s10, v1
	s_or_b32 s8, s2, s3
	v_add_co_ci_u32_e64 v5, null, s11, 0, s9
	v_add_co_ci_u32_e64 v1, null, s7, 0, s6
	s_bitset0_b32 s8, 31
	s_mov_b32 s6, 0
	s_cmp_lg_u32 s8, 0
	s_cbranch_scc1 .LBB249_5
; %bb.4:
	v_mul_lo_u32 v14, v5, s28
	v_mul_lo_u32 v15, v4, s29
	v_mad_u64_u32 v[2:3], null, v4, s28, 0
	v_lshlrev_b64 v[17:18], 3, v[0:1]
	s_lshl_b64 s[8:9], s[28:29], 7
	v_mul_f32_e32 v19, s15, v13
	v_mul_f32_e32 v16, s14, v13
	;; [unrolled: 1-line block ×4, first 2 shown]
	v_add3_u32 v3, v3, v15, v14
	v_mul_f32_e32 v14, s15, v11
	v_fma_f32 v15, v12, s14, -v19
	v_mul_f32_e32 v24, s14, v9
	v_mul_f32_e32 v25, s15, v6
	v_lshlrev_b64 v[2:3], 3, v[2:3]
	v_fma_f32 v19, v10, s14, -v14
	v_mul_f32_e32 v14, s14, v6
	v_fmac_f32_e32 v16, s15, v12
	v_fmac_f32_e32 v20, s15, v10
	v_fma_f32 v23, v8, s14, -v23
	v_add_co_u32 v2, vcc_lo, s0, v2
	v_add_co_ci_u32_e64 v3, null, s1, v3, vcc_lo
	v_fmac_f32_e32 v14, s15, v7
	v_add_co_u32 v21, vcc_lo, v2, v17
	v_add_co_ci_u32_e64 v22, null, v3, v18, vcc_lo
	v_add_co_u32 v2, vcc_lo, v2, s8
	v_add_co_ci_u32_e64 v3, null, s9, v3, vcc_lo
	v_fmac_f32_e32 v24, s15, v8
	v_add_co_u32 v17, vcc_lo, v2, v17
	v_add_co_ci_u32_e64 v18, null, v3, v18, vcc_lo
	v_fma_f32 v25, v7, s14, -v25
	v_add_co_u32 v2, vcc_lo, 0x80, v17
	v_add_co_ci_u32_e64 v3, null, 0, v18, vcc_lo
	flat_store_dwordx2 v[21:22], v[15:16]
	flat_store_dwordx2 v[21:22], v[19:20] offset:128
	flat_store_dwordx2 v[17:18], v[23:24]
	flat_store_dword v[17:18], v25 offset:128
	s_andn2_b32 vcc_lo, exec_lo, s6
	s_cbranch_vccz .LBB249_6
	s_branch .LBB249_7
.LBB249_5:
                                        ; implicit-def: $vgpr14
                                        ; implicit-def: $vgpr2_vgpr3
.LBB249_6:
	v_mul_lo_u32 v14, v5, s38
	v_mul_lo_u32 v15, v4, s39
	v_mad_u64_u32 v[2:3], null, v4, s38, 0
	s_lshl_b64 s[6:7], s[40:41], 3
	v_lshlrev_b64 v[0:1], 3, v[0:1]
	s_add_u32 s4, s4, s6
	s_addc_u32 s5, s5, s7
	v_mul_lo_u32 v18, v5, s28
	v_mul_lo_u32 v19, v4, s29
	v_add3_u32 v3, v3, v15, v14
	v_mad_u64_u32 v[4:5], null, v4, s28, 0
	v_lshlrev_b64 v[2:3], 3, v[2:3]
	v_add3_u32 v5, v5, v19, v18
	v_mul_f32_e32 v18, s15, v13
	v_add_co_u32 v16, vcc_lo, s4, v2
	v_add_co_ci_u32_e64 v17, null, s5, v3, vcc_lo
	v_mul_f32_e32 v13, s14, v13
	v_add_co_u32 v2, vcc_lo, v16, v0
	v_add_co_ci_u32_e64 v3, null, v17, v1, vcc_lo
	v_lshlrev_b64 v[4:5], 3, v[4:5]
	v_fma_f32 v18, v12, s14, -v18
	v_fmac_f32_e32 v13, s15, v12
	flat_load_dwordx2 v[14:15], v[2:3]
	v_add_co_u32 v19, vcc_lo, s0, v4
	v_add_co_ci_u32_e64 v20, null, s1, v5, vcc_lo
	s_lshl_b64 s[0:1], s[38:39], 7
	v_add_co_u32 v4, vcc_lo, v19, v0
	v_add_co_ci_u32_e64 v5, null, v20, v1, vcc_lo
	s_waitcnt vmcnt(0) lgkmcnt(0)
	v_mul_f32_e32 v12, s3, v15
	v_mul_f32_e32 v15, s2, v15
	v_fma_f32 v12, v14, s2, -v12
	v_fmac_f32_e32 v15, s3, v14
	v_add_f32_e32 v12, v18, v12
	v_add_f32_e32 v13, v13, v15
	flat_store_dwordx2 v[4:5], v[12:13]
	flat_load_dwordx2 v[2:3], v[2:3] offset:128
	v_mul_f32_e32 v12, s15, v11
	v_mul_f32_e32 v11, s14, v11
	v_fma_f32 v12, v10, s14, -v12
	v_fmac_f32_e32 v11, s15, v10
	s_waitcnt vmcnt(0) lgkmcnt(0)
	v_mul_f32_e32 v13, s3, v3
	v_mul_f32_e32 v3, s2, v3
	v_fma_f32 v10, v2, s2, -v13
	v_add_co_u32 v13, vcc_lo, v16, s0
	v_fmac_f32_e32 v3, s3, v2
	v_add_co_ci_u32_e64 v14, null, s1, v17, vcc_lo
	v_add_f32_e32 v2, v12, v10
	v_add_co_u32 v10, vcc_lo, v13, v0
	v_add_f32_e32 v3, v11, v3
	v_add_co_ci_u32_e64 v11, null, v14, v1, vcc_lo
	s_lshl_b64 s[0:1], s[28:29], 7
	flat_store_dwordx2 v[4:5], v[2:3] offset:128
	flat_load_dwordx2 v[2:3], v[10:11]
	v_mul_f32_e32 v4, s15, v9
	v_mul_f32_e32 v5, s14, v9
	v_add_co_u32 v9, vcc_lo, v19, s0
	v_add_co_ci_u32_e64 v12, null, s1, v20, vcc_lo
	v_fma_f32 v4, v8, s14, -v4
	v_fmac_f32_e32 v5, s15, v8
	v_add_co_u32 v0, vcc_lo, v9, v0
	v_add_co_ci_u32_e64 v1, null, v12, v1, vcc_lo
	s_waitcnt vmcnt(0) lgkmcnt(0)
	v_mul_f32_e32 v8, s3, v3
	v_mul_f32_e32 v3, s2, v3
	v_fma_f32 v8, v2, s2, -v8
	v_fmac_f32_e32 v3, s3, v2
	v_add_f32_e32 v2, v4, v8
	v_add_f32_e32 v3, v5, v3
	v_mul_f32_e32 v4, s15, v6
	v_mul_f32_e32 v5, s14, v6
	flat_store_dwordx2 v[0:1], v[2:3]
	flat_load_dwordx2 v[2:3], v[10:11] offset:128
	v_fma_f32 v4, v7, s14, -v4
	v_fmac_f32_e32 v5, s15, v7
	s_waitcnt vmcnt(0) lgkmcnt(0)
	v_mul_f32_e32 v6, s3, v3
	v_mul_f32_e32 v3, s2, v3
	v_fma_f32 v6, v2, s2, -v6
	v_fmac_f32_e32 v3, s3, v2
	v_add_co_u32 v2, vcc_lo, 0x80, v0
	v_add_f32_e32 v4, v4, v6
	v_add_f32_e32 v14, v5, v3
	v_add_co_ci_u32_e64 v3, null, 0, v1, vcc_lo
	flat_store_dword v[0:1], v4 offset:128
.LBB249_7:
	flat_store_dword v[2:3], v14 offset:4
	s_endpgm
	.section	.rodata,"a",@progbits
	.p2align	6, 0x0
	.amdhsa_kernel _ZN12_GLOBAL__N_127rocblas_gemm_batched_kernelI19rocblas_complex_numIfELi16ELi16ELi32ELi32ELi8ELi32ELi8ELi8ELi32ELc67ELc84EKPKS2_S5_KPS2_EEvlllT_PT11_llSA_llS8_PT12_llPT13_lli
		.amdhsa_group_segment_fixed_size 4096
		.amdhsa_private_segment_fixed_size 0
		.amdhsa_kernarg_size 140
		.amdhsa_user_sgpr_count 6
		.amdhsa_user_sgpr_private_segment_buffer 1
		.amdhsa_user_sgpr_dispatch_ptr 0
		.amdhsa_user_sgpr_queue_ptr 0
		.amdhsa_user_sgpr_kernarg_segment_ptr 1
		.amdhsa_user_sgpr_dispatch_id 0
		.amdhsa_user_sgpr_flat_scratch_init 0
		.amdhsa_user_sgpr_private_segment_size 0
		.amdhsa_wavefront_size32 1
		.amdhsa_uses_dynamic_stack 0
		.amdhsa_system_sgpr_private_segment_wavefront_offset 0
		.amdhsa_system_sgpr_workgroup_id_x 1
		.amdhsa_system_sgpr_workgroup_id_y 1
		.amdhsa_system_sgpr_workgroup_id_z 1
		.amdhsa_system_sgpr_workgroup_info 0
		.amdhsa_system_vgpr_workitem_id 1
		.amdhsa_next_free_vgpr 92
		.amdhsa_next_free_sgpr 44
		.amdhsa_reserve_vcc 1
		.amdhsa_reserve_flat_scratch 0
		.amdhsa_float_round_mode_32 0
		.amdhsa_float_round_mode_16_64 0
		.amdhsa_float_denorm_mode_32 3
		.amdhsa_float_denorm_mode_16_64 3
		.amdhsa_dx10_clamp 1
		.amdhsa_ieee_mode 1
		.amdhsa_fp16_overflow 0
		.amdhsa_workgroup_processor_mode 1
		.amdhsa_memory_ordered 1
		.amdhsa_forward_progress 1
		.amdhsa_shared_vgpr_count 0
		.amdhsa_exception_fp_ieee_invalid_op 0
		.amdhsa_exception_fp_denorm_src 0
		.amdhsa_exception_fp_ieee_div_zero 0
		.amdhsa_exception_fp_ieee_overflow 0
		.amdhsa_exception_fp_ieee_underflow 0
		.amdhsa_exception_fp_ieee_inexact 0
		.amdhsa_exception_int_div_zero 0
	.end_amdhsa_kernel
	.section	.text._ZN12_GLOBAL__N_127rocblas_gemm_batched_kernelI19rocblas_complex_numIfELi16ELi16ELi32ELi32ELi8ELi32ELi8ELi8ELi32ELc67ELc84EKPKS2_S5_KPS2_EEvlllT_PT11_llSA_llS8_PT12_llPT13_lli,"axG",@progbits,_ZN12_GLOBAL__N_127rocblas_gemm_batched_kernelI19rocblas_complex_numIfELi16ELi16ELi32ELi32ELi8ELi32ELi8ELi8ELi32ELc67ELc84EKPKS2_S5_KPS2_EEvlllT_PT11_llSA_llS8_PT12_llPT13_lli,comdat
.Lfunc_end249:
	.size	_ZN12_GLOBAL__N_127rocblas_gemm_batched_kernelI19rocblas_complex_numIfELi16ELi16ELi32ELi32ELi8ELi32ELi8ELi8ELi32ELc67ELc84EKPKS2_S5_KPS2_EEvlllT_PT11_llSA_llS8_PT12_llPT13_lli, .Lfunc_end249-_ZN12_GLOBAL__N_127rocblas_gemm_batched_kernelI19rocblas_complex_numIfELi16ELi16ELi32ELi32ELi8ELi32ELi8ELi8ELi32ELc67ELc84EKPKS2_S5_KPS2_EEvlllT_PT11_llSA_llS8_PT12_llPT13_lli
                                        ; -- End function
	.set _ZN12_GLOBAL__N_127rocblas_gemm_batched_kernelI19rocblas_complex_numIfELi16ELi16ELi32ELi32ELi8ELi32ELi8ELi8ELi32ELc67ELc84EKPKS2_S5_KPS2_EEvlllT_PT11_llSA_llS8_PT12_llPT13_lli.num_vgpr, 92
	.set _ZN12_GLOBAL__N_127rocblas_gemm_batched_kernelI19rocblas_complex_numIfELi16ELi16ELi32ELi32ELi8ELi32ELi8ELi8ELi32ELc67ELc84EKPKS2_S5_KPS2_EEvlllT_PT11_llSA_llS8_PT12_llPT13_lli.num_agpr, 0
	.set _ZN12_GLOBAL__N_127rocblas_gemm_batched_kernelI19rocblas_complex_numIfELi16ELi16ELi32ELi32ELi8ELi32ELi8ELi8ELi32ELc67ELc84EKPKS2_S5_KPS2_EEvlllT_PT11_llSA_llS8_PT12_llPT13_lli.numbered_sgpr, 44
	.set _ZN12_GLOBAL__N_127rocblas_gemm_batched_kernelI19rocblas_complex_numIfELi16ELi16ELi32ELi32ELi8ELi32ELi8ELi8ELi32ELc67ELc84EKPKS2_S5_KPS2_EEvlllT_PT11_llSA_llS8_PT12_llPT13_lli.num_named_barrier, 0
	.set _ZN12_GLOBAL__N_127rocblas_gemm_batched_kernelI19rocblas_complex_numIfELi16ELi16ELi32ELi32ELi8ELi32ELi8ELi8ELi32ELc67ELc84EKPKS2_S5_KPS2_EEvlllT_PT11_llSA_llS8_PT12_llPT13_lli.private_seg_size, 0
	.set _ZN12_GLOBAL__N_127rocblas_gemm_batched_kernelI19rocblas_complex_numIfELi16ELi16ELi32ELi32ELi8ELi32ELi8ELi8ELi32ELc67ELc84EKPKS2_S5_KPS2_EEvlllT_PT11_llSA_llS8_PT12_llPT13_lli.uses_vcc, 1
	.set _ZN12_GLOBAL__N_127rocblas_gemm_batched_kernelI19rocblas_complex_numIfELi16ELi16ELi32ELi32ELi8ELi32ELi8ELi8ELi32ELc67ELc84EKPKS2_S5_KPS2_EEvlllT_PT11_llSA_llS8_PT12_llPT13_lli.uses_flat_scratch, 0
	.set _ZN12_GLOBAL__N_127rocblas_gemm_batched_kernelI19rocblas_complex_numIfELi16ELi16ELi32ELi32ELi8ELi32ELi8ELi8ELi32ELc67ELc84EKPKS2_S5_KPS2_EEvlllT_PT11_llSA_llS8_PT12_llPT13_lli.has_dyn_sized_stack, 0
	.set _ZN12_GLOBAL__N_127rocblas_gemm_batched_kernelI19rocblas_complex_numIfELi16ELi16ELi32ELi32ELi8ELi32ELi8ELi8ELi32ELc67ELc84EKPKS2_S5_KPS2_EEvlllT_PT11_llSA_llS8_PT12_llPT13_lli.has_recursion, 0
	.set _ZN12_GLOBAL__N_127rocblas_gemm_batched_kernelI19rocblas_complex_numIfELi16ELi16ELi32ELi32ELi8ELi32ELi8ELi8ELi32ELc67ELc84EKPKS2_S5_KPS2_EEvlllT_PT11_llSA_llS8_PT12_llPT13_lli.has_indirect_call, 0
	.section	.AMDGPU.csdata,"",@progbits
; Kernel info:
; codeLenInByte = 2512
; TotalNumSgprs: 46
; NumVgprs: 92
; ScratchSize: 0
; MemoryBound: 0
; FloatMode: 240
; IeeeMode: 1
; LDSByteSize: 4096 bytes/workgroup (compile time only)
; SGPRBlocks: 0
; VGPRBlocks: 11
; NumSGPRsForWavesPerEU: 46
; NumVGPRsForWavesPerEU: 92
; Occupancy: 10
; WaveLimiterHint : 1
; COMPUTE_PGM_RSRC2:SCRATCH_EN: 0
; COMPUTE_PGM_RSRC2:USER_SGPR: 6
; COMPUTE_PGM_RSRC2:TRAP_HANDLER: 0
; COMPUTE_PGM_RSRC2:TGID_X_EN: 1
; COMPUTE_PGM_RSRC2:TGID_Y_EN: 1
; COMPUTE_PGM_RSRC2:TGID_Z_EN: 1
; COMPUTE_PGM_RSRC2:TIDIG_COMP_CNT: 1
	.section	.text._ZN12_GLOBAL__N_127rocblas_gemm_batched_kernelI19rocblas_complex_numIfELi16ELi16ELi32ELi32ELi8ELi32ELi8ELi8ELi32ELc78ELc67EKPKS2_S5_KPS2_EEvlllT_PT11_llSA_llS8_PT12_llPT13_lli,"axG",@progbits,_ZN12_GLOBAL__N_127rocblas_gemm_batched_kernelI19rocblas_complex_numIfELi16ELi16ELi32ELi32ELi8ELi32ELi8ELi8ELi32ELc78ELc67EKPKS2_S5_KPS2_EEvlllT_PT11_llSA_llS8_PT12_llPT13_lli,comdat
	.globl	_ZN12_GLOBAL__N_127rocblas_gemm_batched_kernelI19rocblas_complex_numIfELi16ELi16ELi32ELi32ELi8ELi32ELi8ELi8ELi32ELc78ELc67EKPKS2_S5_KPS2_EEvlllT_PT11_llSA_llS8_PT12_llPT13_lli ; -- Begin function _ZN12_GLOBAL__N_127rocblas_gemm_batched_kernelI19rocblas_complex_numIfELi16ELi16ELi32ELi32ELi8ELi32ELi8ELi8ELi32ELc78ELc67EKPKS2_S5_KPS2_EEvlllT_PT11_llSA_llS8_PT12_llPT13_lli
	.p2align	8
	.type	_ZN12_GLOBAL__N_127rocblas_gemm_batched_kernelI19rocblas_complex_numIfELi16ELi16ELi32ELi32ELi8ELi32ELi8ELi8ELi32ELc78ELc67EKPKS2_S5_KPS2_EEvlllT_PT11_llSA_llS8_PT12_llPT13_lli,@function
_ZN12_GLOBAL__N_127rocblas_gemm_batched_kernelI19rocblas_complex_numIfELi16ELi16ELi32ELi32ELi8ELi32ELi8ELi8ELi32ELc78ELc67EKPKS2_S5_KPS2_EEvlllT_PT11_llSA_llS8_PT12_llPT13_lli: ; @_ZN12_GLOBAL__N_127rocblas_gemm_batched_kernelI19rocblas_complex_numIfELi16ELi16ELi32ELi32ELi8ELi32ELi8ELi8ELi32ELc78ELc67EKPKS2_S5_KPS2_EEvlllT_PT11_llSA_llS8_PT12_llPT13_lli
; %bb.0:
	s_clause 0x1
	s_load_dwordx8 s[36:43], s[4:5], 0x58
	s_load_dwordx16 s[12:27], s[4:5], 0x10
	s_mov_b32 s9, 0
	s_clause 0x1
	s_load_dwordx4 s[28:31], s[4:5], 0x78
	s_load_dwordx2 s[2:3], s[4:5], 0x50
	s_lshl_b64 s[0:1], s[8:9], 3
	s_mov_b32 s10, s7
	v_mov_b32_e32 v12, 0
	v_mov_b32_e32 v13, 0
	;; [unrolled: 1-line block ×8, first 2 shown]
	s_waitcnt lgkmcnt(0)
	s_add_u32 s4, s36, s0
	s_addc_u32 s5, s37, s1
	s_add_u32 s8, s42, s0
	s_addc_u32 s9, s43, s1
	s_load_dwordx2 s[4:5], s[4:5], 0x0
	s_load_dwordx2 s[8:9], s[8:9], 0x0
	v_cmp_lt_i64_e64 s33, s[12:13], 1
	s_ashr_i32 s7, s6, 31
	s_ashr_i32 s11, s10, 31
	s_lshl_b64 s[6:7], s[6:7], 5
	s_lshl_b64 s[10:11], s[10:11], 5
	s_and_b32 vcc_lo, exec_lo, s33
	s_cbranch_vccnz .LBB250_3
; %bb.1:
	v_lshl_add_u32 v9, v1, 4, v0
	v_and_b32_e32 v11, 7, v0
	s_add_u32 s16, s16, s0
	s_addc_u32 s17, s17, s1
	s_add_u32 s0, s22, s0
	v_lshrrev_b32_e32 v10, 3, v9
	v_lshrrev_b32_e32 v12, 5, v9
	s_addc_u32 s1, s23, s1
	s_load_dwordx2 s[16:17], s[16:17], 0x0
	s_load_dwordx2 s[0:1], s[0:1], 0x0
	s_lshl_b64 s[20:21], s[20:21], 3
	v_add_co_u32 v2, s33, v10, s10
	v_add_co_ci_u32_e64 v3, null, 0, s11, s33
	v_mad_u64_u32 v[4:5], null, s18, v12, s[6:7]
	v_lshlrev_b32_e32 v13, 3, v11
	v_mad_u64_u32 v[7:8], null, s24, v11, v[2:3]
	v_mov_b32_e32 v6, 0
	v_lshlrev_b32_e32 v14, 3, v0
	v_lshl_or_b32 v10, v10, 6, v13
	v_mov_b32_e32 v2, v5
	v_and_b32_e32 v5, 31, v9
	v_lshl_add_u32 v17, v1, 6, 0x800
	v_mov_b32_e32 v3, v8
	v_add_nc_u32_e32 v16, 0x800, v10
	s_waitcnt lgkmcnt(0)
	s_add_u32 s16, s16, s20
	s_addc_u32 s17, s17, s21
	s_lshl_b64 s[20:21], s[26:27], 3
	v_mad_u64_u32 v[8:9], null, s19, v12, v[2:3]
	v_mad_u64_u32 v[2:3], null, s25, v11, v[3:4]
	v_add_co_u32 v3, vcc_lo, v4, v5
	v_lshlrev_b32_e32 v9, 3, v5
	v_mov_b32_e32 v11, 0
	v_add_co_ci_u32_e64 v4, null, 0, v8, vcc_lo
	v_mov_b32_e32 v8, v2
	v_lshl_or_b32 v15, v12, 8, v9
	v_mov_b32_e32 v9, 0
	v_lshlrev_b64 v[2:3], 3, v[3:4]
	v_mov_b32_e32 v10, 0
	v_lshlrev_b64 v[4:5], 3, v[7:8]
	v_mov_b32_e32 v7, 0
	v_mov_b32_e32 v8, 0
	;; [unrolled: 1-line block ×3, first 2 shown]
	v_add_co_u32 v2, vcc_lo, s16, v2
	v_add_co_ci_u32_e64 v3, null, s17, v3, vcc_lo
	s_lshl_b64 s[16:17], s[18:19], 6
	s_add_u32 s0, s0, s20
	s_addc_u32 s1, s1, s21
	v_add_co_u32 v4, vcc_lo, s0, v4
	v_add_co_ci_u32_e64 v5, null, s1, v5, vcc_lo
	v_mov_b32_e32 v12, 0
	s_lshl_b64 s[18:19], s[24:25], 6
	s_mov_b64 s[20:21], 0
.LBB250_2:                              ; =>This Inner Loop Header: Depth=1
	flat_load_dwordx2 v[18:19], v[2:3]
	s_add_u32 s20, s20, 8
	s_addc_u32 s21, s21, 0
	v_add_co_u32 v2, vcc_lo, v2, s16
	v_cmp_lt_i64_e64 s0, s[20:21], s[12:13]
	v_add_co_ci_u32_e64 v3, null, s17, v3, vcc_lo
	s_and_b32 vcc_lo, exec_lo, s0
	s_waitcnt vmcnt(0) lgkmcnt(0)
	ds_write_b64 v15, v[18:19]
	flat_load_dwordx2 v[18:19], v[4:5]
	v_add_co_u32 v4, s0, v4, s18
	v_add_co_ci_u32_e64 v5, null, s19, v5, s0
	s_waitcnt vmcnt(0) lgkmcnt(0)
	v_xor_b32_e32 v19, 0x80000000, v19
	ds_write_b64 v16, v[18:19]
	s_waitcnt lgkmcnt(0)
	s_barrier
	buffer_gl0_inv
	ds_read_b128 v[18:21], v17
	ds_read2_b64 v[22:25], v14 offset1:16
	ds_read_b128 v[26:29], v17 offset:1024
	ds_read2_b64 v[30:33], v14 offset0:32 offset1:48
	ds_read_b128 v[34:37], v17 offset:16
	ds_read2_b64 v[38:41], v14 offset0:64 offset1:80
	;; [unrolled: 2-line block ×3, first 2 shown]
	ds_read2_b64 v[50:53], v14 offset0:128 offset1:144
	ds_read2_b64 v[54:57], v14 offset0:160 offset1:176
	ds_read_b128 v[58:61], v17 offset:32
	ds_read_b128 v[62:65], v17 offset:48
	ds_read2_b64 v[66:69], v14 offset0:192 offset1:208
	ds_read_b128 v[70:73], v17 offset:1056
	ds_read_b128 v[74:77], v17 offset:1072
	ds_read2_b64 v[78:81], v14 offset0:224 offset1:240
	s_waitcnt lgkmcnt(0)
	s_barrier
	buffer_gl0_inv
	v_mul_f32_e32 v82, v19, v23
	v_mul_f32_e32 v83, v18, v23
	;; [unrolled: 1-line block ×12, first 2 shown]
	v_fma_f32 v82, v18, v22, -v82
	v_fmac_f32_e32 v83, v19, v22
	v_fma_f32 v18, v18, v24, -v84
	v_fmac_f32_e32 v85, v19, v24
	;; [unrolled: 2-line block ×4, first 2 shown]
	v_mul_f32_e32 v24, v29, v31
	v_mul_f32_e32 v26, v28, v31
	;; [unrolled: 1-line block ×4, first 2 shown]
	v_fma_f32 v33, v20, v30, -v88
	v_fmac_f32_e32 v89, v21, v30
	v_fma_f32 v20, v20, v32, -v90
	v_fmac_f32_e32 v91, v21, v32
	v_mul_f32_e32 v21, v35, v39
	v_mul_f32_e32 v84, v34, v39
	v_mul_f32_e32 v86, v35, v41
	v_mul_f32_e32 v87, v34, v41
	v_fma_f32 v24, v28, v30, -v24
	v_fmac_f32_e32 v26, v29, v30
	v_fma_f32 v27, v28, v32, -v27
	v_fmac_f32_e32 v31, v29, v32
	v_mul_f32_e32 v28, v43, v39
	v_mul_f32_e32 v29, v42, v39
	v_mul_f32_e32 v30, v43, v41
	v_mul_f32_e32 v32, v42, v41
	v_add_f32_e32 v12, v12, v82
	v_add_f32_e32 v13, v13, v83
	v_add_f32_e32 v10, v10, v18
	v_add_f32_e32 v11, v11, v85
	v_add_f32_e32 v8, v8, v19
	v_add_f32_e32 v9, v9, v23
	v_add_f32_e32 v7, v7, v22
	v_add_f32_e32 v6, v6, v25
	v_mul_f32_e32 v39, v37, v47
	v_mul_f32_e32 v41, v36, v47
	v_mul_f32_e32 v88, v37, v49
	v_mul_f32_e32 v90, v36, v49
	v_fma_f32 v21, v34, v38, -v21
	v_fmac_f32_e32 v84, v35, v38
	v_fma_f32 v34, v34, v40, -v86
	v_fmac_f32_e32 v87, v35, v40
	v_fma_f32 v28, v42, v38, -v28
	v_fmac_f32_e32 v29, v43, v38
	v_fma_f32 v30, v42, v40, -v30
	v_fmac_f32_e32 v32, v43, v40
	v_mul_f32_e32 v35, v45, v47
	v_mul_f32_e32 v38, v44, v47
	v_mul_f32_e32 v40, v45, v49
	v_mul_f32_e32 v42, v44, v49
	v_add_f32_e32 v12, v12, v33
	v_add_f32_e32 v13, v13, v89
	v_add_f32_e32 v10, v10, v20
	v_add_f32_e32 v11, v11, v91
	v_add_f32_e32 v8, v8, v24
	v_add_f32_e32 v9, v9, v26
	v_add_f32_e32 v7, v7, v27
	v_add_f32_e32 v6, v6, v31
	v_fma_f32 v39, v36, v46, -v39
	v_fmac_f32_e32 v41, v37, v46
	v_fma_f32 v36, v36, v48, -v88
	v_fmac_f32_e32 v90, v37, v48
	v_mul_f32_e32 v37, v59, v51
	v_mul_f32_e32 v43, v58, v51
	v_mul_f32_e32 v47, v59, v53
	v_mul_f32_e32 v49, v58, v53
	v_fma_f32 v35, v44, v46, -v35
	v_fmac_f32_e32 v38, v45, v46
	v_fma_f32 v40, v44, v48, -v40
	v_fmac_f32_e32 v42, v45, v48
	v_mul_f32_e32 v44, v71, v51
	v_mul_f32_e32 v45, v70, v51
	v_mul_f32_e32 v46, v71, v53
	v_mul_f32_e32 v48, v70, v53
	v_add_f32_e32 v12, v12, v21
	v_add_f32_e32 v13, v13, v84
	v_add_f32_e32 v10, v10, v34
	v_add_f32_e32 v11, v11, v87
	v_add_f32_e32 v8, v8, v28
	v_add_f32_e32 v9, v9, v29
	v_add_f32_e32 v7, v7, v30
	v_add_f32_e32 v6, v6, v32
	v_mul_f32_e32 v51, v61, v55
	v_mul_f32_e32 v53, v60, v55
	v_mul_f32_e32 v86, v61, v57
	v_mul_f32_e32 v88, v60, v57
	v_fma_f32 v37, v58, v50, -v37
	v_fmac_f32_e32 v43, v59, v50
	v_fma_f32 v47, v58, v52, -v47
	v_fmac_f32_e32 v49, v59, v52
	v_fma_f32 v44, v70, v50, -v44
	v_fmac_f32_e32 v45, v71, v50
	v_fma_f32 v46, v70, v52, -v46
	v_fmac_f32_e32 v48, v71, v52
	v_mul_f32_e32 v50, v73, v55
	v_mul_f32_e32 v52, v72, v55
	v_mul_f32_e32 v55, v73, v57
	v_mul_f32_e32 v57, v72, v57
	v_add_f32_e32 v12, v12, v39
	v_add_f32_e32 v13, v13, v41
	v_add_f32_e32 v10, v10, v36
	v_add_f32_e32 v11, v11, v90
	v_add_f32_e32 v8, v8, v35
	v_add_f32_e32 v9, v9, v38
	v_add_f32_e32 v7, v7, v40
	v_add_f32_e32 v6, v6, v42
	;; [unrolled: 48-line block ×3, first 2 shown]
	v_fma_f32 v71, v64, v78, -v71
	v_fmac_f32_e32 v72, v65, v78
	v_fma_f32 v64, v64, v80, -v73
	v_fmac_f32_e32 v86, v65, v80
	;; [unrolled: 2-line block ×4, first 2 shown]
	v_add_f32_e32 v12, v12, v59
	v_add_f32_e32 v13, v13, v60
	;; [unrolled: 1-line block ×16, first 2 shown]
	s_cbranch_vccnz .LBB250_2
.LBB250_3:
	s_lshl_b64 s[0:1], s[30:31], 3
	v_add_co_u32 v0, s6, s6, v0
	s_waitcnt lgkmcnt(0)
	s_add_u32 s0, s8, s0
	s_addc_u32 s1, s9, s1
	v_add_co_u32 v4, s9, s10, v1
	s_or_b32 s8, s2, s3
	v_add_co_ci_u32_e64 v5, null, s11, 0, s9
	v_add_co_ci_u32_e64 v1, null, s7, 0, s6
	s_bitset0_b32 s8, 31
	s_mov_b32 s6, 0
	s_cmp_lg_u32 s8, 0
	s_cbranch_scc1 .LBB250_5
; %bb.4:
	v_mul_lo_u32 v14, v5, s28
	v_mul_lo_u32 v15, v4, s29
	v_mad_u64_u32 v[2:3], null, v4, s28, 0
	v_lshlrev_b64 v[17:18], 3, v[0:1]
	s_lshl_b64 s[8:9], s[28:29], 7
	v_mul_f32_e32 v19, s15, v13
	v_mul_f32_e32 v16, s14, v13
	;; [unrolled: 1-line block ×4, first 2 shown]
	v_add3_u32 v3, v3, v15, v14
	v_mul_f32_e32 v14, s15, v11
	v_fma_f32 v15, v12, s14, -v19
	v_mul_f32_e32 v24, s14, v9
	v_mul_f32_e32 v25, s15, v6
	v_lshlrev_b64 v[2:3], 3, v[2:3]
	v_fma_f32 v19, v10, s14, -v14
	v_mul_f32_e32 v14, s14, v6
	v_fmac_f32_e32 v16, s15, v12
	v_fmac_f32_e32 v20, s15, v10
	v_fma_f32 v23, v8, s14, -v23
	v_add_co_u32 v2, vcc_lo, s0, v2
	v_add_co_ci_u32_e64 v3, null, s1, v3, vcc_lo
	v_fmac_f32_e32 v14, s15, v7
	v_add_co_u32 v21, vcc_lo, v2, v17
	v_add_co_ci_u32_e64 v22, null, v3, v18, vcc_lo
	v_add_co_u32 v2, vcc_lo, v2, s8
	v_add_co_ci_u32_e64 v3, null, s9, v3, vcc_lo
	v_fmac_f32_e32 v24, s15, v8
	v_add_co_u32 v17, vcc_lo, v2, v17
	v_add_co_ci_u32_e64 v18, null, v3, v18, vcc_lo
	v_fma_f32 v25, v7, s14, -v25
	v_add_co_u32 v2, vcc_lo, 0x80, v17
	v_add_co_ci_u32_e64 v3, null, 0, v18, vcc_lo
	flat_store_dwordx2 v[21:22], v[15:16]
	flat_store_dwordx2 v[21:22], v[19:20] offset:128
	flat_store_dwordx2 v[17:18], v[23:24]
	flat_store_dword v[17:18], v25 offset:128
	s_andn2_b32 vcc_lo, exec_lo, s6
	s_cbranch_vccz .LBB250_6
	s_branch .LBB250_7
.LBB250_5:
                                        ; implicit-def: $vgpr14
                                        ; implicit-def: $vgpr2_vgpr3
.LBB250_6:
	v_mul_lo_u32 v14, v5, s38
	v_mul_lo_u32 v15, v4, s39
	v_mad_u64_u32 v[2:3], null, v4, s38, 0
	s_lshl_b64 s[6:7], s[40:41], 3
	v_lshlrev_b64 v[0:1], 3, v[0:1]
	s_add_u32 s4, s4, s6
	s_addc_u32 s5, s5, s7
	v_mul_lo_u32 v18, v5, s28
	v_mul_lo_u32 v19, v4, s29
	v_add3_u32 v3, v3, v15, v14
	v_mad_u64_u32 v[4:5], null, v4, s28, 0
	v_lshlrev_b64 v[2:3], 3, v[2:3]
	v_add3_u32 v5, v5, v19, v18
	v_mul_f32_e32 v18, s15, v13
	v_add_co_u32 v16, vcc_lo, s4, v2
	v_add_co_ci_u32_e64 v17, null, s5, v3, vcc_lo
	v_mul_f32_e32 v13, s14, v13
	v_add_co_u32 v2, vcc_lo, v16, v0
	v_add_co_ci_u32_e64 v3, null, v17, v1, vcc_lo
	v_lshlrev_b64 v[4:5], 3, v[4:5]
	v_fma_f32 v18, v12, s14, -v18
	v_fmac_f32_e32 v13, s15, v12
	flat_load_dwordx2 v[14:15], v[2:3]
	v_add_co_u32 v19, vcc_lo, s0, v4
	v_add_co_ci_u32_e64 v20, null, s1, v5, vcc_lo
	s_lshl_b64 s[0:1], s[38:39], 7
	v_add_co_u32 v4, vcc_lo, v19, v0
	v_add_co_ci_u32_e64 v5, null, v20, v1, vcc_lo
	s_waitcnt vmcnt(0) lgkmcnt(0)
	v_mul_f32_e32 v12, s3, v15
	v_mul_f32_e32 v15, s2, v15
	v_fma_f32 v12, v14, s2, -v12
	v_fmac_f32_e32 v15, s3, v14
	v_add_f32_e32 v12, v18, v12
	v_add_f32_e32 v13, v13, v15
	flat_store_dwordx2 v[4:5], v[12:13]
	flat_load_dwordx2 v[2:3], v[2:3] offset:128
	v_mul_f32_e32 v12, s15, v11
	v_mul_f32_e32 v11, s14, v11
	v_fma_f32 v12, v10, s14, -v12
	v_fmac_f32_e32 v11, s15, v10
	s_waitcnt vmcnt(0) lgkmcnt(0)
	v_mul_f32_e32 v13, s3, v3
	v_mul_f32_e32 v3, s2, v3
	v_fma_f32 v10, v2, s2, -v13
	v_add_co_u32 v13, vcc_lo, v16, s0
	v_fmac_f32_e32 v3, s3, v2
	v_add_co_ci_u32_e64 v14, null, s1, v17, vcc_lo
	v_add_f32_e32 v2, v12, v10
	v_add_co_u32 v10, vcc_lo, v13, v0
	v_add_f32_e32 v3, v11, v3
	v_add_co_ci_u32_e64 v11, null, v14, v1, vcc_lo
	s_lshl_b64 s[0:1], s[28:29], 7
	flat_store_dwordx2 v[4:5], v[2:3] offset:128
	flat_load_dwordx2 v[2:3], v[10:11]
	v_mul_f32_e32 v4, s15, v9
	v_mul_f32_e32 v5, s14, v9
	v_add_co_u32 v9, vcc_lo, v19, s0
	v_add_co_ci_u32_e64 v12, null, s1, v20, vcc_lo
	v_fma_f32 v4, v8, s14, -v4
	v_fmac_f32_e32 v5, s15, v8
	v_add_co_u32 v0, vcc_lo, v9, v0
	v_add_co_ci_u32_e64 v1, null, v12, v1, vcc_lo
	s_waitcnt vmcnt(0) lgkmcnt(0)
	v_mul_f32_e32 v8, s3, v3
	v_mul_f32_e32 v3, s2, v3
	v_fma_f32 v8, v2, s2, -v8
	v_fmac_f32_e32 v3, s3, v2
	v_add_f32_e32 v2, v4, v8
	v_add_f32_e32 v3, v5, v3
	v_mul_f32_e32 v4, s15, v6
	v_mul_f32_e32 v5, s14, v6
	flat_store_dwordx2 v[0:1], v[2:3]
	flat_load_dwordx2 v[2:3], v[10:11] offset:128
	v_fma_f32 v4, v7, s14, -v4
	v_fmac_f32_e32 v5, s15, v7
	s_waitcnt vmcnt(0) lgkmcnt(0)
	v_mul_f32_e32 v6, s3, v3
	v_mul_f32_e32 v3, s2, v3
	v_fma_f32 v6, v2, s2, -v6
	v_fmac_f32_e32 v3, s3, v2
	v_add_co_u32 v2, vcc_lo, 0x80, v0
	v_add_f32_e32 v4, v4, v6
	v_add_f32_e32 v14, v5, v3
	v_add_co_ci_u32_e64 v3, null, 0, v1, vcc_lo
	flat_store_dword v[0:1], v4 offset:128
.LBB250_7:
	flat_store_dword v[2:3], v14 offset:4
	s_endpgm
	.section	.rodata,"a",@progbits
	.p2align	6, 0x0
	.amdhsa_kernel _ZN12_GLOBAL__N_127rocblas_gemm_batched_kernelI19rocblas_complex_numIfELi16ELi16ELi32ELi32ELi8ELi32ELi8ELi8ELi32ELc78ELc67EKPKS2_S5_KPS2_EEvlllT_PT11_llSA_llS8_PT12_llPT13_lli
		.amdhsa_group_segment_fixed_size 4096
		.amdhsa_private_segment_fixed_size 0
		.amdhsa_kernarg_size 140
		.amdhsa_user_sgpr_count 6
		.amdhsa_user_sgpr_private_segment_buffer 1
		.amdhsa_user_sgpr_dispatch_ptr 0
		.amdhsa_user_sgpr_queue_ptr 0
		.amdhsa_user_sgpr_kernarg_segment_ptr 1
		.amdhsa_user_sgpr_dispatch_id 0
		.amdhsa_user_sgpr_flat_scratch_init 0
		.amdhsa_user_sgpr_private_segment_size 0
		.amdhsa_wavefront_size32 1
		.amdhsa_uses_dynamic_stack 0
		.amdhsa_system_sgpr_private_segment_wavefront_offset 0
		.amdhsa_system_sgpr_workgroup_id_x 1
		.amdhsa_system_sgpr_workgroup_id_y 1
		.amdhsa_system_sgpr_workgroup_id_z 1
		.amdhsa_system_sgpr_workgroup_info 0
		.amdhsa_system_vgpr_workitem_id 1
		.amdhsa_next_free_vgpr 92
		.amdhsa_next_free_sgpr 44
		.amdhsa_reserve_vcc 1
		.amdhsa_reserve_flat_scratch 0
		.amdhsa_float_round_mode_32 0
		.amdhsa_float_round_mode_16_64 0
		.amdhsa_float_denorm_mode_32 3
		.amdhsa_float_denorm_mode_16_64 3
		.amdhsa_dx10_clamp 1
		.amdhsa_ieee_mode 1
		.amdhsa_fp16_overflow 0
		.amdhsa_workgroup_processor_mode 1
		.amdhsa_memory_ordered 1
		.amdhsa_forward_progress 1
		.amdhsa_shared_vgpr_count 0
		.amdhsa_exception_fp_ieee_invalid_op 0
		.amdhsa_exception_fp_denorm_src 0
		.amdhsa_exception_fp_ieee_div_zero 0
		.amdhsa_exception_fp_ieee_overflow 0
		.amdhsa_exception_fp_ieee_underflow 0
		.amdhsa_exception_fp_ieee_inexact 0
		.amdhsa_exception_int_div_zero 0
	.end_amdhsa_kernel
	.section	.text._ZN12_GLOBAL__N_127rocblas_gemm_batched_kernelI19rocblas_complex_numIfELi16ELi16ELi32ELi32ELi8ELi32ELi8ELi8ELi32ELc78ELc67EKPKS2_S5_KPS2_EEvlllT_PT11_llSA_llS8_PT12_llPT13_lli,"axG",@progbits,_ZN12_GLOBAL__N_127rocblas_gemm_batched_kernelI19rocblas_complex_numIfELi16ELi16ELi32ELi32ELi8ELi32ELi8ELi8ELi32ELc78ELc67EKPKS2_S5_KPS2_EEvlllT_PT11_llSA_llS8_PT12_llPT13_lli,comdat
.Lfunc_end250:
	.size	_ZN12_GLOBAL__N_127rocblas_gemm_batched_kernelI19rocblas_complex_numIfELi16ELi16ELi32ELi32ELi8ELi32ELi8ELi8ELi32ELc78ELc67EKPKS2_S5_KPS2_EEvlllT_PT11_llSA_llS8_PT12_llPT13_lli, .Lfunc_end250-_ZN12_GLOBAL__N_127rocblas_gemm_batched_kernelI19rocblas_complex_numIfELi16ELi16ELi32ELi32ELi8ELi32ELi8ELi8ELi32ELc78ELc67EKPKS2_S5_KPS2_EEvlllT_PT11_llSA_llS8_PT12_llPT13_lli
                                        ; -- End function
	.set _ZN12_GLOBAL__N_127rocblas_gemm_batched_kernelI19rocblas_complex_numIfELi16ELi16ELi32ELi32ELi8ELi32ELi8ELi8ELi32ELc78ELc67EKPKS2_S5_KPS2_EEvlllT_PT11_llSA_llS8_PT12_llPT13_lli.num_vgpr, 92
	.set _ZN12_GLOBAL__N_127rocblas_gemm_batched_kernelI19rocblas_complex_numIfELi16ELi16ELi32ELi32ELi8ELi32ELi8ELi8ELi32ELc78ELc67EKPKS2_S5_KPS2_EEvlllT_PT11_llSA_llS8_PT12_llPT13_lli.num_agpr, 0
	.set _ZN12_GLOBAL__N_127rocblas_gemm_batched_kernelI19rocblas_complex_numIfELi16ELi16ELi32ELi32ELi8ELi32ELi8ELi8ELi32ELc78ELc67EKPKS2_S5_KPS2_EEvlllT_PT11_llSA_llS8_PT12_llPT13_lli.numbered_sgpr, 44
	.set _ZN12_GLOBAL__N_127rocblas_gemm_batched_kernelI19rocblas_complex_numIfELi16ELi16ELi32ELi32ELi8ELi32ELi8ELi8ELi32ELc78ELc67EKPKS2_S5_KPS2_EEvlllT_PT11_llSA_llS8_PT12_llPT13_lli.num_named_barrier, 0
	.set _ZN12_GLOBAL__N_127rocblas_gemm_batched_kernelI19rocblas_complex_numIfELi16ELi16ELi32ELi32ELi8ELi32ELi8ELi8ELi32ELc78ELc67EKPKS2_S5_KPS2_EEvlllT_PT11_llSA_llS8_PT12_llPT13_lli.private_seg_size, 0
	.set _ZN12_GLOBAL__N_127rocblas_gemm_batched_kernelI19rocblas_complex_numIfELi16ELi16ELi32ELi32ELi8ELi32ELi8ELi8ELi32ELc78ELc67EKPKS2_S5_KPS2_EEvlllT_PT11_llSA_llS8_PT12_llPT13_lli.uses_vcc, 1
	.set _ZN12_GLOBAL__N_127rocblas_gemm_batched_kernelI19rocblas_complex_numIfELi16ELi16ELi32ELi32ELi8ELi32ELi8ELi8ELi32ELc78ELc67EKPKS2_S5_KPS2_EEvlllT_PT11_llSA_llS8_PT12_llPT13_lli.uses_flat_scratch, 0
	.set _ZN12_GLOBAL__N_127rocblas_gemm_batched_kernelI19rocblas_complex_numIfELi16ELi16ELi32ELi32ELi8ELi32ELi8ELi8ELi32ELc78ELc67EKPKS2_S5_KPS2_EEvlllT_PT11_llSA_llS8_PT12_llPT13_lli.has_dyn_sized_stack, 0
	.set _ZN12_GLOBAL__N_127rocblas_gemm_batched_kernelI19rocblas_complex_numIfELi16ELi16ELi32ELi32ELi8ELi32ELi8ELi8ELi32ELc78ELc67EKPKS2_S5_KPS2_EEvlllT_PT11_llSA_llS8_PT12_llPT13_lli.has_recursion, 0
	.set _ZN12_GLOBAL__N_127rocblas_gemm_batched_kernelI19rocblas_complex_numIfELi16ELi16ELi32ELi32ELi8ELi32ELi8ELi8ELi32ELc78ELc67EKPKS2_S5_KPS2_EEvlllT_PT11_llSA_llS8_PT12_llPT13_lli.has_indirect_call, 0
	.section	.AMDGPU.csdata,"",@progbits
; Kernel info:
; codeLenInByte = 2480
; TotalNumSgprs: 46
; NumVgprs: 92
; ScratchSize: 0
; MemoryBound: 0
; FloatMode: 240
; IeeeMode: 1
; LDSByteSize: 4096 bytes/workgroup (compile time only)
; SGPRBlocks: 0
; VGPRBlocks: 11
; NumSGPRsForWavesPerEU: 46
; NumVGPRsForWavesPerEU: 92
; Occupancy: 10
; WaveLimiterHint : 1
; COMPUTE_PGM_RSRC2:SCRATCH_EN: 0
; COMPUTE_PGM_RSRC2:USER_SGPR: 6
; COMPUTE_PGM_RSRC2:TRAP_HANDLER: 0
; COMPUTE_PGM_RSRC2:TGID_X_EN: 1
; COMPUTE_PGM_RSRC2:TGID_Y_EN: 1
; COMPUTE_PGM_RSRC2:TGID_Z_EN: 1
; COMPUTE_PGM_RSRC2:TIDIG_COMP_CNT: 1
	.section	.text._ZN12_GLOBAL__N_127rocblas_gemm_batched_kernelI19rocblas_complex_numIfELi16ELi16ELi32ELi32ELi8ELi32ELi8ELi8ELi32ELc84ELc67EKPKS2_S5_KPS2_EEvlllT_PT11_llSA_llS8_PT12_llPT13_lli,"axG",@progbits,_ZN12_GLOBAL__N_127rocblas_gemm_batched_kernelI19rocblas_complex_numIfELi16ELi16ELi32ELi32ELi8ELi32ELi8ELi8ELi32ELc84ELc67EKPKS2_S5_KPS2_EEvlllT_PT11_llSA_llS8_PT12_llPT13_lli,comdat
	.globl	_ZN12_GLOBAL__N_127rocblas_gemm_batched_kernelI19rocblas_complex_numIfELi16ELi16ELi32ELi32ELi8ELi32ELi8ELi8ELi32ELc84ELc67EKPKS2_S5_KPS2_EEvlllT_PT11_llSA_llS8_PT12_llPT13_lli ; -- Begin function _ZN12_GLOBAL__N_127rocblas_gemm_batched_kernelI19rocblas_complex_numIfELi16ELi16ELi32ELi32ELi8ELi32ELi8ELi8ELi32ELc84ELc67EKPKS2_S5_KPS2_EEvlllT_PT11_llSA_llS8_PT12_llPT13_lli
	.p2align	8
	.type	_ZN12_GLOBAL__N_127rocblas_gemm_batched_kernelI19rocblas_complex_numIfELi16ELi16ELi32ELi32ELi8ELi32ELi8ELi8ELi32ELc84ELc67EKPKS2_S5_KPS2_EEvlllT_PT11_llSA_llS8_PT12_llPT13_lli,@function
_ZN12_GLOBAL__N_127rocblas_gemm_batched_kernelI19rocblas_complex_numIfELi16ELi16ELi32ELi32ELi8ELi32ELi8ELi8ELi32ELc84ELc67EKPKS2_S5_KPS2_EEvlllT_PT11_llSA_llS8_PT12_llPT13_lli: ; @_ZN12_GLOBAL__N_127rocblas_gemm_batched_kernelI19rocblas_complex_numIfELi16ELi16ELi32ELi32ELi8ELi32ELi8ELi8ELi32ELc84ELc67EKPKS2_S5_KPS2_EEvlllT_PT11_llSA_llS8_PT12_llPT13_lli
; %bb.0:
	s_clause 0x1
	s_load_dwordx8 s[36:43], s[4:5], 0x58
	s_load_dwordx16 s[12:27], s[4:5], 0x10
	s_mov_b32 s9, 0
	s_clause 0x1
	s_load_dwordx4 s[28:31], s[4:5], 0x78
	s_load_dwordx2 s[2:3], s[4:5], 0x50
	s_lshl_b64 s[0:1], s[8:9], 3
	s_mov_b32 s10, s7
	v_mov_b32_e32 v12, 0
	v_mov_b32_e32 v13, 0
	v_mov_b32_e32 v10, 0
	v_mov_b32_e32 v11, 0
	v_mov_b32_e32 v8, 0
	v_mov_b32_e32 v9, 0
	v_mov_b32_e32 v7, 0
	v_mov_b32_e32 v6, 0
	s_waitcnt lgkmcnt(0)
	s_add_u32 s4, s36, s0
	s_addc_u32 s5, s37, s1
	s_add_u32 s8, s42, s0
	s_addc_u32 s9, s43, s1
	s_load_dwordx2 s[4:5], s[4:5], 0x0
	s_load_dwordx2 s[8:9], s[8:9], 0x0
	v_cmp_lt_i64_e64 s33, s[12:13], 1
	s_ashr_i32 s7, s6, 31
	s_ashr_i32 s11, s10, 31
	s_lshl_b64 s[6:7], s[6:7], 5
	s_lshl_b64 s[10:11], s[10:11], 5
	s_and_b32 vcc_lo, exec_lo, s33
	s_cbranch_vccnz .LBB251_3
; %bb.1:
	v_lshl_add_u32 v7, v1, 4, v0
	v_and_b32_e32 v8, 7, v0
	s_add_u32 s16, s16, s0
	s_addc_u32 s17, s17, s1
	s_add_u32 s0, s22, s0
	v_lshrrev_b32_e32 v9, 3, v7
	v_and_b32_e32 v10, 31, v7
	s_addc_u32 s1, s23, s1
	v_lshlrev_b32_e32 v13, 3, v8
	s_load_dwordx2 s[16:17], s[16:17], 0x0
	s_load_dwordx2 s[0:1], s[0:1], 0x0
	v_add_co_u32 v2, s33, v9, s10
	v_add_co_ci_u32_e64 v3, null, 0, s11, s33
	v_add_co_u32 v4, s33, s6, v10
	v_add_co_ci_u32_e64 v5, null, s7, 0, s33
	v_mad_u64_u32 v[2:3], null, s24, v8, v[2:3]
	v_mul_lo_u32 v11, s19, v4
	v_mul_lo_u32 v12, s18, v5
	v_mad_u64_u32 v[4:5], null, s18, v4, 0
	v_lshrrev_b32_e32 v17, 5, v7
	s_lshl_b64 s[18:19], s[20:21], 3
	v_lshlrev_b32_e32 v10, 3, v10
	v_mov_b32_e32 v6, 0
	v_lshlrev_b32_e32 v16, 3, v0
	v_add3_u32 v5, v5, v12, v11
	v_mad_u64_u32 v[7:8], null, s25, v8, v[3:4]
	v_lshl_or_b32 v3, v9, 6, v13
	v_lshl_or_b32 v14, v17, 8, v10
	v_lshlrev_b64 v[4:5], 3, v[4:5]
	v_mov_b32_e32 v9, 0
	v_mov_b32_e32 v11, 0
	v_add_nc_u32_e32 v15, 0x800, v3
	v_mov_b32_e32 v3, v7
	v_lshlrev_b32_e32 v7, 3, v17
	v_add_co_u32 v4, vcc_lo, v4, s18
	v_add_co_ci_u32_e64 v5, null, s19, v5, vcc_lo
	s_lshl_b64 s[18:19], s[26:27], 3
	v_add_co_u32 v7, vcc_lo, v4, v7
	v_add_co_ci_u32_e64 v8, null, 0, v5, vcc_lo
	v_lshlrev_b64 v[4:5], 3, v[2:3]
	s_waitcnt lgkmcnt(0)
	v_add_co_u32 v2, vcc_lo, s16, v7
	s_add_u32 s0, s0, s18
	v_add_co_ci_u32_e64 v3, null, s17, v8, vcc_lo
	s_addc_u32 s1, s1, s19
	v_add_co_u32 v4, vcc_lo, s0, v4
	v_lshl_add_u32 v17, v1, 6, 0x800
	v_add_co_ci_u32_e64 v5, null, s1, v5, vcc_lo
	v_mov_b32_e32 v7, 0
	v_mov_b32_e32 v8, 0
	;; [unrolled: 1-line block ×5, first 2 shown]
	s_lshl_b64 s[16:17], s[24:25], 6
	s_mov_b64 s[18:19], 0
.LBB251_2:                              ; =>This Inner Loop Header: Depth=1
	flat_load_dwordx2 v[18:19], v[2:3]
	s_add_u32 s18, s18, 8
	s_addc_u32 s19, s19, 0
	v_add_co_u32 v2, vcc_lo, v2, 64
	v_cmp_lt_i64_e64 s0, s[18:19], s[12:13]
	v_add_co_ci_u32_e64 v3, null, 0, v3, vcc_lo
	s_and_b32 vcc_lo, exec_lo, s0
	s_waitcnt vmcnt(0) lgkmcnt(0)
	ds_write_b64 v14, v[18:19]
	flat_load_dwordx2 v[18:19], v[4:5]
	v_add_co_u32 v4, s0, v4, s16
	v_add_co_ci_u32_e64 v5, null, s17, v5, s0
	s_waitcnt vmcnt(0) lgkmcnt(0)
	v_xor_b32_e32 v19, 0x80000000, v19
	ds_write_b64 v15, v[18:19]
	s_waitcnt lgkmcnt(0)
	s_barrier
	buffer_gl0_inv
	ds_read_b128 v[18:21], v17
	ds_read2_b64 v[22:25], v16 offset1:16
	ds_read_b128 v[26:29], v17 offset:1024
	ds_read2_b64 v[30:33], v16 offset0:32 offset1:48
	ds_read_b128 v[34:37], v17 offset:16
	ds_read2_b64 v[38:41], v16 offset0:64 offset1:80
	ds_read_b128 v[42:45], v17 offset:1040
	ds_read2_b64 v[46:49], v16 offset0:96 offset1:112
	ds_read2_b64 v[50:53], v16 offset0:128 offset1:144
	ds_read2_b64 v[54:57], v16 offset0:160 offset1:176
	ds_read_b128 v[58:61], v17 offset:32
	ds_read_b128 v[62:65], v17 offset:48
	ds_read2_b64 v[66:69], v16 offset0:192 offset1:208
	ds_read_b128 v[70:73], v17 offset:1056
	ds_read_b128 v[74:77], v17 offset:1072
	ds_read2_b64 v[78:81], v16 offset0:224 offset1:240
	s_waitcnt lgkmcnt(0)
	s_barrier
	buffer_gl0_inv
	v_mul_f32_e32 v82, v19, v23
	v_mul_f32_e32 v83, v18, v23
	v_mul_f32_e32 v84, v19, v25
	v_mul_f32_e32 v85, v18, v25
	v_mul_f32_e32 v86, v27, v23
	v_mul_f32_e32 v23, v26, v23
	v_mul_f32_e32 v87, v27, v25
	v_mul_f32_e32 v25, v26, v25
	v_mul_f32_e32 v88, v21, v31
	v_mul_f32_e32 v89, v20, v31
	v_mul_f32_e32 v90, v21, v33
	v_mul_f32_e32 v91, v20, v33
	v_fma_f32 v82, v18, v22, -v82
	v_fmac_f32_e32 v83, v19, v22
	v_fma_f32 v18, v18, v24, -v84
	v_fmac_f32_e32 v85, v19, v24
	;; [unrolled: 2-line block ×4, first 2 shown]
	v_mul_f32_e32 v24, v29, v31
	v_mul_f32_e32 v26, v28, v31
	;; [unrolled: 1-line block ×4, first 2 shown]
	v_fma_f32 v33, v20, v30, -v88
	v_fmac_f32_e32 v89, v21, v30
	v_fma_f32 v20, v20, v32, -v90
	v_fmac_f32_e32 v91, v21, v32
	v_mul_f32_e32 v21, v35, v39
	v_mul_f32_e32 v84, v34, v39
	v_mul_f32_e32 v86, v35, v41
	v_mul_f32_e32 v87, v34, v41
	v_fma_f32 v24, v28, v30, -v24
	v_fmac_f32_e32 v26, v29, v30
	v_fma_f32 v27, v28, v32, -v27
	v_fmac_f32_e32 v31, v29, v32
	v_mul_f32_e32 v28, v43, v39
	v_mul_f32_e32 v29, v42, v39
	v_mul_f32_e32 v30, v43, v41
	v_mul_f32_e32 v32, v42, v41
	v_add_f32_e32 v12, v12, v82
	v_add_f32_e32 v13, v13, v83
	v_add_f32_e32 v10, v10, v18
	v_add_f32_e32 v11, v11, v85
	v_add_f32_e32 v8, v8, v19
	v_add_f32_e32 v9, v9, v23
	v_add_f32_e32 v7, v7, v22
	v_add_f32_e32 v6, v6, v25
	v_mul_f32_e32 v39, v37, v47
	v_mul_f32_e32 v41, v36, v47
	v_mul_f32_e32 v88, v37, v49
	v_mul_f32_e32 v90, v36, v49
	v_fma_f32 v21, v34, v38, -v21
	v_fmac_f32_e32 v84, v35, v38
	v_fma_f32 v34, v34, v40, -v86
	v_fmac_f32_e32 v87, v35, v40
	v_fma_f32 v28, v42, v38, -v28
	v_fmac_f32_e32 v29, v43, v38
	v_fma_f32 v30, v42, v40, -v30
	v_fmac_f32_e32 v32, v43, v40
	v_mul_f32_e32 v35, v45, v47
	v_mul_f32_e32 v38, v44, v47
	v_mul_f32_e32 v40, v45, v49
	v_mul_f32_e32 v42, v44, v49
	v_add_f32_e32 v12, v12, v33
	v_add_f32_e32 v13, v13, v89
	v_add_f32_e32 v10, v10, v20
	v_add_f32_e32 v11, v11, v91
	v_add_f32_e32 v8, v8, v24
	v_add_f32_e32 v9, v9, v26
	v_add_f32_e32 v7, v7, v27
	v_add_f32_e32 v6, v6, v31
	v_fma_f32 v39, v36, v46, -v39
	v_fmac_f32_e32 v41, v37, v46
	v_fma_f32 v36, v36, v48, -v88
	v_fmac_f32_e32 v90, v37, v48
	v_mul_f32_e32 v37, v59, v51
	v_mul_f32_e32 v43, v58, v51
	v_mul_f32_e32 v47, v59, v53
	v_mul_f32_e32 v49, v58, v53
	v_fma_f32 v35, v44, v46, -v35
	v_fmac_f32_e32 v38, v45, v46
	v_fma_f32 v40, v44, v48, -v40
	v_fmac_f32_e32 v42, v45, v48
	v_mul_f32_e32 v44, v71, v51
	v_mul_f32_e32 v45, v70, v51
	v_mul_f32_e32 v46, v71, v53
	v_mul_f32_e32 v48, v70, v53
	v_add_f32_e32 v12, v12, v21
	v_add_f32_e32 v13, v13, v84
	v_add_f32_e32 v10, v10, v34
	v_add_f32_e32 v11, v11, v87
	v_add_f32_e32 v8, v8, v28
	v_add_f32_e32 v9, v9, v29
	v_add_f32_e32 v7, v7, v30
	v_add_f32_e32 v6, v6, v32
	v_mul_f32_e32 v51, v61, v55
	v_mul_f32_e32 v53, v60, v55
	v_mul_f32_e32 v86, v61, v57
	v_mul_f32_e32 v88, v60, v57
	v_fma_f32 v37, v58, v50, -v37
	v_fmac_f32_e32 v43, v59, v50
	v_fma_f32 v47, v58, v52, -v47
	v_fmac_f32_e32 v49, v59, v52
	v_fma_f32 v44, v70, v50, -v44
	v_fmac_f32_e32 v45, v71, v50
	v_fma_f32 v46, v70, v52, -v46
	v_fmac_f32_e32 v48, v71, v52
	v_mul_f32_e32 v50, v73, v55
	v_mul_f32_e32 v52, v72, v55
	v_mul_f32_e32 v55, v73, v57
	v_mul_f32_e32 v57, v72, v57
	v_add_f32_e32 v12, v12, v39
	v_add_f32_e32 v13, v13, v41
	v_add_f32_e32 v10, v10, v36
	v_add_f32_e32 v11, v11, v90
	v_add_f32_e32 v8, v8, v35
	v_add_f32_e32 v9, v9, v38
	v_add_f32_e32 v7, v7, v40
	v_add_f32_e32 v6, v6, v42
	;; [unrolled: 48-line block ×3, first 2 shown]
	v_fma_f32 v71, v64, v78, -v71
	v_fmac_f32_e32 v72, v65, v78
	v_fma_f32 v64, v64, v80, -v73
	v_fmac_f32_e32 v86, v65, v80
	;; [unrolled: 2-line block ×4, first 2 shown]
	v_add_f32_e32 v12, v12, v59
	v_add_f32_e32 v13, v13, v60
	;; [unrolled: 1-line block ×16, first 2 shown]
	s_cbranch_vccnz .LBB251_2
.LBB251_3:
	s_lshl_b64 s[0:1], s[30:31], 3
	v_add_co_u32 v0, s6, s6, v0
	s_waitcnt lgkmcnt(0)
	s_add_u32 s0, s8, s0
	s_addc_u32 s1, s9, s1
	v_add_co_u32 v4, s9, s10, v1
	s_or_b32 s8, s2, s3
	v_add_co_ci_u32_e64 v5, null, s11, 0, s9
	v_add_co_ci_u32_e64 v1, null, s7, 0, s6
	s_bitset0_b32 s8, 31
	s_mov_b32 s6, 0
	s_cmp_lg_u32 s8, 0
	s_cbranch_scc1 .LBB251_5
; %bb.4:
	v_mul_lo_u32 v14, v5, s28
	v_mul_lo_u32 v15, v4, s29
	v_mad_u64_u32 v[2:3], null, v4, s28, 0
	v_lshlrev_b64 v[17:18], 3, v[0:1]
	s_lshl_b64 s[8:9], s[28:29], 7
	v_mul_f32_e32 v19, s15, v13
	v_mul_f32_e32 v16, s14, v13
	;; [unrolled: 1-line block ×4, first 2 shown]
	v_add3_u32 v3, v3, v15, v14
	v_mul_f32_e32 v14, s15, v11
	v_fma_f32 v15, v12, s14, -v19
	v_mul_f32_e32 v24, s14, v9
	v_mul_f32_e32 v25, s15, v6
	v_lshlrev_b64 v[2:3], 3, v[2:3]
	v_fma_f32 v19, v10, s14, -v14
	v_mul_f32_e32 v14, s14, v6
	v_fmac_f32_e32 v16, s15, v12
	v_fmac_f32_e32 v20, s15, v10
	v_fma_f32 v23, v8, s14, -v23
	v_add_co_u32 v2, vcc_lo, s0, v2
	v_add_co_ci_u32_e64 v3, null, s1, v3, vcc_lo
	v_fmac_f32_e32 v14, s15, v7
	v_add_co_u32 v21, vcc_lo, v2, v17
	v_add_co_ci_u32_e64 v22, null, v3, v18, vcc_lo
	v_add_co_u32 v2, vcc_lo, v2, s8
	v_add_co_ci_u32_e64 v3, null, s9, v3, vcc_lo
	v_fmac_f32_e32 v24, s15, v8
	v_add_co_u32 v17, vcc_lo, v2, v17
	v_add_co_ci_u32_e64 v18, null, v3, v18, vcc_lo
	v_fma_f32 v25, v7, s14, -v25
	v_add_co_u32 v2, vcc_lo, 0x80, v17
	v_add_co_ci_u32_e64 v3, null, 0, v18, vcc_lo
	flat_store_dwordx2 v[21:22], v[15:16]
	flat_store_dwordx2 v[21:22], v[19:20] offset:128
	flat_store_dwordx2 v[17:18], v[23:24]
	flat_store_dword v[17:18], v25 offset:128
	s_andn2_b32 vcc_lo, exec_lo, s6
	s_cbranch_vccz .LBB251_6
	s_branch .LBB251_7
.LBB251_5:
                                        ; implicit-def: $vgpr14
                                        ; implicit-def: $vgpr2_vgpr3
.LBB251_6:
	v_mul_lo_u32 v14, v5, s38
	v_mul_lo_u32 v15, v4, s39
	v_mad_u64_u32 v[2:3], null, v4, s38, 0
	s_lshl_b64 s[6:7], s[40:41], 3
	v_lshlrev_b64 v[0:1], 3, v[0:1]
	s_add_u32 s4, s4, s6
	s_addc_u32 s5, s5, s7
	v_mul_lo_u32 v18, v5, s28
	v_mul_lo_u32 v19, v4, s29
	v_add3_u32 v3, v3, v15, v14
	v_mad_u64_u32 v[4:5], null, v4, s28, 0
	v_lshlrev_b64 v[2:3], 3, v[2:3]
	v_add3_u32 v5, v5, v19, v18
	v_mul_f32_e32 v18, s15, v13
	v_add_co_u32 v16, vcc_lo, s4, v2
	v_add_co_ci_u32_e64 v17, null, s5, v3, vcc_lo
	v_mul_f32_e32 v13, s14, v13
	v_add_co_u32 v2, vcc_lo, v16, v0
	v_add_co_ci_u32_e64 v3, null, v17, v1, vcc_lo
	v_lshlrev_b64 v[4:5], 3, v[4:5]
	v_fma_f32 v18, v12, s14, -v18
	v_fmac_f32_e32 v13, s15, v12
	flat_load_dwordx2 v[14:15], v[2:3]
	v_add_co_u32 v19, vcc_lo, s0, v4
	v_add_co_ci_u32_e64 v20, null, s1, v5, vcc_lo
	s_lshl_b64 s[0:1], s[38:39], 7
	v_add_co_u32 v4, vcc_lo, v19, v0
	v_add_co_ci_u32_e64 v5, null, v20, v1, vcc_lo
	s_waitcnt vmcnt(0) lgkmcnt(0)
	v_mul_f32_e32 v12, s3, v15
	v_mul_f32_e32 v15, s2, v15
	v_fma_f32 v12, v14, s2, -v12
	v_fmac_f32_e32 v15, s3, v14
	v_add_f32_e32 v12, v18, v12
	v_add_f32_e32 v13, v13, v15
	flat_store_dwordx2 v[4:5], v[12:13]
	flat_load_dwordx2 v[2:3], v[2:3] offset:128
	v_mul_f32_e32 v12, s15, v11
	v_mul_f32_e32 v11, s14, v11
	v_fma_f32 v12, v10, s14, -v12
	v_fmac_f32_e32 v11, s15, v10
	s_waitcnt vmcnt(0) lgkmcnt(0)
	v_mul_f32_e32 v13, s3, v3
	v_mul_f32_e32 v3, s2, v3
	v_fma_f32 v10, v2, s2, -v13
	v_add_co_u32 v13, vcc_lo, v16, s0
	v_fmac_f32_e32 v3, s3, v2
	v_add_co_ci_u32_e64 v14, null, s1, v17, vcc_lo
	v_add_f32_e32 v2, v12, v10
	v_add_co_u32 v10, vcc_lo, v13, v0
	v_add_f32_e32 v3, v11, v3
	v_add_co_ci_u32_e64 v11, null, v14, v1, vcc_lo
	s_lshl_b64 s[0:1], s[28:29], 7
	flat_store_dwordx2 v[4:5], v[2:3] offset:128
	flat_load_dwordx2 v[2:3], v[10:11]
	v_mul_f32_e32 v4, s15, v9
	v_mul_f32_e32 v5, s14, v9
	v_add_co_u32 v9, vcc_lo, v19, s0
	v_add_co_ci_u32_e64 v12, null, s1, v20, vcc_lo
	v_fma_f32 v4, v8, s14, -v4
	v_fmac_f32_e32 v5, s15, v8
	v_add_co_u32 v0, vcc_lo, v9, v0
	v_add_co_ci_u32_e64 v1, null, v12, v1, vcc_lo
	s_waitcnt vmcnt(0) lgkmcnt(0)
	v_mul_f32_e32 v8, s3, v3
	v_mul_f32_e32 v3, s2, v3
	v_fma_f32 v8, v2, s2, -v8
	v_fmac_f32_e32 v3, s3, v2
	v_add_f32_e32 v2, v4, v8
	v_add_f32_e32 v3, v5, v3
	v_mul_f32_e32 v4, s15, v6
	v_mul_f32_e32 v5, s14, v6
	flat_store_dwordx2 v[0:1], v[2:3]
	flat_load_dwordx2 v[2:3], v[10:11] offset:128
	v_fma_f32 v4, v7, s14, -v4
	v_fmac_f32_e32 v5, s15, v7
	s_waitcnt vmcnt(0) lgkmcnt(0)
	v_mul_f32_e32 v6, s3, v3
	v_mul_f32_e32 v3, s2, v3
	v_fma_f32 v6, v2, s2, -v6
	v_fmac_f32_e32 v3, s3, v2
	v_add_co_u32 v2, vcc_lo, 0x80, v0
	v_add_f32_e32 v4, v4, v6
	v_add_f32_e32 v14, v5, v3
	v_add_co_ci_u32_e64 v3, null, 0, v1, vcc_lo
	flat_store_dword v[0:1], v4 offset:128
.LBB251_7:
	flat_store_dword v[2:3], v14 offset:4
	s_endpgm
	.section	.rodata,"a",@progbits
	.p2align	6, 0x0
	.amdhsa_kernel _ZN12_GLOBAL__N_127rocblas_gemm_batched_kernelI19rocblas_complex_numIfELi16ELi16ELi32ELi32ELi8ELi32ELi8ELi8ELi32ELc84ELc67EKPKS2_S5_KPS2_EEvlllT_PT11_llSA_llS8_PT12_llPT13_lli
		.amdhsa_group_segment_fixed_size 4096
		.amdhsa_private_segment_fixed_size 0
		.amdhsa_kernarg_size 140
		.amdhsa_user_sgpr_count 6
		.amdhsa_user_sgpr_private_segment_buffer 1
		.amdhsa_user_sgpr_dispatch_ptr 0
		.amdhsa_user_sgpr_queue_ptr 0
		.amdhsa_user_sgpr_kernarg_segment_ptr 1
		.amdhsa_user_sgpr_dispatch_id 0
		.amdhsa_user_sgpr_flat_scratch_init 0
		.amdhsa_user_sgpr_private_segment_size 0
		.amdhsa_wavefront_size32 1
		.amdhsa_uses_dynamic_stack 0
		.amdhsa_system_sgpr_private_segment_wavefront_offset 0
		.amdhsa_system_sgpr_workgroup_id_x 1
		.amdhsa_system_sgpr_workgroup_id_y 1
		.amdhsa_system_sgpr_workgroup_id_z 1
		.amdhsa_system_sgpr_workgroup_info 0
		.amdhsa_system_vgpr_workitem_id 1
		.amdhsa_next_free_vgpr 92
		.amdhsa_next_free_sgpr 44
		.amdhsa_reserve_vcc 1
		.amdhsa_reserve_flat_scratch 0
		.amdhsa_float_round_mode_32 0
		.amdhsa_float_round_mode_16_64 0
		.amdhsa_float_denorm_mode_32 3
		.amdhsa_float_denorm_mode_16_64 3
		.amdhsa_dx10_clamp 1
		.amdhsa_ieee_mode 1
		.amdhsa_fp16_overflow 0
		.amdhsa_workgroup_processor_mode 1
		.amdhsa_memory_ordered 1
		.amdhsa_forward_progress 1
		.amdhsa_shared_vgpr_count 0
		.amdhsa_exception_fp_ieee_invalid_op 0
		.amdhsa_exception_fp_denorm_src 0
		.amdhsa_exception_fp_ieee_div_zero 0
		.amdhsa_exception_fp_ieee_overflow 0
		.amdhsa_exception_fp_ieee_underflow 0
		.amdhsa_exception_fp_ieee_inexact 0
		.amdhsa_exception_int_div_zero 0
	.end_amdhsa_kernel
	.section	.text._ZN12_GLOBAL__N_127rocblas_gemm_batched_kernelI19rocblas_complex_numIfELi16ELi16ELi32ELi32ELi8ELi32ELi8ELi8ELi32ELc84ELc67EKPKS2_S5_KPS2_EEvlllT_PT11_llSA_llS8_PT12_llPT13_lli,"axG",@progbits,_ZN12_GLOBAL__N_127rocblas_gemm_batched_kernelI19rocblas_complex_numIfELi16ELi16ELi32ELi32ELi8ELi32ELi8ELi8ELi32ELc84ELc67EKPKS2_S5_KPS2_EEvlllT_PT11_llSA_llS8_PT12_llPT13_lli,comdat
.Lfunc_end251:
	.size	_ZN12_GLOBAL__N_127rocblas_gemm_batched_kernelI19rocblas_complex_numIfELi16ELi16ELi32ELi32ELi8ELi32ELi8ELi8ELi32ELc84ELc67EKPKS2_S5_KPS2_EEvlllT_PT11_llSA_llS8_PT12_llPT13_lli, .Lfunc_end251-_ZN12_GLOBAL__N_127rocblas_gemm_batched_kernelI19rocblas_complex_numIfELi16ELi16ELi32ELi32ELi8ELi32ELi8ELi8ELi32ELc84ELc67EKPKS2_S5_KPS2_EEvlllT_PT11_llSA_llS8_PT12_llPT13_lli
                                        ; -- End function
	.set _ZN12_GLOBAL__N_127rocblas_gemm_batched_kernelI19rocblas_complex_numIfELi16ELi16ELi32ELi32ELi8ELi32ELi8ELi8ELi32ELc84ELc67EKPKS2_S5_KPS2_EEvlllT_PT11_llSA_llS8_PT12_llPT13_lli.num_vgpr, 92
	.set _ZN12_GLOBAL__N_127rocblas_gemm_batched_kernelI19rocblas_complex_numIfELi16ELi16ELi32ELi32ELi8ELi32ELi8ELi8ELi32ELc84ELc67EKPKS2_S5_KPS2_EEvlllT_PT11_llSA_llS8_PT12_llPT13_lli.num_agpr, 0
	.set _ZN12_GLOBAL__N_127rocblas_gemm_batched_kernelI19rocblas_complex_numIfELi16ELi16ELi32ELi32ELi8ELi32ELi8ELi8ELi32ELc84ELc67EKPKS2_S5_KPS2_EEvlllT_PT11_llSA_llS8_PT12_llPT13_lli.numbered_sgpr, 44
	.set _ZN12_GLOBAL__N_127rocblas_gemm_batched_kernelI19rocblas_complex_numIfELi16ELi16ELi32ELi32ELi8ELi32ELi8ELi8ELi32ELc84ELc67EKPKS2_S5_KPS2_EEvlllT_PT11_llSA_llS8_PT12_llPT13_lli.num_named_barrier, 0
	.set _ZN12_GLOBAL__N_127rocblas_gemm_batched_kernelI19rocblas_complex_numIfELi16ELi16ELi32ELi32ELi8ELi32ELi8ELi8ELi32ELc84ELc67EKPKS2_S5_KPS2_EEvlllT_PT11_llSA_llS8_PT12_llPT13_lli.private_seg_size, 0
	.set _ZN12_GLOBAL__N_127rocblas_gemm_batched_kernelI19rocblas_complex_numIfELi16ELi16ELi32ELi32ELi8ELi32ELi8ELi8ELi32ELc84ELc67EKPKS2_S5_KPS2_EEvlllT_PT11_llSA_llS8_PT12_llPT13_lli.uses_vcc, 1
	.set _ZN12_GLOBAL__N_127rocblas_gemm_batched_kernelI19rocblas_complex_numIfELi16ELi16ELi32ELi32ELi8ELi32ELi8ELi8ELi32ELc84ELc67EKPKS2_S5_KPS2_EEvlllT_PT11_llSA_llS8_PT12_llPT13_lli.uses_flat_scratch, 0
	.set _ZN12_GLOBAL__N_127rocblas_gemm_batched_kernelI19rocblas_complex_numIfELi16ELi16ELi32ELi32ELi8ELi32ELi8ELi8ELi32ELc84ELc67EKPKS2_S5_KPS2_EEvlllT_PT11_llSA_llS8_PT12_llPT13_lli.has_dyn_sized_stack, 0
	.set _ZN12_GLOBAL__N_127rocblas_gemm_batched_kernelI19rocblas_complex_numIfELi16ELi16ELi32ELi32ELi8ELi32ELi8ELi8ELi32ELc84ELc67EKPKS2_S5_KPS2_EEvlllT_PT11_llSA_llS8_PT12_llPT13_lli.has_recursion, 0
	.set _ZN12_GLOBAL__N_127rocblas_gemm_batched_kernelI19rocblas_complex_numIfELi16ELi16ELi32ELi32ELi8ELi32ELi8ELi8ELi32ELc84ELc67EKPKS2_S5_KPS2_EEvlllT_PT11_llSA_llS8_PT12_llPT13_lli.has_indirect_call, 0
	.section	.AMDGPU.csdata,"",@progbits
; Kernel info:
; codeLenInByte = 2512
; TotalNumSgprs: 46
; NumVgprs: 92
; ScratchSize: 0
; MemoryBound: 0
; FloatMode: 240
; IeeeMode: 1
; LDSByteSize: 4096 bytes/workgroup (compile time only)
; SGPRBlocks: 0
; VGPRBlocks: 11
; NumSGPRsForWavesPerEU: 46
; NumVGPRsForWavesPerEU: 92
; Occupancy: 10
; WaveLimiterHint : 1
; COMPUTE_PGM_RSRC2:SCRATCH_EN: 0
; COMPUTE_PGM_RSRC2:USER_SGPR: 6
; COMPUTE_PGM_RSRC2:TRAP_HANDLER: 0
; COMPUTE_PGM_RSRC2:TGID_X_EN: 1
; COMPUTE_PGM_RSRC2:TGID_Y_EN: 1
; COMPUTE_PGM_RSRC2:TGID_Z_EN: 1
; COMPUTE_PGM_RSRC2:TIDIG_COMP_CNT: 1
	.section	.text._ZN12_GLOBAL__N_135rocblas_gemm_batched_general_kernelI19rocblas_complex_numIfELi16ELi16ELi32ELi32ELi8ELi32ELi8ELi8ELi32ELc78ELc78EKPKS2_S5_KPS2_EEvlllT_PT11_llSA_llS8_PT12_llPT13_lli,"axG",@progbits,_ZN12_GLOBAL__N_135rocblas_gemm_batched_general_kernelI19rocblas_complex_numIfELi16ELi16ELi32ELi32ELi8ELi32ELi8ELi8ELi32ELc78ELc78EKPKS2_S5_KPS2_EEvlllT_PT11_llSA_llS8_PT12_llPT13_lli,comdat
	.globl	_ZN12_GLOBAL__N_135rocblas_gemm_batched_general_kernelI19rocblas_complex_numIfELi16ELi16ELi32ELi32ELi8ELi32ELi8ELi8ELi32ELc78ELc78EKPKS2_S5_KPS2_EEvlllT_PT11_llSA_llS8_PT12_llPT13_lli ; -- Begin function _ZN12_GLOBAL__N_135rocblas_gemm_batched_general_kernelI19rocblas_complex_numIfELi16ELi16ELi32ELi32ELi8ELi32ELi8ELi8ELi32ELc78ELc78EKPKS2_S5_KPS2_EEvlllT_PT11_llSA_llS8_PT12_llPT13_lli
	.p2align	8
	.type	_ZN12_GLOBAL__N_135rocblas_gemm_batched_general_kernelI19rocblas_complex_numIfELi16ELi16ELi32ELi32ELi8ELi32ELi8ELi8ELi32ELc78ELc78EKPKS2_S5_KPS2_EEvlllT_PT11_llSA_llS8_PT12_llPT13_lli,@function
_ZN12_GLOBAL__N_135rocblas_gemm_batched_general_kernelI19rocblas_complex_numIfELi16ELi16ELi32ELi32ELi8ELi32ELi8ELi8ELi32ELc78ELc78EKPKS2_S5_KPS2_EEvlllT_PT11_llSA_llS8_PT12_llPT13_lli: ; @_ZN12_GLOBAL__N_135rocblas_gemm_batched_general_kernelI19rocblas_complex_numIfELi16ELi16ELi32ELi32ELi8ELi32ELi8ELi8ELi32ELc78ELc78EKPKS2_S5_KPS2_EEvlllT_PT11_llSA_llS8_PT12_llPT13_lli
; %bb.0:
	s_clause 0x1
	s_load_dwordx8 s[36:43], s[4:5], 0x58
	s_load_dwordx16 s[12:27], s[4:5], 0x0
	s_mov_b32 s9, 0
	s_load_dwordx4 s[28:31], s[4:5], 0x78
	s_lshl_b64 s[44:45], s[8:9], 3
	s_load_dwordx2 s[8:9], s[4:5], 0x50
	s_mov_b32 s0, s7
	v_mov_b32_e32 v20, 0
	v_mov_b32_e32 v21, 0
	;; [unrolled: 1-line block ×8, first 2 shown]
	s_waitcnt lgkmcnt(0)
	s_add_u32 s2, s36, s44
	s_addc_u32 s3, s37, s45
	s_add_u32 s34, s42, s44
	s_addc_u32 s35, s43, s45
	s_load_dwordx2 s[10:11], s[2:3], 0x0
	s_load_dwordx2 s[36:37], s[34:35], 0x0
	v_cmp_lt_i64_e64 s2, s[16:17], 1
	s_ashr_i32 s7, s6, 31
	s_ashr_i32 s1, s0, 31
	s_lshl_b64 s[34:35], s[6:7], 5
	s_lshl_b64 s[42:43], s[0:1], 5
	s_and_b32 vcc_lo, exec_lo, s2
	s_cbranch_vccnz .LBB252_11
; %bb.1:
	s_load_dwordx4 s[0:3], s[4:5], 0x40
	v_lshl_add_u32 v3, v1, 4, v0
	s_add_u32 s4, s26, s44
	v_and_b32_e32 v9, 7, v0
	s_addc_u32 s5, s27, s45
	s_add_u32 s20, s20, s44
	v_lshrrev_b32_e32 v7, 3, v3
	v_lshrrev_b32_e32 v8, 5, v3
	v_and_b32_e32 v12, 31, v3
	v_lshlrev_b32_e32 v20, 3, v9
	s_load_dwordx2 s[4:5], s[4:5], 0x0
	v_add_co_u32 v5, s26, v7, s42
	v_add_co_ci_u32_e64 v6, null, 0, s43, s26
	v_mad_u64_u32 v[3:4], null, s22, v8, 0
	s_addc_u32 s21, s21, s45
	s_lshl_b64 s[6:7], s[6:7], 8
	s_load_dwordx2 s[20:21], s[20:21], 0x0
	s_waitcnt lgkmcnt(0)
	v_mul_lo_u32 v15, s1, v5
	v_mul_lo_u32 v17, s0, v6
	v_mad_u64_u32 v[18:19], null, s0, v5, 0
	v_mad_u64_u32 v[13:14], null, s23, v8, v[4:5]
	v_lshl_or_b32 v4, v7, 6, v20
	v_cmp_gt_i64_e64 s0, s[14:15], v[5:6]
	s_lshl_b64 s[2:3], s[2:3], 3
	s_lshl_b64 s[24:25], s[24:25], 3
	v_add3_u32 v19, v19, v17, v15
	v_add_nc_u32_e32 v14, 0x800, v4
	v_mov_b32_e32 v4, v13
	v_lshlrev_b32_e32 v16, 3, v12
	v_or_b32_e32 v10, s34, v12
	v_lshlrev_b64 v[5:6], 3, v[18:19]
	v_mov_b32_e32 v11, s35
	v_lshlrev_b64 v[3:4], 3, v[3:4]
	v_mov_b32_e32 v2, 0
	v_lshl_or_b32 v12, v8, 8, v16
	v_lshlrev_b32_e32 v15, 3, v0
	v_add_co_u32 v5, s1, v5, s2
	v_add_co_ci_u32_e64 v6, null, s3, v6, s1
	s_add_u32 s1, s24, s6
	s_addc_u32 s2, s25, s7
	v_add_co_u32 v3, s1, s1, v3
	v_add_co_ci_u32_e64 v4, null, s2, v4, s1
	v_add_co_u32 v5, s1, v5, v20
	v_add_co_ci_u32_e64 v6, null, 0, v6, s1
	;; [unrolled: 2-line block ×3, first 2 shown]
	v_add_co_u32 v4, s1, s4, v5
	v_cmp_gt_i64_e32 vcc_lo, s[12:13], v[10:11]
	v_add_co_ci_u32_e64 v5, null, s5, v6, s1
	v_add_co_u32 v6, s1, s20, v3
	v_lshl_add_u32 v17, v1, 6, 0x800
	v_add_co_ci_u32_e64 v7, null, s21, v7, s1
	v_mov_b32_e32 v11, 0
	v_mov_b32_e32 v10, 0
	;; [unrolled: 1-line block ×8, first 2 shown]
	s_lshl_b64 s[2:3], s[22:23], 6
	s_mov_b64 s[4:5], 0
	s_xor_b32 s1, vcc_lo, -1
	s_xor_b32 s0, s0, -1
	s_branch .LBB252_3
.LBB252_2:                              ;   in Loop: Header=BB252_3 Depth=1
	s_or_b32 exec_lo, exec_lo, s6
	s_waitcnt lgkmcnt(0)
	s_barrier
	buffer_gl0_inv
	ds_read_b128 v[22:25], v17
	ds_read2_b64 v[26:29], v15 offset1:16
	ds_read_b128 v[30:33], v17 offset:1024
	ds_read_b128 v[34:37], v17 offset:16
	;; [unrolled: 1-line block ×4, first 2 shown]
	ds_read2_b64 v[46:49], v15 offset0:32 offset1:48
	ds_read_b128 v[50:53], v17 offset:1040
	s_add_u32 s4, s4, 8
	s_addc_u32 s5, s5, 0
	v_add_co_u32 v4, vcc_lo, v4, 64
	v_cmp_lt_i64_e64 s6, s[4:5], s[16:17]
	v_add_co_ci_u32_e64 v5, null, 0, v5, vcc_lo
	v_add_co_u32 v6, vcc_lo, v6, s2
	v_add_co_ci_u32_e64 v7, null, s3, v7, vcc_lo
	s_and_b32 vcc_lo, exec_lo, s6
	s_waitcnt lgkmcnt(6)
	v_mul_f32_e32 v3, v23, v27
	v_mul_f32_e32 v54, v22, v27
	;; [unrolled: 1-line block ×4, first 2 shown]
	s_waitcnt lgkmcnt(5)
	v_mul_f32_e32 v57, v31, v27
	v_mul_f32_e32 v27, v30, v27
	;; [unrolled: 1-line block ×3, first 2 shown]
	v_fma_f32 v3, v22, v26, -v3
	v_fmac_f32_e32 v54, v23, v26
	v_fma_f32 v22, v22, v28, -v55
	v_fmac_f32_e32 v56, v23, v28
	v_fma_f32 v23, v30, v26, -v57
	v_mul_f32_e32 v29, v30, v29
	v_fmac_f32_e32 v27, v31, v26
	v_fma_f32 v26, v30, v28, -v58
	v_add_f32_e32 v3, v20, v3
	v_add_f32_e32 v30, v21, v54
	;; [unrolled: 1-line block ×5, first 2 shown]
	s_waitcnt lgkmcnt(1)
	v_mul_f32_e32 v23, v25, v47
	ds_read2_b64 v[18:21], v15 offset0:64 offset1:80
	v_add_f32_e32 v16, v16, v27
	v_mul_f32_e32 v27, v25, v49
	v_fmac_f32_e32 v29, v31, v28
	v_fma_f32 v23, v24, v46, -v23
	v_add_f32_e32 v10, v10, v26
	v_mul_f32_e32 v26, v24, v47
	v_mul_f32_e32 v28, v24, v49
	v_add_f32_e32 v11, v11, v29
	v_add_f32_e32 v3, v3, v23
	v_fma_f32 v23, v24, v48, -v27
	v_mul_f32_e32 v24, v33, v47
	v_fmac_f32_e32 v26, v25, v46
	v_fmac_f32_e32 v28, v25, v48
	v_mul_f32_e32 v25, v32, v47
	v_add_f32_e32 v27, v22, v23
	v_fma_f32 v22, v32, v46, -v24
	v_mul_f32_e32 v23, v33, v49
	v_add_f32_e32 v26, v30, v26
	v_fmac_f32_e32 v25, v33, v46
	v_mul_f32_e32 v29, v32, v49
	v_add_f32_e32 v13, v13, v22
	v_fma_f32 v22, v32, v48, -v23
	s_waitcnt lgkmcnt(0)
	v_mul_f32_e32 v23, v35, v19
	v_mul_f32_e32 v30, v34, v19
	;; [unrolled: 1-line block ×3, first 2 shown]
	v_add_f32_e32 v16, v16, v25
	v_add_f32_e32 v10, v10, v22
	v_fma_f32 v31, v34, v18, -v23
	ds_read2_b64 v[22:25], v15 offset0:96 offset1:112
	v_fmac_f32_e32 v30, v35, v18
	v_fmac_f32_e32 v29, v33, v48
	v_add_f32_e32 v28, v54, v28
	v_add_f32_e32 v3, v3, v31
	v_fma_f32 v31, v34, v20, -v32
	v_add_f32_e32 v26, v26, v30
	v_mul_f32_e32 v30, v51, v19
	v_mul_f32_e32 v19, v50, v19
	v_add_f32_e32 v11, v11, v29
	v_add_f32_e32 v27, v27, v31
	v_mul_f32_e32 v31, v51, v21
	v_mul_f32_e32 v29, v34, v21
	v_fma_f32 v30, v50, v18, -v30
	v_fmac_f32_e32 v19, v51, v18
	v_mul_f32_e32 v32, v50, v21
	v_fma_f32 v18, v50, v20, -v31
	v_fmac_f32_e32 v29, v35, v20
	v_add_f32_e32 v13, v13, v30
	v_add_f32_e32 v16, v16, v19
	v_fmac_f32_e32 v32, v51, v20
	v_add_f32_e32 v10, v10, v18
	ds_read2_b64 v[18:21], v15 offset0:128 offset1:144
	v_add_f32_e32 v33, v28, v29
	s_waitcnt lgkmcnt(1)
	v_mul_f32_e32 v28, v37, v23
	v_mul_f32_e32 v29, v36, v23
	v_mul_f32_e32 v30, v37, v25
	v_mul_f32_e32 v31, v36, v25
	v_add_f32_e32 v11, v11, v32
	v_fma_f32 v28, v36, v22, -v28
	v_fmac_f32_e32 v29, v37, v22
	v_fma_f32 v30, v36, v24, -v30
	v_fmac_f32_e32 v31, v37, v24
	v_mul_f32_e32 v32, v53, v25
	v_add_f32_e32 v3, v3, v28
	v_mul_f32_e32 v28, v53, v23
	v_mul_f32_e32 v23, v52, v23
	v_add_f32_e32 v34, v26, v29
	v_add_f32_e32 v35, v27, v30
	;; [unrolled: 1-line block ×3, first 2 shown]
	v_fma_f32 v30, v52, v22, -v28
	ds_read_b128 v[26:29], v17 offset:1056
	v_fmac_f32_e32 v23, v53, v22
	v_mul_f32_e32 v31, v52, v25
	v_fma_f32 v22, v52, v24, -v32
	s_waitcnt lgkmcnt(1)
	v_mul_f32_e32 v25, v39, v19
	v_add_f32_e32 v13, v13, v30
	v_add_f32_e32 v16, v16, v23
	v_fmac_f32_e32 v31, v53, v24
	v_add_f32_e32 v10, v10, v22
	v_fma_f32 v30, v38, v18, -v25
	ds_read2_b64 v[22:25], v15 offset0:160 offset1:176
	v_mul_f32_e32 v32, v39, v21
	v_mul_f32_e32 v37, v38, v19
	;; [unrolled: 1-line block ×3, first 2 shown]
	v_add_f32_e32 v11, v11, v31
	v_add_f32_e32 v3, v3, v30
	v_fma_f32 v38, v38, v20, -v32
	v_fmac_f32_e32 v37, v39, v18
	ds_read_b128 v[30:33], v17 offset:1072
	v_fmac_f32_e32 v46, v39, v20
	s_waitcnt lgkmcnt(2)
	v_mul_f32_e32 v47, v27, v19
	v_mul_f32_e32 v19, v26, v19
	v_add_f32_e32 v35, v35, v38
	v_mul_f32_e32 v38, v27, v21
	v_add_f32_e32 v34, v34, v37
	v_fma_f32 v37, v26, v18, -v47
	v_fmac_f32_e32 v19, v27, v18
	v_mul_f32_e32 v39, v26, v21
	v_fma_f32 v18, v26, v20, -v38
	v_add_f32_e32 v36, v36, v46
	s_waitcnt lgkmcnt(1)
	v_mul_f32_e32 v21, v41, v23
	v_add_f32_e32 v13, v13, v37
	v_add_f32_e32 v16, v16, v19
	v_fmac_f32_e32 v39, v27, v20
	v_mul_f32_e32 v26, v40, v23
	v_add_f32_e32 v10, v10, v18
	v_fma_f32 v27, v40, v22, -v21
	ds_read2_b64 v[18:21], v15 offset0:192 offset1:208
	v_mul_f32_e32 v37, v41, v25
	v_fmac_f32_e32 v26, v41, v22
	v_add_f32_e32 v11, v11, v39
	v_add_f32_e32 v3, v3, v27
	v_mul_f32_e32 v27, v40, v25
	v_fma_f32 v37, v40, v24, -v37
	v_add_f32_e32 v26, v34, v26
	v_mul_f32_e32 v34, v29, v23
	v_mul_f32_e32 v23, v28, v23
	v_fmac_f32_e32 v27, v41, v24
	v_add_f32_e32 v35, v35, v37
	v_mul_f32_e32 v37, v29, v25
	v_fma_f32 v34, v28, v22, -v34
	v_fmac_f32_e32 v23, v29, v22
	v_add_f32_e32 v27, v36, v27
	v_mul_f32_e32 v36, v28, v25
	v_fma_f32 v22, v28, v24, -v37
	v_add_f32_e32 v13, v13, v34
	v_add_f32_e32 v16, v16, v23
	s_waitcnt lgkmcnt(0)
	v_mul_f32_e32 v28, v43, v19
	v_fmac_f32_e32 v36, v29, v24
	v_add_f32_e32 v10, v10, v22
	ds_read2_b64 v[22:25], v15 offset0:224 offset1:240
	v_mul_f32_e32 v29, v42, v19
	v_fma_f32 v28, v42, v18, -v28
	v_mul_f32_e32 v34, v43, v21
	v_add_f32_e32 v11, v11, v36
	v_mul_f32_e32 v36, v42, v21
	v_fmac_f32_e32 v29, v43, v18
	v_add_f32_e32 v3, v3, v28
	v_mul_f32_e32 v28, v31, v19
	v_fma_f32 v34, v42, v20, -v34
	v_mul_f32_e32 v19, v30, v19
	v_add_f32_e32 v26, v26, v29
	v_fmac_f32_e32 v36, v43, v20
	v_fma_f32 v28, v30, v18, -v28
	v_add_f32_e32 v29, v35, v34
	v_mul_f32_e32 v34, v31, v21
	v_fmac_f32_e32 v19, v31, v18
	v_mul_f32_e32 v18, v30, v21
	v_add_f32_e32 v13, v13, v28
	v_add_f32_e32 v27, v27, v36
	v_fma_f32 v21, v30, v20, -v34
	s_waitcnt lgkmcnt(0)
	v_mul_f32_e32 v28, v45, v23
	v_mul_f32_e32 v30, v44, v23
	v_add_f32_e32 v16, v16, v19
	v_fmac_f32_e32 v18, v31, v20
	v_add_f32_e32 v10, v10, v21
	v_fma_f32 v19, v44, v22, -v28
	v_fmac_f32_e32 v30, v45, v22
	v_mul_f32_e32 v28, v45, v25
	v_mul_f32_e32 v31, v44, v25
	v_add_f32_e32 v11, v11, v18
	v_add_f32_e32 v20, v3, v19
	;; [unrolled: 1-line block ×3, first 2 shown]
	v_fma_f32 v3, v44, v24, -v28
	v_mul_f32_e32 v19, v33, v23
	v_mul_f32_e32 v23, v32, v23
	;; [unrolled: 1-line block ×4, first 2 shown]
	v_fmac_f32_e32 v31, v45, v24
	v_add_f32_e32 v18, v29, v3
	v_fma_f32 v3, v32, v22, -v19
	v_fmac_f32_e32 v23, v33, v22
	v_fma_f32 v22, v32, v24, -v26
	v_fmac_f32_e32 v25, v33, v24
	v_add_f32_e32 v19, v27, v31
	v_add_f32_e32 v13, v13, v3
	;; [unrolled: 1-line block ×5, first 2 shown]
	s_barrier
	buffer_gl0_inv
	s_cbranch_vccz .LBB252_11
.LBB252_3:                              ; =>This Inner Loop Header: Depth=1
	v_add_co_u32 v22, s6, v8, s4
	v_add_co_ci_u32_e64 v23, null, 0, s5, s6
	v_cmp_le_i64_e32 vcc_lo, s[16:17], v[22:23]
	s_or_b32 s6, s1, vcc_lo
	s_and_saveexec_b32 s7, s6
	s_xor_b32 s6, exec_lo, s7
; %bb.4:                                ;   in Loop: Header=BB252_3 Depth=1
	v_mov_b32_e32 v3, v2
	ds_write_b64 v12, v[2:3]
; %bb.5:                                ;   in Loop: Header=BB252_3 Depth=1
	s_andn2_saveexec_b32 s6, s6
	s_cbranch_execz .LBB252_7
; %bb.6:                                ;   in Loop: Header=BB252_3 Depth=1
	flat_load_dwordx2 v[22:23], v[6:7]
	s_waitcnt vmcnt(0) lgkmcnt(0)
	ds_write_b64 v12, v[22:23]
.LBB252_7:                              ;   in Loop: Header=BB252_3 Depth=1
	s_or_b32 exec_lo, exec_lo, s6
	v_add_co_u32 v22, s6, v9, s4
	v_add_co_ci_u32_e64 v23, null, 0, s5, s6
	v_cmp_le_i64_e32 vcc_lo, s[16:17], v[22:23]
	s_or_b32 s6, vcc_lo, s0
	s_and_saveexec_b32 s7, s6
	s_xor_b32 s6, exec_lo, s7
; %bb.8:                                ;   in Loop: Header=BB252_3 Depth=1
	v_mov_b32_e32 v3, v2
	ds_write_b64 v14, v[2:3]
; %bb.9:                                ;   in Loop: Header=BB252_3 Depth=1
	s_andn2_saveexec_b32 s6, s6
	s_cbranch_execz .LBB252_2
; %bb.10:                               ;   in Loop: Header=BB252_3 Depth=1
	flat_load_dwordx2 v[22:23], v[4:5]
	s_waitcnt vmcnt(0) lgkmcnt(0)
	ds_write_b64 v14, v[22:23]
	s_branch .LBB252_2
.LBB252_11:
	v_add_co_u32 v1, s2, s42, v1
	v_add_co_ci_u32_e64 v2, null, s43, 0, s2
	s_lshl_b64 s[0:1], s[30:31], 3
	s_waitcnt lgkmcnt(0)
	s_add_u32 s3, s36, s0
	s_addc_u32 s4, s37, s1
	s_or_b32 s1, s8, s9
	v_cmp_gt_i64_e64 s0, s[14:15], v[1:2]
	s_bitset0_b32 s1, 31
	s_cmp_lg_u32 s1, 0
	s_mov_b32 s1, -1
	s_cbranch_scc1 .LBB252_23
; %bb.12:
	s_and_saveexec_b32 s5, s0
	s_cbranch_execz .LBB252_22
; %bb.13:
	v_mul_lo_u32 v5, v2, s28
	v_mul_lo_u32 v6, v1, s29
	v_mad_u64_u32 v[3:4], null, v1, s28, 0
	v_add3_u32 v4, v4, v6, v5
	v_add_co_u32 v5, s1, s34, v0
	v_add_co_ci_u32_e64 v6, null, s35, 0, s1
	v_lshlrev_b64 v[7:8], 3, v[3:4]
	v_cmp_gt_i64_e32 vcc_lo, s[12:13], v[5:6]
	v_lshlrev_b64 v[3:4], 3, v[5:6]
	v_add_co_u32 v7, s1, s3, v7
	v_add_co_ci_u32_e64 v8, null, s4, v8, s1
	s_and_saveexec_b32 s2, vcc_lo
	s_cbranch_execz .LBB252_15
; %bb.14:
	v_mul_f32_e32 v9, s19, v21
	v_mul_f32_e32 v15, s18, v21
	v_add_co_u32 v22, s1, v7, v3
	v_add_co_ci_u32_e64 v23, null, v8, v4, s1
	v_fma_f32 v14, v20, s18, -v9
	v_fmac_f32_e32 v15, s19, v20
	flat_store_dwordx2 v[22:23], v[14:15]
.LBB252_15:
	s_or_b32 exec_lo, exec_lo, s2
	v_add_co_u32 v5, s1, v5, 16
	v_add_co_ci_u32_e64 v6, null, 0, v6, s1
	v_cmp_gt_i64_e64 s1, s[12:13], v[5:6]
	s_and_saveexec_b32 s6, s1
	s_cbranch_execz .LBB252_17
; %bb.16:
	v_mul_f32_e32 v5, s19, v19
	v_mul_f32_e32 v6, s18, v19
	v_add_co_u32 v14, s2, v7, v3
	v_add_co_ci_u32_e64 v15, null, v8, v4, s2
	v_fma_f32 v5, v18, s18, -v5
	v_fmac_f32_e32 v6, s19, v18
	flat_store_dwordx2 v[14:15], v[5:6] offset:128
.LBB252_17:
	s_or_b32 exec_lo, exec_lo, s6
	v_add_co_u32 v5, s2, v1, 16
	v_add_co_ci_u32_e64 v6, null, 0, v2, s2
	v_cmp_gt_i64_e64 s2, s[14:15], v[5:6]
	s_and_b32 exec_lo, exec_lo, s2
	s_cbranch_execz .LBB252_22
; %bb.18:
	s_lshl_b64 s[6:7], s[28:29], 7
	v_add_co_u32 v5, s2, v7, s6
	v_add_co_ci_u32_e64 v6, null, s7, v8, s2
	v_add_co_u32 v3, s2, v5, v3
	v_add_co_ci_u32_e64 v4, null, v6, v4, s2
	s_and_saveexec_b32 s2, vcc_lo
	s_cbranch_execz .LBB252_20
; %bb.19:
	v_mul_f32_e32 v5, s19, v16
	v_mul_f32_e32 v6, s18, v16
	v_fma_f32 v5, v13, s18, -v5
	v_fmac_f32_e32 v6, s19, v13
	flat_store_dwordx2 v[3:4], v[5:6]
.LBB252_20:
	s_or_b32 exec_lo, exec_lo, s2
	s_and_b32 exec_lo, exec_lo, s1
	s_cbranch_execz .LBB252_22
; %bb.21:
	v_mul_f32_e32 v5, s19, v11
	v_mul_f32_e32 v6, s18, v11
	v_fma_f32 v5, v10, s18, -v5
	v_fmac_f32_e32 v6, s19, v10
	flat_store_dwordx2 v[3:4], v[5:6] offset:128
.LBB252_22:
	s_or_b32 exec_lo, exec_lo, s5
	s_mov_b32 s1, 0
.LBB252_23:
	s_andn2_b32 vcc_lo, exec_lo, s1
	s_cbranch_vccnz .LBB252_34
; %bb.24:
	s_and_saveexec_b32 s1, s0
	s_cbranch_execz .LBB252_34
; %bb.25:
	v_mul_lo_u32 v5, v2, s38
	v_mul_lo_u32 v6, v1, s39
	v_mad_u64_u32 v[3:4], null, v1, s38, 0
	v_mul_lo_u32 v9, v2, s28
	v_mul_lo_u32 v12, v1, s29
	v_mad_u64_u32 v[7:8], null, v1, s28, 0
	s_lshl_b64 s[0:1], s[40:41], 3
	v_add3_u32 v4, v4, v6, v5
	v_add_co_u32 v5, s2, s34, v0
	v_add_co_ci_u32_e64 v6, null, s35, 0, s2
	v_add3_u32 v8, v8, v12, v9
	v_lshlrev_b64 v[3:4], 3, v[3:4]
	s_add_u32 s0, s10, s0
	s_addc_u32 s1, s11, s1
	v_cmp_gt_i64_e32 vcc_lo, s[12:13], v[5:6]
	v_lshlrev_b64 v[8:9], 3, v[7:8]
	v_add_co_u32 v0, s0, s0, v3
	v_add_co_ci_u32_e64 v7, null, s1, v4, s0
	v_add_co_u32 v8, s0, s3, v8
	v_lshlrev_b64 v[3:4], 3, v[5:6]
	v_add_co_ci_u32_e64 v9, null, s4, v9, s0
	s_and_saveexec_b32 s1, vcc_lo
	s_cbranch_execz .LBB252_27
; %bb.26:
	v_add_co_u32 v14, s0, v0, v3
	v_add_co_ci_u32_e64 v15, null, v7, v4, s0
	v_mul_f32_e32 v12, s19, v21
	v_mul_f32_e32 v17, s18, v21
	flat_load_dwordx2 v[14:15], v[14:15]
	v_fma_f32 v12, v20, s18, -v12
	v_fmac_f32_e32 v17, s19, v20
	s_waitcnt vmcnt(0) lgkmcnt(0)
	v_mul_f32_e32 v21, s9, v15
	v_mul_f32_e32 v15, s8, v15
	v_fma_f32 v20, v14, s8, -v21
	v_fmac_f32_e32 v15, s9, v14
	v_add_f32_e32 v14, v12, v20
	v_add_co_u32 v20, s0, v8, v3
	v_add_f32_e32 v15, v17, v15
	v_add_co_ci_u32_e64 v21, null, v9, v4, s0
	flat_store_dwordx2 v[20:21], v[14:15]
.LBB252_27:
	s_or_b32 exec_lo, exec_lo, s1
	v_add_co_u32 v5, s0, v5, 16
	v_add_co_ci_u32_e64 v6, null, 0, v6, s0
	v_cmp_gt_i64_e64 s0, s[12:13], v[5:6]
	s_and_saveexec_b32 s2, s0
	s_cbranch_execz .LBB252_29
; %bb.28:
	v_add_co_u32 v5, s1, v0, v3
	v_add_co_ci_u32_e64 v6, null, v7, v4, s1
	v_mul_f32_e32 v14, s18, v19
	v_mul_f32_e32 v12, s19, v19
	flat_load_dwordx2 v[5:6], v[5:6] offset:128
	v_fmac_f32_e32 v14, s19, v18
	v_fma_f32 v12, v18, s18, -v12
	s_waitcnt vmcnt(0) lgkmcnt(0)
	v_mul_f32_e32 v15, s9, v6
	v_mul_f32_e32 v6, s8, v6
	v_fma_f32 v15, v5, s8, -v15
	v_fmac_f32_e32 v6, s9, v5
	v_add_f32_e32 v5, v12, v15
	v_add_f32_e32 v6, v14, v6
	v_add_co_u32 v14, s1, v8, v3
	v_add_co_ci_u32_e64 v15, null, v9, v4, s1
	flat_store_dwordx2 v[14:15], v[5:6] offset:128
.LBB252_29:
	s_or_b32 exec_lo, exec_lo, s2
	v_add_co_u32 v1, s1, v1, 16
	v_add_co_ci_u32_e64 v2, null, 0, v2, s1
	v_cmp_gt_i64_e64 s1, s[14:15], v[1:2]
	s_and_b32 exec_lo, exec_lo, s1
	s_cbranch_execz .LBB252_34
; %bb.30:
	s_lshl_b64 s[2:3], s[38:39], 7
	v_add_co_u32 v0, s1, v0, s2
	v_add_co_ci_u32_e64 v1, null, s3, v7, s1
	s_lshl_b64 s[2:3], s[28:29], 7
	v_add_co_u32 v2, s1, v8, s2
	v_add_co_ci_u32_e64 v7, null, s3, v9, s1
	v_add_co_u32 v5, s1, v0, v3
	v_add_co_ci_u32_e64 v6, null, v1, v4, s1
	;; [unrolled: 2-line block ×3, first 2 shown]
	s_and_saveexec_b32 s1, vcc_lo
	s_cbranch_execz .LBB252_32
; %bb.31:
	flat_load_dwordx2 v[2:3], v[5:6]
	v_mul_f32_e32 v4, s19, v16
	v_mul_f32_e32 v7, s18, v16
	v_fma_f32 v4, v13, s18, -v4
	v_fmac_f32_e32 v7, s19, v13
	s_waitcnt vmcnt(0) lgkmcnt(0)
	v_mul_f32_e32 v8, s9, v3
	v_mul_f32_e32 v3, s8, v3
	v_fma_f32 v8, v2, s8, -v8
	v_fmac_f32_e32 v3, s9, v2
	v_add_f32_e32 v2, v4, v8
	v_add_f32_e32 v3, v7, v3
	flat_store_dwordx2 v[0:1], v[2:3]
.LBB252_32:
	s_or_b32 exec_lo, exec_lo, s1
	s_and_b32 exec_lo, exec_lo, s0
	s_cbranch_execz .LBB252_34
; %bb.33:
	flat_load_dwordx2 v[2:3], v[5:6] offset:128
	v_mul_f32_e32 v4, s19, v11
	v_mul_f32_e32 v5, s18, v11
	v_fma_f32 v4, v10, s18, -v4
	v_fmac_f32_e32 v5, s19, v10
	s_waitcnt vmcnt(0) lgkmcnt(0)
	v_mul_f32_e32 v6, s9, v3
	v_mul_f32_e32 v3, s8, v3
	v_fma_f32 v6, v2, s8, -v6
	v_fmac_f32_e32 v3, s9, v2
	v_add_f32_e32 v2, v4, v6
	v_add_f32_e32 v3, v5, v3
	flat_store_dwordx2 v[0:1], v[2:3] offset:128
.LBB252_34:
	s_endpgm
	.section	.rodata,"a",@progbits
	.p2align	6, 0x0
	.amdhsa_kernel _ZN12_GLOBAL__N_135rocblas_gemm_batched_general_kernelI19rocblas_complex_numIfELi16ELi16ELi32ELi32ELi8ELi32ELi8ELi8ELi32ELc78ELc78EKPKS2_S5_KPS2_EEvlllT_PT11_llSA_llS8_PT12_llPT13_lli
		.amdhsa_group_segment_fixed_size 4096
		.amdhsa_private_segment_fixed_size 0
		.amdhsa_kernarg_size 140
		.amdhsa_user_sgpr_count 6
		.amdhsa_user_sgpr_private_segment_buffer 1
		.amdhsa_user_sgpr_dispatch_ptr 0
		.amdhsa_user_sgpr_queue_ptr 0
		.amdhsa_user_sgpr_kernarg_segment_ptr 1
		.amdhsa_user_sgpr_dispatch_id 0
		.amdhsa_user_sgpr_flat_scratch_init 0
		.amdhsa_user_sgpr_private_segment_size 0
		.amdhsa_wavefront_size32 1
		.amdhsa_uses_dynamic_stack 0
		.amdhsa_system_sgpr_private_segment_wavefront_offset 0
		.amdhsa_system_sgpr_workgroup_id_x 1
		.amdhsa_system_sgpr_workgroup_id_y 1
		.amdhsa_system_sgpr_workgroup_id_z 1
		.amdhsa_system_sgpr_workgroup_info 0
		.amdhsa_system_vgpr_workitem_id 1
		.amdhsa_next_free_vgpr 59
		.amdhsa_next_free_sgpr 46
		.amdhsa_reserve_vcc 1
		.amdhsa_reserve_flat_scratch 0
		.amdhsa_float_round_mode_32 0
		.amdhsa_float_round_mode_16_64 0
		.amdhsa_float_denorm_mode_32 3
		.amdhsa_float_denorm_mode_16_64 3
		.amdhsa_dx10_clamp 1
		.amdhsa_ieee_mode 1
		.amdhsa_fp16_overflow 0
		.amdhsa_workgroup_processor_mode 1
		.amdhsa_memory_ordered 1
		.amdhsa_forward_progress 1
		.amdhsa_shared_vgpr_count 0
		.amdhsa_exception_fp_ieee_invalid_op 0
		.amdhsa_exception_fp_denorm_src 0
		.amdhsa_exception_fp_ieee_div_zero 0
		.amdhsa_exception_fp_ieee_overflow 0
		.amdhsa_exception_fp_ieee_underflow 0
		.amdhsa_exception_fp_ieee_inexact 0
		.amdhsa_exception_int_div_zero 0
	.end_amdhsa_kernel
	.section	.text._ZN12_GLOBAL__N_135rocblas_gemm_batched_general_kernelI19rocblas_complex_numIfELi16ELi16ELi32ELi32ELi8ELi32ELi8ELi8ELi32ELc78ELc78EKPKS2_S5_KPS2_EEvlllT_PT11_llSA_llS8_PT12_llPT13_lli,"axG",@progbits,_ZN12_GLOBAL__N_135rocblas_gemm_batched_general_kernelI19rocblas_complex_numIfELi16ELi16ELi32ELi32ELi8ELi32ELi8ELi8ELi32ELc78ELc78EKPKS2_S5_KPS2_EEvlllT_PT11_llSA_llS8_PT12_llPT13_lli,comdat
.Lfunc_end252:
	.size	_ZN12_GLOBAL__N_135rocblas_gemm_batched_general_kernelI19rocblas_complex_numIfELi16ELi16ELi32ELi32ELi8ELi32ELi8ELi8ELi32ELc78ELc78EKPKS2_S5_KPS2_EEvlllT_PT11_llSA_llS8_PT12_llPT13_lli, .Lfunc_end252-_ZN12_GLOBAL__N_135rocblas_gemm_batched_general_kernelI19rocblas_complex_numIfELi16ELi16ELi32ELi32ELi8ELi32ELi8ELi8ELi32ELc78ELc78EKPKS2_S5_KPS2_EEvlllT_PT11_llSA_llS8_PT12_llPT13_lli
                                        ; -- End function
	.set _ZN12_GLOBAL__N_135rocblas_gemm_batched_general_kernelI19rocblas_complex_numIfELi16ELi16ELi32ELi32ELi8ELi32ELi8ELi8ELi32ELc78ELc78EKPKS2_S5_KPS2_EEvlllT_PT11_llSA_llS8_PT12_llPT13_lli.num_vgpr, 59
	.set _ZN12_GLOBAL__N_135rocblas_gemm_batched_general_kernelI19rocblas_complex_numIfELi16ELi16ELi32ELi32ELi8ELi32ELi8ELi8ELi32ELc78ELc78EKPKS2_S5_KPS2_EEvlllT_PT11_llSA_llS8_PT12_llPT13_lli.num_agpr, 0
	.set _ZN12_GLOBAL__N_135rocblas_gemm_batched_general_kernelI19rocblas_complex_numIfELi16ELi16ELi32ELi32ELi8ELi32ELi8ELi8ELi32ELc78ELc78EKPKS2_S5_KPS2_EEvlllT_PT11_llSA_llS8_PT12_llPT13_lli.numbered_sgpr, 46
	.set _ZN12_GLOBAL__N_135rocblas_gemm_batched_general_kernelI19rocblas_complex_numIfELi16ELi16ELi32ELi32ELi8ELi32ELi8ELi8ELi32ELc78ELc78EKPKS2_S5_KPS2_EEvlllT_PT11_llSA_llS8_PT12_llPT13_lli.num_named_barrier, 0
	.set _ZN12_GLOBAL__N_135rocblas_gemm_batched_general_kernelI19rocblas_complex_numIfELi16ELi16ELi32ELi32ELi8ELi32ELi8ELi8ELi32ELc78ELc78EKPKS2_S5_KPS2_EEvlllT_PT11_llSA_llS8_PT12_llPT13_lli.private_seg_size, 0
	.set _ZN12_GLOBAL__N_135rocblas_gemm_batched_general_kernelI19rocblas_complex_numIfELi16ELi16ELi32ELi32ELi8ELi32ELi8ELi8ELi32ELc78ELc78EKPKS2_S5_KPS2_EEvlllT_PT11_llSA_llS8_PT12_llPT13_lli.uses_vcc, 1
	.set _ZN12_GLOBAL__N_135rocblas_gemm_batched_general_kernelI19rocblas_complex_numIfELi16ELi16ELi32ELi32ELi8ELi32ELi8ELi8ELi32ELc78ELc78EKPKS2_S5_KPS2_EEvlllT_PT11_llSA_llS8_PT12_llPT13_lli.uses_flat_scratch, 0
	.set _ZN12_GLOBAL__N_135rocblas_gemm_batched_general_kernelI19rocblas_complex_numIfELi16ELi16ELi32ELi32ELi8ELi32ELi8ELi8ELi32ELc78ELc78EKPKS2_S5_KPS2_EEvlllT_PT11_llSA_llS8_PT12_llPT13_lli.has_dyn_sized_stack, 0
	.set _ZN12_GLOBAL__N_135rocblas_gemm_batched_general_kernelI19rocblas_complex_numIfELi16ELi16ELi32ELi32ELi8ELi32ELi8ELi8ELi32ELc78ELc78EKPKS2_S5_KPS2_EEvlllT_PT11_llSA_llS8_PT12_llPT13_lli.has_recursion, 0
	.set _ZN12_GLOBAL__N_135rocblas_gemm_batched_general_kernelI19rocblas_complex_numIfELi16ELi16ELi32ELi32ELi8ELi32ELi8ELi8ELi32ELc78ELc78EKPKS2_S5_KPS2_EEvlllT_PT11_llSA_llS8_PT12_llPT13_lli.has_indirect_call, 0
	.section	.AMDGPU.csdata,"",@progbits
; Kernel info:
; codeLenInByte = 2964
; TotalNumSgprs: 48
; NumVgprs: 59
; ScratchSize: 0
; MemoryBound: 1
; FloatMode: 240
; IeeeMode: 1
; LDSByteSize: 4096 bytes/workgroup (compile time only)
; SGPRBlocks: 0
; VGPRBlocks: 7
; NumSGPRsForWavesPerEU: 48
; NumVGPRsForWavesPerEU: 59
; Occupancy: 16
; WaveLimiterHint : 1
; COMPUTE_PGM_RSRC2:SCRATCH_EN: 0
; COMPUTE_PGM_RSRC2:USER_SGPR: 6
; COMPUTE_PGM_RSRC2:TRAP_HANDLER: 0
; COMPUTE_PGM_RSRC2:TGID_X_EN: 1
; COMPUTE_PGM_RSRC2:TGID_Y_EN: 1
; COMPUTE_PGM_RSRC2:TGID_Z_EN: 1
; COMPUTE_PGM_RSRC2:TIDIG_COMP_CNT: 1
	.section	.text._ZN12_GLOBAL__N_135rocblas_gemm_batched_general_kernelI19rocblas_complex_numIfELi16ELi16ELi32ELi32ELi8ELi32ELi8ELi8ELi32ELc84ELc78EKPKS2_S5_KPS2_EEvlllT_PT11_llSA_llS8_PT12_llPT13_lli,"axG",@progbits,_ZN12_GLOBAL__N_135rocblas_gemm_batched_general_kernelI19rocblas_complex_numIfELi16ELi16ELi32ELi32ELi8ELi32ELi8ELi8ELi32ELc84ELc78EKPKS2_S5_KPS2_EEvlllT_PT11_llSA_llS8_PT12_llPT13_lli,comdat
	.globl	_ZN12_GLOBAL__N_135rocblas_gemm_batched_general_kernelI19rocblas_complex_numIfELi16ELi16ELi32ELi32ELi8ELi32ELi8ELi8ELi32ELc84ELc78EKPKS2_S5_KPS2_EEvlllT_PT11_llSA_llS8_PT12_llPT13_lli ; -- Begin function _ZN12_GLOBAL__N_135rocblas_gemm_batched_general_kernelI19rocblas_complex_numIfELi16ELi16ELi32ELi32ELi8ELi32ELi8ELi8ELi32ELc84ELc78EKPKS2_S5_KPS2_EEvlllT_PT11_llSA_llS8_PT12_llPT13_lli
	.p2align	8
	.type	_ZN12_GLOBAL__N_135rocblas_gemm_batched_general_kernelI19rocblas_complex_numIfELi16ELi16ELi32ELi32ELi8ELi32ELi8ELi8ELi32ELc84ELc78EKPKS2_S5_KPS2_EEvlllT_PT11_llSA_llS8_PT12_llPT13_lli,@function
_ZN12_GLOBAL__N_135rocblas_gemm_batched_general_kernelI19rocblas_complex_numIfELi16ELi16ELi32ELi32ELi8ELi32ELi8ELi8ELi32ELc84ELc78EKPKS2_S5_KPS2_EEvlllT_PT11_llSA_llS8_PT12_llPT13_lli: ; @_ZN12_GLOBAL__N_135rocblas_gemm_batched_general_kernelI19rocblas_complex_numIfELi16ELi16ELi32ELi32ELi8ELi32ELi8ELi8ELi32ELc84ELc78EKPKS2_S5_KPS2_EEvlllT_PT11_llSA_llS8_PT12_llPT13_lli
; %bb.0:
	s_clause 0x1
	s_load_dwordx8 s[36:43], s[4:5], 0x58
	s_load_dwordx16 s[12:27], s[4:5], 0x0
	s_mov_b32 s9, 0
	s_load_dwordx4 s[28:31], s[4:5], 0x78
	s_lshl_b64 s[44:45], s[8:9], 3
	s_load_dwordx2 s[8:9], s[4:5], 0x50
	s_mov_b32 s0, s7
	v_mov_b32_e32 v20, 0
	v_mov_b32_e32 v21, 0
	;; [unrolled: 1-line block ×8, first 2 shown]
	s_waitcnt lgkmcnt(0)
	s_add_u32 s2, s36, s44
	s_addc_u32 s3, s37, s45
	s_add_u32 s34, s42, s44
	s_addc_u32 s35, s43, s45
	s_load_dwordx2 s[10:11], s[2:3], 0x0
	s_load_dwordx2 s[34:35], s[34:35], 0x0
	v_cmp_lt_i64_e64 s2, s[16:17], 1
	s_ashr_i32 s7, s6, 31
	s_ashr_i32 s1, s0, 31
	s_lshl_b64 s[6:7], s[6:7], 5
	s_lshl_b64 s[36:37], s[0:1], 5
	s_and_b32 vcc_lo, exec_lo, s2
	s_cbranch_vccnz .LBB253_11
; %bb.1:
	s_load_dwordx4 s[0:3], s[4:5], 0x40
	v_lshl_add_u32 v3, v1, 4, v0
	s_add_u32 s4, s26, s44
	v_and_b32_e32 v8, 7, v0
	v_mov_b32_e32 v4, s7
	s_addc_u32 s5, s27, s45
	v_lshrrev_b32_e32 v7, 3, v3
	v_and_b32_e32 v10, 31, v3
	v_lshrrev_b32_e32 v9, 5, v3
	s_add_u32 s20, s20, s44
	s_load_dwordx2 s[4:5], s[4:5], 0x0
	v_add_co_u32 v5, s26, v7, s36
	v_add_co_ci_u32_e64 v6, null, 0, s37, s26
	v_or_b32_e32 v3, s6, v10
	v_lshlrev_b32_e32 v13, 3, v10
	s_addc_u32 s21, s21, s45
	v_lshlrev_b32_e32 v12, 3, v8
	s_load_dwordx2 s[20:21], s[20:21], 0x0
	s_waitcnt lgkmcnt(0)
	v_mul_lo_u32 v14, s1, v5
	v_add_co_u32 v15, s1, s6, v10
	v_add_co_ci_u32_e64 v16, null, s7, 0, s1
	v_mul_lo_u32 v17, s0, v6
	v_mad_u64_u32 v[10:11], null, s0, v5, 0
	v_mul_lo_u32 v20, s23, v15
	v_mul_lo_u32 v16, s22, v16
	v_mad_u64_u32 v[18:19], null, s22, v15, 0
	v_cmp_gt_i64_e32 vcc_lo, s[12:13], v[3:4]
	v_cmp_gt_i64_e64 s0, s[14:15], v[5:6]
	v_add3_u32 v11, v11, v17, v14
	s_lshl_b64 s[2:3], s[2:3], 3
	v_lshl_or_b32 v7, v7, 6, v12
	v_mov_b32_e32 v2, 0
	v_add3_u32 v19, v19, v16, v20
	v_lshlrev_b64 v[3:4], 3, v[10:11]
	v_lshl_or_b32 v13, v9, 8, v13
	v_add_nc_u32_e32 v14, 0x800, v7
	v_lshlrev_b32_e32 v7, 3, v9
	v_lshlrev_b64 v[5:6], 3, v[18:19]
	v_lshlrev_b32_e32 v16, 3, v0
	v_add_co_u32 v3, s1, v3, s2
	v_add_co_ci_u32_e64 v4, null, s3, v4, s1
	s_lshl_b64 s[2:3], s[24:25], 3
	v_lshl_add_u32 v17, v1, 6, 0x800
	v_add_co_u32 v5, s1, v5, s2
	v_add_co_ci_u32_e64 v6, null, s3, v6, s1
	v_add_co_u32 v3, s1, v3, v12
	v_add_co_ci_u32_e64 v10, null, 0, v4, s1
	;; [unrolled: 2-line block ×5, first 2 shown]
	v_mov_b32_e32 v11, 0
	v_mov_b32_e32 v10, 0
	;; [unrolled: 1-line block ×8, first 2 shown]
	s_mov_b64 s[2:3], 0
	s_xor_b32 s1, vcc_lo, -1
	s_xor_b32 s0, s0, -1
	s_branch .LBB253_3
.LBB253_2:                              ;   in Loop: Header=BB253_3 Depth=1
	s_or_b32 exec_lo, exec_lo, s4
	s_waitcnt lgkmcnt(0)
	s_barrier
	buffer_gl0_inv
	ds_read_b128 v[22:25], v17
	ds_read2_b64 v[26:29], v16 offset1:16
	ds_read_b128 v[30:33], v17 offset:1024
	ds_read_b128 v[34:37], v17 offset:16
	ds_read_b128 v[38:41], v17 offset:32
	ds_read_b128 v[42:45], v17 offset:48
	ds_read2_b64 v[46:49], v16 offset0:32 offset1:48
	ds_read_b128 v[50:53], v17 offset:1040
	s_add_u32 s2, s2, 8
	s_addc_u32 s3, s3, 0
	v_add_co_u32 v4, vcc_lo, v4, 64
	v_cmp_lt_i64_e64 s4, s[2:3], s[16:17]
	v_add_co_ci_u32_e64 v5, null, 0, v5, vcc_lo
	v_add_co_u32 v6, vcc_lo, v6, 64
	v_add_co_ci_u32_e64 v7, null, 0, v7, vcc_lo
	s_and_b32 vcc_lo, exec_lo, s4
	s_waitcnt lgkmcnt(6)
	v_mul_f32_e32 v3, v23, v27
	v_mul_f32_e32 v54, v22, v27
	;; [unrolled: 1-line block ×4, first 2 shown]
	s_waitcnt lgkmcnt(5)
	v_mul_f32_e32 v57, v31, v27
	v_mul_f32_e32 v27, v30, v27
	;; [unrolled: 1-line block ×3, first 2 shown]
	v_fma_f32 v3, v22, v26, -v3
	v_fmac_f32_e32 v54, v23, v26
	v_fma_f32 v22, v22, v28, -v55
	v_fmac_f32_e32 v56, v23, v28
	v_fma_f32 v23, v30, v26, -v57
	v_mul_f32_e32 v29, v30, v29
	v_fmac_f32_e32 v27, v31, v26
	v_fma_f32 v26, v30, v28, -v58
	v_add_f32_e32 v3, v20, v3
	v_add_f32_e32 v30, v21, v54
	;; [unrolled: 1-line block ×5, first 2 shown]
	s_waitcnt lgkmcnt(1)
	v_mul_f32_e32 v23, v25, v47
	ds_read2_b64 v[18:21], v16 offset0:64 offset1:80
	v_add_f32_e32 v15, v15, v27
	v_mul_f32_e32 v27, v25, v49
	v_fmac_f32_e32 v29, v31, v28
	v_fma_f32 v23, v24, v46, -v23
	v_add_f32_e32 v10, v10, v26
	v_mul_f32_e32 v26, v24, v47
	v_mul_f32_e32 v28, v24, v49
	v_add_f32_e32 v11, v11, v29
	v_add_f32_e32 v3, v3, v23
	v_fma_f32 v23, v24, v48, -v27
	v_mul_f32_e32 v24, v33, v47
	v_fmac_f32_e32 v26, v25, v46
	v_fmac_f32_e32 v28, v25, v48
	v_mul_f32_e32 v25, v32, v47
	v_add_f32_e32 v27, v22, v23
	v_fma_f32 v22, v32, v46, -v24
	v_mul_f32_e32 v23, v33, v49
	v_add_f32_e32 v26, v30, v26
	v_fmac_f32_e32 v25, v33, v46
	v_mul_f32_e32 v29, v32, v49
	v_add_f32_e32 v12, v12, v22
	v_fma_f32 v22, v32, v48, -v23
	s_waitcnt lgkmcnt(0)
	v_mul_f32_e32 v23, v35, v19
	v_mul_f32_e32 v30, v34, v19
	;; [unrolled: 1-line block ×3, first 2 shown]
	v_add_f32_e32 v15, v15, v25
	v_add_f32_e32 v10, v10, v22
	v_fma_f32 v31, v34, v18, -v23
	ds_read2_b64 v[22:25], v16 offset0:96 offset1:112
	v_fmac_f32_e32 v30, v35, v18
	v_fmac_f32_e32 v29, v33, v48
	v_add_f32_e32 v28, v54, v28
	v_add_f32_e32 v3, v3, v31
	v_fma_f32 v31, v34, v20, -v32
	v_add_f32_e32 v26, v26, v30
	v_mul_f32_e32 v30, v51, v19
	v_mul_f32_e32 v19, v50, v19
	v_add_f32_e32 v11, v11, v29
	v_add_f32_e32 v27, v27, v31
	v_mul_f32_e32 v31, v51, v21
	v_mul_f32_e32 v29, v34, v21
	v_fma_f32 v30, v50, v18, -v30
	v_fmac_f32_e32 v19, v51, v18
	v_mul_f32_e32 v32, v50, v21
	v_fma_f32 v18, v50, v20, -v31
	v_fmac_f32_e32 v29, v35, v20
	v_add_f32_e32 v12, v12, v30
	v_add_f32_e32 v15, v15, v19
	v_fmac_f32_e32 v32, v51, v20
	v_add_f32_e32 v10, v10, v18
	ds_read2_b64 v[18:21], v16 offset0:128 offset1:144
	v_add_f32_e32 v33, v28, v29
	s_waitcnt lgkmcnt(1)
	v_mul_f32_e32 v28, v37, v23
	v_mul_f32_e32 v29, v36, v23
	;; [unrolled: 1-line block ×4, first 2 shown]
	v_add_f32_e32 v11, v11, v32
	v_fma_f32 v28, v36, v22, -v28
	v_fmac_f32_e32 v29, v37, v22
	v_fma_f32 v30, v36, v24, -v30
	v_fmac_f32_e32 v31, v37, v24
	v_mul_f32_e32 v32, v53, v25
	v_add_f32_e32 v3, v3, v28
	v_mul_f32_e32 v28, v53, v23
	v_mul_f32_e32 v23, v52, v23
	v_add_f32_e32 v34, v26, v29
	v_add_f32_e32 v35, v27, v30
	;; [unrolled: 1-line block ×3, first 2 shown]
	v_fma_f32 v30, v52, v22, -v28
	ds_read_b128 v[26:29], v17 offset:1056
	v_fmac_f32_e32 v23, v53, v22
	v_mul_f32_e32 v31, v52, v25
	v_fma_f32 v22, v52, v24, -v32
	s_waitcnt lgkmcnt(1)
	v_mul_f32_e32 v25, v39, v19
	v_add_f32_e32 v12, v12, v30
	v_add_f32_e32 v15, v15, v23
	v_fmac_f32_e32 v31, v53, v24
	v_add_f32_e32 v10, v10, v22
	v_fma_f32 v30, v38, v18, -v25
	ds_read2_b64 v[22:25], v16 offset0:160 offset1:176
	v_mul_f32_e32 v32, v39, v21
	v_mul_f32_e32 v37, v38, v19
	;; [unrolled: 1-line block ×3, first 2 shown]
	v_add_f32_e32 v11, v11, v31
	v_add_f32_e32 v3, v3, v30
	v_fma_f32 v38, v38, v20, -v32
	v_fmac_f32_e32 v37, v39, v18
	ds_read_b128 v[30:33], v17 offset:1072
	v_fmac_f32_e32 v46, v39, v20
	s_waitcnt lgkmcnt(2)
	v_mul_f32_e32 v47, v27, v19
	v_mul_f32_e32 v19, v26, v19
	v_add_f32_e32 v35, v35, v38
	v_mul_f32_e32 v38, v27, v21
	v_add_f32_e32 v34, v34, v37
	v_fma_f32 v37, v26, v18, -v47
	v_fmac_f32_e32 v19, v27, v18
	v_mul_f32_e32 v39, v26, v21
	v_fma_f32 v18, v26, v20, -v38
	v_add_f32_e32 v36, v36, v46
	s_waitcnt lgkmcnt(1)
	v_mul_f32_e32 v21, v41, v23
	v_add_f32_e32 v12, v12, v37
	v_add_f32_e32 v15, v15, v19
	v_fmac_f32_e32 v39, v27, v20
	v_mul_f32_e32 v26, v40, v23
	v_add_f32_e32 v10, v10, v18
	v_fma_f32 v27, v40, v22, -v21
	ds_read2_b64 v[18:21], v16 offset0:192 offset1:208
	v_mul_f32_e32 v37, v41, v25
	v_fmac_f32_e32 v26, v41, v22
	v_add_f32_e32 v11, v11, v39
	v_add_f32_e32 v3, v3, v27
	v_mul_f32_e32 v27, v40, v25
	v_fma_f32 v37, v40, v24, -v37
	v_add_f32_e32 v26, v34, v26
	v_mul_f32_e32 v34, v29, v23
	v_mul_f32_e32 v23, v28, v23
	v_fmac_f32_e32 v27, v41, v24
	v_add_f32_e32 v35, v35, v37
	v_mul_f32_e32 v37, v29, v25
	v_fma_f32 v34, v28, v22, -v34
	v_fmac_f32_e32 v23, v29, v22
	v_add_f32_e32 v27, v36, v27
	v_mul_f32_e32 v36, v28, v25
	v_fma_f32 v22, v28, v24, -v37
	v_add_f32_e32 v12, v12, v34
	v_add_f32_e32 v15, v15, v23
	s_waitcnt lgkmcnt(0)
	v_mul_f32_e32 v28, v43, v19
	v_fmac_f32_e32 v36, v29, v24
	v_add_f32_e32 v10, v10, v22
	ds_read2_b64 v[22:25], v16 offset0:224 offset1:240
	v_mul_f32_e32 v29, v42, v19
	v_fma_f32 v28, v42, v18, -v28
	v_mul_f32_e32 v34, v43, v21
	v_add_f32_e32 v11, v11, v36
	v_mul_f32_e32 v36, v42, v21
	v_fmac_f32_e32 v29, v43, v18
	v_add_f32_e32 v3, v3, v28
	v_mul_f32_e32 v28, v31, v19
	v_fma_f32 v34, v42, v20, -v34
	v_mul_f32_e32 v19, v30, v19
	v_add_f32_e32 v26, v26, v29
	v_fmac_f32_e32 v36, v43, v20
	v_fma_f32 v28, v30, v18, -v28
	v_add_f32_e32 v29, v35, v34
	v_mul_f32_e32 v34, v31, v21
	v_fmac_f32_e32 v19, v31, v18
	v_mul_f32_e32 v18, v30, v21
	v_add_f32_e32 v12, v12, v28
	v_add_f32_e32 v27, v27, v36
	v_fma_f32 v21, v30, v20, -v34
	s_waitcnt lgkmcnt(0)
	v_mul_f32_e32 v28, v45, v23
	v_mul_f32_e32 v30, v44, v23
	v_add_f32_e32 v15, v15, v19
	v_fmac_f32_e32 v18, v31, v20
	v_add_f32_e32 v10, v10, v21
	v_fma_f32 v19, v44, v22, -v28
	v_fmac_f32_e32 v30, v45, v22
	v_mul_f32_e32 v28, v45, v25
	v_mul_f32_e32 v31, v44, v25
	v_add_f32_e32 v11, v11, v18
	v_add_f32_e32 v20, v3, v19
	;; [unrolled: 1-line block ×3, first 2 shown]
	v_fma_f32 v3, v44, v24, -v28
	v_mul_f32_e32 v19, v33, v23
	v_mul_f32_e32 v23, v32, v23
	;; [unrolled: 1-line block ×4, first 2 shown]
	v_fmac_f32_e32 v31, v45, v24
	v_add_f32_e32 v18, v29, v3
	v_fma_f32 v3, v32, v22, -v19
	v_fmac_f32_e32 v23, v33, v22
	v_fma_f32 v22, v32, v24, -v26
	v_fmac_f32_e32 v25, v33, v24
	v_add_f32_e32 v19, v27, v31
	v_add_f32_e32 v12, v12, v3
	;; [unrolled: 1-line block ×5, first 2 shown]
	s_barrier
	buffer_gl0_inv
	s_cbranch_vccz .LBB253_11
.LBB253_3:                              ; =>This Inner Loop Header: Depth=1
	v_add_co_u32 v22, s4, v9, s2
	v_add_co_ci_u32_e64 v23, null, 0, s3, s4
	v_cmp_le_i64_e32 vcc_lo, s[16:17], v[22:23]
	s_or_b32 s4, s1, vcc_lo
	s_and_saveexec_b32 s5, s4
	s_xor_b32 s4, exec_lo, s5
; %bb.4:                                ;   in Loop: Header=BB253_3 Depth=1
	v_mov_b32_e32 v3, v2
	ds_write_b64 v13, v[2:3]
; %bb.5:                                ;   in Loop: Header=BB253_3 Depth=1
	s_andn2_saveexec_b32 s4, s4
	s_cbranch_execz .LBB253_7
; %bb.6:                                ;   in Loop: Header=BB253_3 Depth=1
	flat_load_dwordx2 v[22:23], v[6:7]
	s_waitcnt vmcnt(0) lgkmcnt(0)
	ds_write_b64 v13, v[22:23]
.LBB253_7:                              ;   in Loop: Header=BB253_3 Depth=1
	s_or_b32 exec_lo, exec_lo, s4
	v_add_co_u32 v22, s4, v8, s2
	v_add_co_ci_u32_e64 v23, null, 0, s3, s4
	v_cmp_le_i64_e32 vcc_lo, s[16:17], v[22:23]
	s_or_b32 s4, vcc_lo, s0
	s_and_saveexec_b32 s5, s4
	s_xor_b32 s4, exec_lo, s5
; %bb.8:                                ;   in Loop: Header=BB253_3 Depth=1
	v_mov_b32_e32 v3, v2
	ds_write_b64 v14, v[2:3]
; %bb.9:                                ;   in Loop: Header=BB253_3 Depth=1
	s_andn2_saveexec_b32 s4, s4
	s_cbranch_execz .LBB253_2
; %bb.10:                               ;   in Loop: Header=BB253_3 Depth=1
	flat_load_dwordx2 v[22:23], v[4:5]
	s_waitcnt vmcnt(0) lgkmcnt(0)
	ds_write_b64 v14, v[22:23]
	s_branch .LBB253_2
.LBB253_11:
	v_add_co_u32 v1, s2, s36, v1
	v_add_co_ci_u32_e64 v2, null, s37, 0, s2
	s_lshl_b64 s[0:1], s[30:31], 3
	s_waitcnt lgkmcnt(0)
	s_add_u32 s3, s34, s0
	s_addc_u32 s4, s35, s1
	s_or_b32 s1, s8, s9
	v_cmp_gt_i64_e64 s0, s[14:15], v[1:2]
	s_bitset0_b32 s1, 31
	s_cmp_lg_u32 s1, 0
	s_mov_b32 s1, -1
	s_cbranch_scc1 .LBB253_23
; %bb.12:
	s_and_saveexec_b32 s5, s0
	s_cbranch_execz .LBB253_22
; %bb.13:
	v_mul_lo_u32 v5, v2, s28
	v_mul_lo_u32 v6, v1, s29
	v_mad_u64_u32 v[3:4], null, v1, s28, 0
	v_add3_u32 v4, v4, v6, v5
	v_add_co_u32 v5, s1, s6, v0
	v_add_co_ci_u32_e64 v6, null, s7, 0, s1
	v_lshlrev_b64 v[7:8], 3, v[3:4]
	v_cmp_gt_i64_e32 vcc_lo, s[12:13], v[5:6]
	v_lshlrev_b64 v[3:4], 3, v[5:6]
	v_add_co_u32 v7, s1, s3, v7
	v_add_co_ci_u32_e64 v8, null, s4, v8, s1
	s_and_saveexec_b32 s2, vcc_lo
	s_cbranch_execz .LBB253_15
; %bb.14:
	v_mul_f32_e32 v9, s19, v21
	v_mul_f32_e32 v14, s18, v21
	v_add_co_u32 v16, s1, v7, v3
	v_add_co_ci_u32_e64 v17, null, v8, v4, s1
	v_fma_f32 v13, v20, s18, -v9
	v_fmac_f32_e32 v14, s19, v20
	flat_store_dwordx2 v[16:17], v[13:14]
.LBB253_15:
	s_or_b32 exec_lo, exec_lo, s2
	v_add_co_u32 v5, s1, v5, 16
	v_add_co_ci_u32_e64 v6, null, 0, v6, s1
	v_cmp_gt_i64_e64 s1, s[12:13], v[5:6]
	s_and_saveexec_b32 s16, s1
	s_cbranch_execz .LBB253_17
; %bb.16:
	v_mul_f32_e32 v5, s19, v19
	v_mul_f32_e32 v6, s18, v19
	v_add_co_u32 v13, s2, v7, v3
	v_add_co_ci_u32_e64 v14, null, v8, v4, s2
	v_fma_f32 v5, v18, s18, -v5
	v_fmac_f32_e32 v6, s19, v18
	flat_store_dwordx2 v[13:14], v[5:6] offset:128
.LBB253_17:
	s_or_b32 exec_lo, exec_lo, s16
	v_add_co_u32 v5, s2, v1, 16
	v_add_co_ci_u32_e64 v6, null, 0, v2, s2
	v_cmp_gt_i64_e64 s2, s[14:15], v[5:6]
	s_and_b32 exec_lo, exec_lo, s2
	s_cbranch_execz .LBB253_22
; %bb.18:
	s_lshl_b64 s[16:17], s[28:29], 7
	v_add_co_u32 v5, s2, v7, s16
	v_add_co_ci_u32_e64 v6, null, s17, v8, s2
	v_add_co_u32 v3, s2, v5, v3
	v_add_co_ci_u32_e64 v4, null, v6, v4, s2
	s_and_saveexec_b32 s2, vcc_lo
	s_cbranch_execz .LBB253_20
; %bb.19:
	v_mul_f32_e32 v5, s19, v15
	v_mul_f32_e32 v6, s18, v15
	v_fma_f32 v5, v12, s18, -v5
	v_fmac_f32_e32 v6, s19, v12
	flat_store_dwordx2 v[3:4], v[5:6]
.LBB253_20:
	s_or_b32 exec_lo, exec_lo, s2
	s_and_b32 exec_lo, exec_lo, s1
	s_cbranch_execz .LBB253_22
; %bb.21:
	v_mul_f32_e32 v5, s19, v11
	v_mul_f32_e32 v6, s18, v11
	v_fma_f32 v5, v10, s18, -v5
	v_fmac_f32_e32 v6, s19, v10
	flat_store_dwordx2 v[3:4], v[5:6] offset:128
.LBB253_22:
	s_or_b32 exec_lo, exec_lo, s5
	s_mov_b32 s1, 0
.LBB253_23:
	s_andn2_b32 vcc_lo, exec_lo, s1
	s_cbranch_vccnz .LBB253_34
; %bb.24:
	s_and_saveexec_b32 s1, s0
	s_cbranch_execz .LBB253_34
; %bb.25:
	v_mul_lo_u32 v5, v2, s38
	v_mul_lo_u32 v6, v1, s39
	v_mad_u64_u32 v[3:4], null, v1, s38, 0
	v_mul_lo_u32 v9, v2, s28
	v_mul_lo_u32 v13, v1, s29
	v_mad_u64_u32 v[7:8], null, v1, s28, 0
	s_lshl_b64 s[0:1], s[40:41], 3
	v_add3_u32 v4, v4, v6, v5
	v_add_co_u32 v5, s2, s6, v0
	v_add_co_ci_u32_e64 v6, null, s7, 0, s2
	v_add3_u32 v8, v8, v13, v9
	v_lshlrev_b64 v[3:4], 3, v[3:4]
	s_add_u32 s0, s10, s0
	s_addc_u32 s1, s11, s1
	v_cmp_gt_i64_e32 vcc_lo, s[12:13], v[5:6]
	v_lshlrev_b64 v[8:9], 3, v[7:8]
	v_add_co_u32 v0, s0, s0, v3
	v_add_co_ci_u32_e64 v7, null, s1, v4, s0
	v_add_co_u32 v8, s0, s3, v8
	v_lshlrev_b64 v[3:4], 3, v[5:6]
	v_add_co_ci_u32_e64 v9, null, s4, v9, s0
	s_and_saveexec_b32 s1, vcc_lo
	s_cbranch_execz .LBB253_27
; %bb.26:
	v_add_co_u32 v13, s0, v0, v3
	v_add_co_ci_u32_e64 v14, null, v7, v4, s0
	v_mul_f32_e32 v16, s19, v21
	v_mul_f32_e32 v17, s18, v21
	flat_load_dwordx2 v[13:14], v[13:14]
	v_fma_f32 v16, v20, s18, -v16
	v_fmac_f32_e32 v17, s19, v20
	s_waitcnt vmcnt(0) lgkmcnt(0)
	v_mul_f32_e32 v21, s9, v14
	v_mul_f32_e32 v14, s8, v14
	v_fma_f32 v20, v13, s8, -v21
	v_fmac_f32_e32 v14, s9, v13
	v_add_f32_e32 v13, v16, v20
	v_add_co_u32 v16, s0, v8, v3
	v_add_f32_e32 v14, v17, v14
	v_add_co_ci_u32_e64 v17, null, v9, v4, s0
	flat_store_dwordx2 v[16:17], v[13:14]
.LBB253_27:
	s_or_b32 exec_lo, exec_lo, s1
	v_add_co_u32 v5, s0, v5, 16
	v_add_co_ci_u32_e64 v6, null, 0, v6, s0
	v_cmp_gt_i64_e64 s0, s[12:13], v[5:6]
	s_and_saveexec_b32 s2, s0
	s_cbranch_execz .LBB253_29
; %bb.28:
	v_add_co_u32 v5, s1, v0, v3
	v_add_co_ci_u32_e64 v6, null, v7, v4, s1
	v_mul_f32_e32 v13, s19, v19
	v_mul_f32_e32 v14, s18, v19
	flat_load_dwordx2 v[5:6], v[5:6] offset:128
	v_fma_f32 v13, v18, s18, -v13
	v_fmac_f32_e32 v14, s19, v18
	s_waitcnt vmcnt(0) lgkmcnt(0)
	v_mul_f32_e32 v16, s9, v6
	v_mul_f32_e32 v6, s8, v6
	v_fma_f32 v16, v5, s8, -v16
	v_fmac_f32_e32 v6, s9, v5
	v_add_f32_e32 v5, v13, v16
	v_add_co_u32 v13, s1, v8, v3
	v_add_f32_e32 v6, v14, v6
	v_add_co_ci_u32_e64 v14, null, v9, v4, s1
	flat_store_dwordx2 v[13:14], v[5:6] offset:128
.LBB253_29:
	s_or_b32 exec_lo, exec_lo, s2
	v_add_co_u32 v1, s1, v1, 16
	v_add_co_ci_u32_e64 v2, null, 0, v2, s1
	v_cmp_gt_i64_e64 s1, s[14:15], v[1:2]
	s_and_b32 exec_lo, exec_lo, s1
	s_cbranch_execz .LBB253_34
; %bb.30:
	s_lshl_b64 s[2:3], s[38:39], 7
	v_add_co_u32 v0, s1, v0, s2
	v_add_co_ci_u32_e64 v1, null, s3, v7, s1
	s_lshl_b64 s[2:3], s[28:29], 7
	v_add_co_u32 v2, s1, v8, s2
	v_add_co_ci_u32_e64 v7, null, s3, v9, s1
	v_add_co_u32 v5, s1, v0, v3
	v_add_co_ci_u32_e64 v6, null, v1, v4, s1
	;; [unrolled: 2-line block ×3, first 2 shown]
	s_and_saveexec_b32 s1, vcc_lo
	s_cbranch_execz .LBB253_32
; %bb.31:
	flat_load_dwordx2 v[2:3], v[5:6]
	v_mul_f32_e32 v4, s19, v15
	v_mul_f32_e32 v7, s18, v15
	v_fma_f32 v4, v12, s18, -v4
	v_fmac_f32_e32 v7, s19, v12
	s_waitcnt vmcnt(0) lgkmcnt(0)
	v_mul_f32_e32 v8, s9, v3
	v_mul_f32_e32 v3, s8, v3
	v_fma_f32 v8, v2, s8, -v8
	v_fmac_f32_e32 v3, s9, v2
	v_add_f32_e32 v2, v4, v8
	v_add_f32_e32 v3, v7, v3
	flat_store_dwordx2 v[0:1], v[2:3]
.LBB253_32:
	s_or_b32 exec_lo, exec_lo, s1
	s_and_b32 exec_lo, exec_lo, s0
	s_cbranch_execz .LBB253_34
; %bb.33:
	flat_load_dwordx2 v[2:3], v[5:6] offset:128
	v_mul_f32_e32 v4, s19, v11
	v_mul_f32_e32 v5, s18, v11
	v_fma_f32 v4, v10, s18, -v4
	v_fmac_f32_e32 v5, s19, v10
	s_waitcnt vmcnt(0) lgkmcnt(0)
	v_mul_f32_e32 v6, s9, v3
	v_mul_f32_e32 v3, s8, v3
	v_fma_f32 v6, v2, s8, -v6
	v_fmac_f32_e32 v3, s9, v2
	v_add_f32_e32 v2, v4, v6
	v_add_f32_e32 v3, v5, v3
	flat_store_dwordx2 v[0:1], v[2:3] offset:128
.LBB253_34:
	s_endpgm
	.section	.rodata,"a",@progbits
	.p2align	6, 0x0
	.amdhsa_kernel _ZN12_GLOBAL__N_135rocblas_gemm_batched_general_kernelI19rocblas_complex_numIfELi16ELi16ELi32ELi32ELi8ELi32ELi8ELi8ELi32ELc84ELc78EKPKS2_S5_KPS2_EEvlllT_PT11_llSA_llS8_PT12_llPT13_lli
		.amdhsa_group_segment_fixed_size 4096
		.amdhsa_private_segment_fixed_size 0
		.amdhsa_kernarg_size 140
		.amdhsa_user_sgpr_count 6
		.amdhsa_user_sgpr_private_segment_buffer 1
		.amdhsa_user_sgpr_dispatch_ptr 0
		.amdhsa_user_sgpr_queue_ptr 0
		.amdhsa_user_sgpr_kernarg_segment_ptr 1
		.amdhsa_user_sgpr_dispatch_id 0
		.amdhsa_user_sgpr_flat_scratch_init 0
		.amdhsa_user_sgpr_private_segment_size 0
		.amdhsa_wavefront_size32 1
		.amdhsa_uses_dynamic_stack 0
		.amdhsa_system_sgpr_private_segment_wavefront_offset 0
		.amdhsa_system_sgpr_workgroup_id_x 1
		.amdhsa_system_sgpr_workgroup_id_y 1
		.amdhsa_system_sgpr_workgroup_id_z 1
		.amdhsa_system_sgpr_workgroup_info 0
		.amdhsa_system_vgpr_workitem_id 1
		.amdhsa_next_free_vgpr 59
		.amdhsa_next_free_sgpr 46
		.amdhsa_reserve_vcc 1
		.amdhsa_reserve_flat_scratch 0
		.amdhsa_float_round_mode_32 0
		.amdhsa_float_round_mode_16_64 0
		.amdhsa_float_denorm_mode_32 3
		.amdhsa_float_denorm_mode_16_64 3
		.amdhsa_dx10_clamp 1
		.amdhsa_ieee_mode 1
		.amdhsa_fp16_overflow 0
		.amdhsa_workgroup_processor_mode 1
		.amdhsa_memory_ordered 1
		.amdhsa_forward_progress 1
		.amdhsa_shared_vgpr_count 0
		.amdhsa_exception_fp_ieee_invalid_op 0
		.amdhsa_exception_fp_denorm_src 0
		.amdhsa_exception_fp_ieee_div_zero 0
		.amdhsa_exception_fp_ieee_overflow 0
		.amdhsa_exception_fp_ieee_underflow 0
		.amdhsa_exception_fp_ieee_inexact 0
		.amdhsa_exception_int_div_zero 0
	.end_amdhsa_kernel
	.section	.text._ZN12_GLOBAL__N_135rocblas_gemm_batched_general_kernelI19rocblas_complex_numIfELi16ELi16ELi32ELi32ELi8ELi32ELi8ELi8ELi32ELc84ELc78EKPKS2_S5_KPS2_EEvlllT_PT11_llSA_llS8_PT12_llPT13_lli,"axG",@progbits,_ZN12_GLOBAL__N_135rocblas_gemm_batched_general_kernelI19rocblas_complex_numIfELi16ELi16ELi32ELi32ELi8ELi32ELi8ELi8ELi32ELc84ELc78EKPKS2_S5_KPS2_EEvlllT_PT11_llSA_llS8_PT12_llPT13_lli,comdat
.Lfunc_end253:
	.size	_ZN12_GLOBAL__N_135rocblas_gemm_batched_general_kernelI19rocblas_complex_numIfELi16ELi16ELi32ELi32ELi8ELi32ELi8ELi8ELi32ELc84ELc78EKPKS2_S5_KPS2_EEvlllT_PT11_llSA_llS8_PT12_llPT13_lli, .Lfunc_end253-_ZN12_GLOBAL__N_135rocblas_gemm_batched_general_kernelI19rocblas_complex_numIfELi16ELi16ELi32ELi32ELi8ELi32ELi8ELi8ELi32ELc84ELc78EKPKS2_S5_KPS2_EEvlllT_PT11_llSA_llS8_PT12_llPT13_lli
                                        ; -- End function
	.set _ZN12_GLOBAL__N_135rocblas_gemm_batched_general_kernelI19rocblas_complex_numIfELi16ELi16ELi32ELi32ELi8ELi32ELi8ELi8ELi32ELc84ELc78EKPKS2_S5_KPS2_EEvlllT_PT11_llSA_llS8_PT12_llPT13_lli.num_vgpr, 59
	.set _ZN12_GLOBAL__N_135rocblas_gemm_batched_general_kernelI19rocblas_complex_numIfELi16ELi16ELi32ELi32ELi8ELi32ELi8ELi8ELi32ELc84ELc78EKPKS2_S5_KPS2_EEvlllT_PT11_llSA_llS8_PT12_llPT13_lli.num_agpr, 0
	.set _ZN12_GLOBAL__N_135rocblas_gemm_batched_general_kernelI19rocblas_complex_numIfELi16ELi16ELi32ELi32ELi8ELi32ELi8ELi8ELi32ELc84ELc78EKPKS2_S5_KPS2_EEvlllT_PT11_llSA_llS8_PT12_llPT13_lli.numbered_sgpr, 46
	.set _ZN12_GLOBAL__N_135rocblas_gemm_batched_general_kernelI19rocblas_complex_numIfELi16ELi16ELi32ELi32ELi8ELi32ELi8ELi8ELi32ELc84ELc78EKPKS2_S5_KPS2_EEvlllT_PT11_llSA_llS8_PT12_llPT13_lli.num_named_barrier, 0
	.set _ZN12_GLOBAL__N_135rocblas_gemm_batched_general_kernelI19rocblas_complex_numIfELi16ELi16ELi32ELi32ELi8ELi32ELi8ELi8ELi32ELc84ELc78EKPKS2_S5_KPS2_EEvlllT_PT11_llSA_llS8_PT12_llPT13_lli.private_seg_size, 0
	.set _ZN12_GLOBAL__N_135rocblas_gemm_batched_general_kernelI19rocblas_complex_numIfELi16ELi16ELi32ELi32ELi8ELi32ELi8ELi8ELi32ELc84ELc78EKPKS2_S5_KPS2_EEvlllT_PT11_llSA_llS8_PT12_llPT13_lli.uses_vcc, 1
	.set _ZN12_GLOBAL__N_135rocblas_gemm_batched_general_kernelI19rocblas_complex_numIfELi16ELi16ELi32ELi32ELi8ELi32ELi8ELi8ELi32ELc84ELc78EKPKS2_S5_KPS2_EEvlllT_PT11_llSA_llS8_PT12_llPT13_lli.uses_flat_scratch, 0
	.set _ZN12_GLOBAL__N_135rocblas_gemm_batched_general_kernelI19rocblas_complex_numIfELi16ELi16ELi32ELi32ELi8ELi32ELi8ELi8ELi32ELc84ELc78EKPKS2_S5_KPS2_EEvlllT_PT11_llSA_llS8_PT12_llPT13_lli.has_dyn_sized_stack, 0
	.set _ZN12_GLOBAL__N_135rocblas_gemm_batched_general_kernelI19rocblas_complex_numIfELi16ELi16ELi32ELi32ELi8ELi32ELi8ELi8ELi32ELc84ELc78EKPKS2_S5_KPS2_EEvlllT_PT11_llSA_llS8_PT12_llPT13_lli.has_recursion, 0
	.set _ZN12_GLOBAL__N_135rocblas_gemm_batched_general_kernelI19rocblas_complex_numIfELi16ELi16ELi32ELi32ELi8ELi32ELi8ELi8ELi32ELc84ELc78EKPKS2_S5_KPS2_EEvlllT_PT11_llSA_llS8_PT12_llPT13_lli.has_indirect_call, 0
	.section	.AMDGPU.csdata,"",@progbits
; Kernel info:
; codeLenInByte = 2980
; TotalNumSgprs: 48
; NumVgprs: 59
; ScratchSize: 0
; MemoryBound: 1
; FloatMode: 240
; IeeeMode: 1
; LDSByteSize: 4096 bytes/workgroup (compile time only)
; SGPRBlocks: 0
; VGPRBlocks: 7
; NumSGPRsForWavesPerEU: 48
; NumVGPRsForWavesPerEU: 59
; Occupancy: 16
; WaveLimiterHint : 1
; COMPUTE_PGM_RSRC2:SCRATCH_EN: 0
; COMPUTE_PGM_RSRC2:USER_SGPR: 6
; COMPUTE_PGM_RSRC2:TRAP_HANDLER: 0
; COMPUTE_PGM_RSRC2:TGID_X_EN: 1
; COMPUTE_PGM_RSRC2:TGID_Y_EN: 1
; COMPUTE_PGM_RSRC2:TGID_Z_EN: 1
; COMPUTE_PGM_RSRC2:TIDIG_COMP_CNT: 1
	.section	.text._ZN12_GLOBAL__N_135rocblas_gemm_batched_general_kernelI19rocblas_complex_numIfELi16ELi16ELi32ELi32ELi8ELi32ELi8ELi8ELi32ELc78ELc84EKPKS2_S5_KPS2_EEvlllT_PT11_llSA_llS8_PT12_llPT13_lli,"axG",@progbits,_ZN12_GLOBAL__N_135rocblas_gemm_batched_general_kernelI19rocblas_complex_numIfELi16ELi16ELi32ELi32ELi8ELi32ELi8ELi8ELi32ELc78ELc84EKPKS2_S5_KPS2_EEvlllT_PT11_llSA_llS8_PT12_llPT13_lli,comdat
	.globl	_ZN12_GLOBAL__N_135rocblas_gemm_batched_general_kernelI19rocblas_complex_numIfELi16ELi16ELi32ELi32ELi8ELi32ELi8ELi8ELi32ELc78ELc84EKPKS2_S5_KPS2_EEvlllT_PT11_llSA_llS8_PT12_llPT13_lli ; -- Begin function _ZN12_GLOBAL__N_135rocblas_gemm_batched_general_kernelI19rocblas_complex_numIfELi16ELi16ELi32ELi32ELi8ELi32ELi8ELi8ELi32ELc78ELc84EKPKS2_S5_KPS2_EEvlllT_PT11_llSA_llS8_PT12_llPT13_lli
	.p2align	8
	.type	_ZN12_GLOBAL__N_135rocblas_gemm_batched_general_kernelI19rocblas_complex_numIfELi16ELi16ELi32ELi32ELi8ELi32ELi8ELi8ELi32ELc78ELc84EKPKS2_S5_KPS2_EEvlllT_PT11_llSA_llS8_PT12_llPT13_lli,@function
_ZN12_GLOBAL__N_135rocblas_gemm_batched_general_kernelI19rocblas_complex_numIfELi16ELi16ELi32ELi32ELi8ELi32ELi8ELi8ELi32ELc78ELc84EKPKS2_S5_KPS2_EEvlllT_PT11_llSA_llS8_PT12_llPT13_lli: ; @_ZN12_GLOBAL__N_135rocblas_gemm_batched_general_kernelI19rocblas_complex_numIfELi16ELi16ELi32ELi32ELi8ELi32ELi8ELi8ELi32ELc78ELc84EKPKS2_S5_KPS2_EEvlllT_PT11_llSA_llS8_PT12_llPT13_lli
; %bb.0:
	s_clause 0x1
	s_load_dwordx8 s[36:43], s[4:5], 0x58
	s_load_dwordx16 s[12:27], s[4:5], 0x0
	s_mov_b32 s9, 0
	s_clause 0x1
	s_load_dwordx4 s[28:31], s[4:5], 0x78
	s_load_dwordx2 s[34:35], s[4:5], 0x50
	s_lshl_b64 s[46:47], s[8:9], 3
	s_mov_b32 s0, s7
	v_mov_b32_e32 v20, 0
	v_mov_b32_e32 v21, 0
	;; [unrolled: 1-line block ×8, first 2 shown]
	s_waitcnt lgkmcnt(0)
	s_add_u32 s2, s36, s46
	s_addc_u32 s3, s37, s47
	s_add_u32 s8, s42, s46
	s_addc_u32 s9, s43, s47
	s_load_dwordx2 s[36:37], s[2:3], 0x0
	s_load_dwordx2 s[2:3], s[8:9], 0x0
	v_cmp_lt_i64_e64 s8, s[16:17], 1
	s_ashr_i32 s7, s6, 31
	s_ashr_i32 s1, s0, 31
	s_lshl_b64 s[42:43], s[6:7], 5
	s_lshl_b64 s[44:45], s[0:1], 5
	s_and_b32 vcc_lo, exec_lo, s8
	s_cbranch_vccnz .LBB254_11
; %bb.1:
	s_load_dwordx4 s[8:11], s[4:5], 0x40
	v_lshl_add_u32 v3, v1, 4, v0
	v_and_b32_e32 v8, 7, v0
	s_add_u32 s4, s26, s46
	s_addc_u32 s5, s27, s47
	s_add_u32 s20, s20, s46
	v_lshrrev_b32_e32 v11, 5, v3
	v_lshrrev_b32_e32 v17, 3, v3
	v_and_b32_e32 v18, 31, v3
	v_lshlrev_b32_e32 v19, 3, v8
	s_load_dwordx2 s[26:27], s[4:5], 0x0
	v_mad_u64_u32 v[12:13], null, s22, v11, 0
	s_addc_u32 s21, s21, s47
	s_lshl_b64 s[4:5], s[0:1], 8
	v_and_b32_e32 v20, 0x1ff8, v3
	v_add_co_u32 v15, s0, v17, s44
	v_or_b32_e32 v3, s42, v18
	v_mov_b32_e32 v7, v13
	s_waitcnt lgkmcnt(0)
	v_mad_u64_u32 v[5:6], null, s8, v8, 0
	v_lshlrev_b32_e32 v21, 3, v18
	v_lshl_or_b32 v19, v17, 6, v19
	v_mad_u64_u32 v[17:18], null, s23, v11, v[7:8]
	v_mov_b32_e32 v4, s43
	s_load_dwordx2 s[20:21], s[20:21], 0x0
	v_mad_u64_u32 v[13:14], null, s9, v8, v[6:7]
	s_lshl_b64 s[10:11], s[10:11], 3
	v_cmp_gt_i64_e32 vcc_lo, s[12:13], v[3:4]
	s_add_u32 s1, s10, s4
	s_addc_u32 s4, s11, s5
	s_lshl_b64 s[6:7], s[6:7], 8
	s_lshl_b64 s[10:11], s[24:25], 3
	v_mov_b32_e32 v6, v13
	v_mov_b32_e32 v13, v17
	v_add_co_ci_u32_e64 v16, null, 0, s45, s0
	v_mov_b32_e32 v2, 0
	v_lshlrev_b64 v[3:4], 3, v[5:6]
	v_lshlrev_b64 v[5:6], 3, v[12:13]
	v_cmp_gt_i64_e64 s0, s[14:15], v[15:16]
	v_lshlrev_b32_e32 v9, 3, v0
	v_lshl_add_u32 v10, v1, 6, 0x800
	v_lshl_or_b32 v14, v11, 8, v21
	v_add_co_u32 v3, s1, s1, v3
	v_add_co_ci_u32_e64 v4, null, s4, v4, s1
	s_lshl_b64 s[4:5], s[8:9], 6
	s_add_u32 s1, s10, s6
	s_addc_u32 s6, s11, s7
	v_add_co_u32 v5, s1, s1, v5
	v_add_co_ci_u32_e64 v6, null, s6, v6, s1
	v_add_co_u32 v3, s1, v3, v20
	v_add_co_ci_u32_e64 v7, null, 0, v4, s1
	;; [unrolled: 2-line block ×4, first 2 shown]
	s_waitcnt lgkmcnt(0)
	v_add_co_u32 v6, s1, s20, v12
	v_add_nc_u32_e32 v16, 0x800, v19
	v_add_co_ci_u32_e64 v7, null, s21, v13, s1
	v_mov_b32_e32 v13, 0
	v_mov_b32_e32 v12, 0
	;; [unrolled: 1-line block ×8, first 2 shown]
	s_lshl_b64 s[6:7], s[22:23], 6
	s_mov_b64 s[8:9], 0
	s_xor_b32 s1, vcc_lo, -1
	s_xor_b32 s0, s0, -1
	s_branch .LBB254_3
.LBB254_2:                              ;   in Loop: Header=BB254_3 Depth=1
	s_or_b32 exec_lo, exec_lo, s10
	s_waitcnt lgkmcnt(0)
	s_barrier
	buffer_gl0_inv
	ds_read_b128 v[22:25], v10
	ds_read2_b64 v[26:29], v9 offset1:16
	ds_read_b128 v[30:33], v10 offset:1024
	ds_read_b128 v[34:37], v10 offset:16
	;; [unrolled: 1-line block ×4, first 2 shown]
	ds_read2_b64 v[46:49], v9 offset0:32 offset1:48
	ds_read_b128 v[50:53], v10 offset:1040
	s_add_u32 s8, s8, 8
	s_addc_u32 s9, s9, 0
	v_add_co_u32 v4, vcc_lo, v4, s4
	v_cmp_lt_i64_e64 s10, s[8:9], s[16:17]
	v_add_co_ci_u32_e64 v5, null, s5, v5, vcc_lo
	v_add_co_u32 v6, vcc_lo, v6, s6
	v_add_co_ci_u32_e64 v7, null, s7, v7, vcc_lo
	s_and_b32 vcc_lo, exec_lo, s10
	s_waitcnt lgkmcnt(6)
	v_mul_f32_e32 v3, v23, v27
	v_mul_f32_e32 v54, v22, v27
	;; [unrolled: 1-line block ×4, first 2 shown]
	s_waitcnt lgkmcnt(5)
	v_mul_f32_e32 v57, v31, v27
	v_mul_f32_e32 v27, v30, v27
	;; [unrolled: 1-line block ×3, first 2 shown]
	v_fma_f32 v3, v22, v26, -v3
	v_fmac_f32_e32 v54, v23, v26
	v_fma_f32 v22, v22, v28, -v55
	v_fmac_f32_e32 v56, v23, v28
	;; [unrolled: 2-line block ×3, first 2 shown]
	v_mul_f32_e32 v29, v30, v29
	v_fma_f32 v26, v30, v28, -v58
	v_add_f32_e32 v3, v20, v3
	v_add_f32_e32 v22, v18, v22
	;; [unrolled: 1-line block ×5, first 2 shown]
	s_waitcnt lgkmcnt(1)
	v_mul_f32_e32 v27, v25, v47
	ds_read2_b64 v[17:20], v9 offset0:64 offset1:80
	v_fmac_f32_e32 v29, v31, v28
	v_mul_f32_e32 v28, v25, v49
	v_add_f32_e32 v12, v12, v26
	v_fma_f32 v27, v24, v46, -v27
	v_mul_f32_e32 v26, v24, v47
	v_add_f32_e32 v13, v13, v29
	v_mul_f32_e32 v29, v24, v49
	v_fma_f32 v24, v24, v48, -v28
	v_add_f32_e32 v3, v3, v27
	v_mul_f32_e32 v27, v33, v47
	v_add_f32_e32 v21, v21, v54
	v_fmac_f32_e32 v26, v25, v46
	v_fmac_f32_e32 v29, v25, v48
	v_add_f32_e32 v25, v22, v24
	v_fma_f32 v22, v32, v46, -v27
	v_mul_f32_e32 v24, v33, v49
	v_add_f32_e32 v26, v21, v26
	v_mul_f32_e32 v21, v32, v47
	v_add_f32_e32 v27, v30, v29
	v_add_f32_e32 v15, v15, v22
	v_fma_f32 v22, v32, v48, -v24
	s_waitcnt lgkmcnt(0)
	v_mul_f32_e32 v24, v35, v18
	v_fmac_f32_e32 v21, v33, v46
	v_mul_f32_e32 v28, v32, v49
	v_mul_f32_e32 v30, v34, v18
	;; [unrolled: 1-line block ×3, first 2 shown]
	v_fma_f32 v31, v34, v17, -v24
	v_add_f32_e32 v29, v23, v21
	v_add_f32_e32 v12, v12, v22
	ds_read2_b64 v[21:24], v9 offset0:96 offset1:112
	v_fmac_f32_e32 v30, v35, v17
	v_add_f32_e32 v3, v3, v31
	v_fma_f32 v31, v34, v19, -v32
	v_fmac_f32_e32 v28, v33, v48
	v_mul_f32_e32 v32, v50, v20
	v_add_f32_e32 v26, v26, v30
	v_mul_f32_e32 v30, v51, v18
	v_mul_f32_e32 v18, v50, v18
	v_add_f32_e32 v25, v25, v31
	v_mul_f32_e32 v31, v51, v20
	v_add_f32_e32 v13, v13, v28
	v_mul_f32_e32 v28, v34, v20
	v_fma_f32 v30, v50, v17, -v30
	v_fmac_f32_e32 v18, v51, v17
	v_fma_f32 v17, v50, v19, -v31
	v_fmac_f32_e32 v32, v51, v19
	v_fmac_f32_e32 v28, v35, v19
	v_add_f32_e32 v15, v15, v30
	v_add_f32_e32 v29, v29, v18
	;; [unrolled: 1-line block ×3, first 2 shown]
	ds_read2_b64 v[17:20], v9 offset0:128 offset1:144
	v_add_f32_e32 v33, v27, v28
	s_waitcnt lgkmcnt(1)
	v_mul_f32_e32 v27, v37, v22
	v_mul_f32_e32 v28, v36, v22
	;; [unrolled: 1-line block ×4, first 2 shown]
	v_add_f32_e32 v13, v13, v32
	v_fma_f32 v27, v36, v21, -v27
	v_fmac_f32_e32 v28, v37, v21
	v_fma_f32 v30, v36, v23, -v30
	v_fmac_f32_e32 v31, v37, v23
	v_mul_f32_e32 v32, v53, v24
	v_add_f32_e32 v3, v3, v27
	v_mul_f32_e32 v27, v53, v22
	v_mul_f32_e32 v22, v52, v22
	v_add_f32_e32 v34, v26, v28
	v_add_f32_e32 v35, v25, v30
	;; [unrolled: 1-line block ×3, first 2 shown]
	v_fma_f32 v30, v52, v21, -v27
	ds_read_b128 v[25:28], v10 offset:1056
	v_fmac_f32_e32 v22, v53, v21
	v_mul_f32_e32 v31, v52, v24
	v_fma_f32 v21, v52, v23, -v32
	s_waitcnt lgkmcnt(1)
	v_mul_f32_e32 v24, v39, v18
	v_add_f32_e32 v15, v15, v30
	v_add_f32_e32 v36, v29, v22
	v_fmac_f32_e32 v31, v53, v23
	v_add_f32_e32 v12, v12, v21
	v_fma_f32 v29, v38, v17, -v24
	ds_read2_b64 v[21:24], v9 offset0:160 offset1:176
	v_mul_f32_e32 v37, v38, v18
	v_mul_f32_e32 v30, v39, v20
	v_add_f32_e32 v13, v13, v31
	v_add_f32_e32 v3, v3, v29
	v_mul_f32_e32 v46, v38, v20
	v_fmac_f32_e32 v37, v39, v17
	v_fma_f32 v38, v38, v19, -v30
	ds_read_b128 v[29:32], v10 offset:1072
	s_waitcnt lgkmcnt(2)
	v_mul_f32_e32 v47, v26, v18
	v_mul_f32_e32 v18, v25, v18
	v_add_f32_e32 v34, v34, v37
	v_fmac_f32_e32 v46, v39, v19
	v_add_f32_e32 v35, v35, v38
	v_fma_f32 v37, v25, v17, -v47
	v_mul_f32_e32 v38, v26, v20
	v_fmac_f32_e32 v18, v26, v17
	v_mul_f32_e32 v39, v25, v20
	v_add_f32_e32 v33, v33, v46
	s_waitcnt lgkmcnt(1)
	v_mul_f32_e32 v20, v41, v22
	v_add_f32_e32 v15, v15, v37
	v_fma_f32 v17, v25, v19, -v38
	v_add_f32_e32 v25, v36, v18
	v_fmac_f32_e32 v39, v26, v19
	v_mul_f32_e32 v26, v40, v22
	v_fma_f32 v36, v40, v21, -v20
	v_mul_f32_e32 v37, v41, v24
	v_add_f32_e32 v12, v12, v17
	ds_read2_b64 v[17:20], v9 offset0:192 offset1:208
	v_fmac_f32_e32 v26, v41, v21
	v_add_f32_e32 v3, v3, v36
	v_mul_f32_e32 v36, v40, v24
	v_fma_f32 v37, v40, v23, -v37
	v_add_f32_e32 v13, v13, v39
	v_add_f32_e32 v26, v34, v26
	v_mul_f32_e32 v34, v28, v22
	v_mul_f32_e32 v22, v27, v22
	v_fmac_f32_e32 v36, v41, v23
	v_add_f32_e32 v35, v35, v37
	v_mul_f32_e32 v37, v28, v24
	v_fma_f32 v34, v27, v21, -v34
	v_fmac_f32_e32 v22, v28, v21
	v_add_f32_e32 v21, v33, v36
	v_mul_f32_e32 v33, v27, v24
	v_fma_f32 v24, v27, v23, -v37
	v_add_f32_e32 v15, v15, v34
	v_add_f32_e32 v27, v25, v22
	v_fmac_f32_e32 v33, v28, v23
	v_add_f32_e32 v12, v12, v24
	ds_read2_b64 v[22:25], v9 offset0:224 offset1:240
	s_waitcnt lgkmcnt(1)
	v_mul_f32_e32 v34, v43, v18
	v_mul_f32_e32 v28, v42, v18
	v_add_f32_e32 v13, v13, v33
	v_mul_f32_e32 v33, v43, v20
	v_mul_f32_e32 v36, v42, v20
	v_fma_f32 v34, v42, v17, -v34
	v_fmac_f32_e32 v28, v43, v17
	s_waitcnt lgkmcnt(0)
	v_fma_f32 v33, v42, v19, -v33
	v_fmac_f32_e32 v36, v43, v19
	v_add_f32_e32 v3, v3, v34
	v_mul_f32_e32 v34, v30, v18
	v_mul_f32_e32 v18, v29, v18
	v_add_f32_e32 v26, v26, v28
	v_add_f32_e32 v33, v35, v33
	;; [unrolled: 1-line block ×3, first 2 shown]
	v_fma_f32 v28, v29, v17, -v34
	v_mul_f32_e32 v34, v30, v20
	v_fmac_f32_e32 v18, v30, v17
	v_mul_f32_e32 v17, v29, v20
	v_mul_f32_e32 v21, v45, v23
	v_add_f32_e32 v15, v15, v28
	v_fma_f32 v20, v29, v19, -v34
	v_add_f32_e32 v27, v27, v18
	v_fmac_f32_e32 v17, v30, v19
	v_fma_f32 v18, v44, v22, -v21
	v_mul_f32_e32 v19, v45, v25
	v_mul_f32_e32 v28, v44, v23
	v_add_f32_e32 v12, v12, v20
	v_mul_f32_e32 v29, v44, v25
	v_add_f32_e32 v13, v13, v17
	v_add_f32_e32 v20, v3, v18
	v_fma_f32 v3, v44, v24, -v19
	v_mul_f32_e32 v17, v32, v23
	v_mul_f32_e32 v23, v31, v23
	;; [unrolled: 1-line block ×4, first 2 shown]
	v_fmac_f32_e32 v28, v45, v22
	v_fmac_f32_e32 v29, v45, v24
	v_add_f32_e32 v18, v33, v3
	v_fma_f32 v3, v31, v22, -v17
	v_fmac_f32_e32 v23, v32, v22
	v_fma_f32 v22, v31, v24, -v19
	v_fmac_f32_e32 v25, v32, v24
	v_add_f32_e32 v21, v26, v28
	v_add_f32_e32 v19, v35, v29
	;; [unrolled: 1-line block ×6, first 2 shown]
	s_barrier
	buffer_gl0_inv
	s_cbranch_vccz .LBB254_11
.LBB254_3:                              ; =>This Inner Loop Header: Depth=1
	v_add_co_u32 v22, s10, v11, s8
	v_add_co_ci_u32_e64 v23, null, 0, s9, s10
	v_cmp_le_i64_e32 vcc_lo, s[16:17], v[22:23]
	s_or_b32 s10, s1, vcc_lo
	s_and_saveexec_b32 s11, s10
	s_xor_b32 s10, exec_lo, s11
; %bb.4:                                ;   in Loop: Header=BB254_3 Depth=1
	v_mov_b32_e32 v3, v2
	ds_write_b64 v14, v[2:3]
; %bb.5:                                ;   in Loop: Header=BB254_3 Depth=1
	s_andn2_saveexec_b32 s10, s10
	s_cbranch_execz .LBB254_7
; %bb.6:                                ;   in Loop: Header=BB254_3 Depth=1
	flat_load_dwordx2 v[22:23], v[6:7]
	s_waitcnt vmcnt(0) lgkmcnt(0)
	ds_write_b64 v14, v[22:23]
.LBB254_7:                              ;   in Loop: Header=BB254_3 Depth=1
	s_or_b32 exec_lo, exec_lo, s10
	v_add_co_u32 v22, s10, v8, s8
	v_add_co_ci_u32_e64 v23, null, 0, s9, s10
	v_cmp_le_i64_e32 vcc_lo, s[16:17], v[22:23]
	s_or_b32 s10, vcc_lo, s0
	s_and_saveexec_b32 s11, s10
	s_xor_b32 s10, exec_lo, s11
; %bb.8:                                ;   in Loop: Header=BB254_3 Depth=1
	v_mov_b32_e32 v3, v2
	ds_write_b64 v16, v[2:3]
; %bb.9:                                ;   in Loop: Header=BB254_3 Depth=1
	s_andn2_saveexec_b32 s10, s10
	s_cbranch_execz .LBB254_2
; %bb.10:                               ;   in Loop: Header=BB254_3 Depth=1
	flat_load_dwordx2 v[22:23], v[4:5]
	s_waitcnt vmcnt(0) lgkmcnt(0)
	ds_write_b64 v16, v[22:23]
	s_branch .LBB254_2
.LBB254_11:
	v_add_co_u32 v1, s4, s44, v1
	v_add_co_ci_u32_e64 v2, null, s45, 0, s4
	s_lshl_b64 s[0:1], s[30:31], 3
	s_waitcnt lgkmcnt(0)
	s_add_u32 s4, s2, s0
	s_addc_u32 s3, s3, s1
	s_or_b32 s1, s34, s35
	v_cmp_gt_i64_e64 s0, s[14:15], v[1:2]
	s_bitset0_b32 s1, 31
	s_cmp_lg_u32 s1, 0
	s_mov_b32 s1, -1
	s_cbranch_scc1 .LBB254_23
; %bb.12:
	s_and_saveexec_b32 s5, s0
	s_cbranch_execz .LBB254_22
; %bb.13:
	v_mul_lo_u32 v5, v2, s28
	v_mul_lo_u32 v6, v1, s29
	v_mad_u64_u32 v[3:4], null, v1, s28, 0
	v_add3_u32 v4, v4, v6, v5
	v_add_co_u32 v5, s1, s42, v0
	v_add_co_ci_u32_e64 v6, null, s43, 0, s1
	v_lshlrev_b64 v[7:8], 3, v[3:4]
	v_cmp_gt_i64_e32 vcc_lo, s[12:13], v[5:6]
	v_lshlrev_b64 v[3:4], 3, v[5:6]
	v_add_co_u32 v7, s1, s4, v7
	v_add_co_ci_u32_e64 v8, null, s3, v8, s1
	s_and_saveexec_b32 s2, vcc_lo
	s_cbranch_execz .LBB254_15
; %bb.14:
	v_mul_f32_e32 v9, s19, v21
	v_mul_f32_e32 v10, s18, v21
	v_add_co_u32 v22, s1, v7, v3
	v_add_co_ci_u32_e64 v23, null, v8, v4, s1
	v_fma_f32 v9, v20, s18, -v9
	v_fmac_f32_e32 v10, s19, v20
	flat_store_dwordx2 v[22:23], v[9:10]
.LBB254_15:
	s_or_b32 exec_lo, exec_lo, s2
	v_add_co_u32 v5, s1, v5, 16
	v_add_co_ci_u32_e64 v6, null, 0, v6, s1
	v_cmp_gt_i64_e64 s1, s[12:13], v[5:6]
	s_and_saveexec_b32 s6, s1
	s_cbranch_execz .LBB254_17
; %bb.16:
	v_mul_f32_e32 v5, s19, v19
	v_mul_f32_e32 v6, s18, v19
	v_add_co_u32 v9, s2, v7, v3
	v_add_co_ci_u32_e64 v10, null, v8, v4, s2
	v_fma_f32 v5, v18, s18, -v5
	v_fmac_f32_e32 v6, s19, v18
	flat_store_dwordx2 v[9:10], v[5:6] offset:128
.LBB254_17:
	s_or_b32 exec_lo, exec_lo, s6
	v_add_co_u32 v5, s2, v1, 16
	v_add_co_ci_u32_e64 v6, null, 0, v2, s2
	v_cmp_gt_i64_e64 s2, s[14:15], v[5:6]
	s_and_b32 exec_lo, exec_lo, s2
	s_cbranch_execz .LBB254_22
; %bb.18:
	s_lshl_b64 s[6:7], s[28:29], 7
	v_add_co_u32 v5, s2, v7, s6
	v_add_co_ci_u32_e64 v6, null, s7, v8, s2
	v_add_co_u32 v3, s2, v5, v3
	v_add_co_ci_u32_e64 v4, null, v6, v4, s2
	s_and_saveexec_b32 s2, vcc_lo
	s_cbranch_execz .LBB254_20
; %bb.19:
	v_mul_f32_e32 v5, s19, v17
	v_mul_f32_e32 v6, s18, v17
	v_fma_f32 v5, v15, s18, -v5
	v_fmac_f32_e32 v6, s19, v15
	flat_store_dwordx2 v[3:4], v[5:6]
.LBB254_20:
	s_or_b32 exec_lo, exec_lo, s2
	s_and_b32 exec_lo, exec_lo, s1
	s_cbranch_execz .LBB254_22
; %bb.21:
	v_mul_f32_e32 v5, s19, v13
	v_mul_f32_e32 v6, s18, v13
	v_fma_f32 v5, v12, s18, -v5
	v_fmac_f32_e32 v6, s19, v12
	flat_store_dwordx2 v[3:4], v[5:6] offset:128
.LBB254_22:
	s_or_b32 exec_lo, exec_lo, s5
	s_mov_b32 s1, 0
.LBB254_23:
	s_andn2_b32 vcc_lo, exec_lo, s1
	s_cbranch_vccnz .LBB254_34
; %bb.24:
	s_and_saveexec_b32 s1, s0
	s_cbranch_execz .LBB254_34
; %bb.25:
	v_mul_lo_u32 v5, v2, s38
	v_mul_lo_u32 v6, v1, s39
	v_mad_u64_u32 v[3:4], null, v1, s38, 0
	v_mul_lo_u32 v9, v2, s28
	v_mul_lo_u32 v10, v1, s29
	v_mad_u64_u32 v[7:8], null, v1, s28, 0
	s_lshl_b64 s[0:1], s[40:41], 3
	v_add3_u32 v4, v4, v6, v5
	v_add_co_u32 v5, s2, s42, v0
	v_add_co_ci_u32_e64 v6, null, s43, 0, s2
	v_add3_u32 v8, v8, v10, v9
	v_lshlrev_b64 v[3:4], 3, v[3:4]
	s_add_u32 s0, s36, s0
	s_addc_u32 s1, s37, s1
	v_cmp_gt_i64_e32 vcc_lo, s[12:13], v[5:6]
	v_lshlrev_b64 v[8:9], 3, v[7:8]
	v_add_co_u32 v0, s0, s0, v3
	v_add_co_ci_u32_e64 v7, null, s1, v4, s0
	v_add_co_u32 v8, s0, s4, v8
	v_lshlrev_b64 v[3:4], 3, v[5:6]
	v_add_co_ci_u32_e64 v9, null, s3, v9, s0
	s_and_saveexec_b32 s1, vcc_lo
	s_cbranch_execz .LBB254_27
; %bb.26:
	v_add_co_u32 v10, s0, v0, v3
	v_add_co_ci_u32_e64 v11, null, v7, v4, s0
	v_mul_f32_e32 v14, s19, v21
	v_mul_f32_e32 v16, s18, v21
	flat_load_dwordx2 v[10:11], v[10:11]
	v_fma_f32 v14, v20, s18, -v14
	v_fmac_f32_e32 v16, s19, v20
	s_waitcnt vmcnt(0) lgkmcnt(0)
	v_mul_f32_e32 v21, s35, v11
	v_mul_f32_e32 v11, s34, v11
	v_fma_f32 v20, v10, s34, -v21
	v_fmac_f32_e32 v11, s35, v10
	v_add_f32_e32 v10, v14, v20
	v_add_co_u32 v20, s0, v8, v3
	v_add_f32_e32 v11, v16, v11
	v_add_co_ci_u32_e64 v21, null, v9, v4, s0
	flat_store_dwordx2 v[20:21], v[10:11]
.LBB254_27:
	s_or_b32 exec_lo, exec_lo, s1
	v_add_co_u32 v5, s0, v5, 16
	v_add_co_ci_u32_e64 v6, null, 0, v6, s0
	v_cmp_gt_i64_e64 s0, s[12:13], v[5:6]
	s_and_saveexec_b32 s2, s0
	s_cbranch_execz .LBB254_29
; %bb.28:
	v_add_co_u32 v5, s1, v0, v3
	v_add_co_ci_u32_e64 v6, null, v7, v4, s1
	v_mul_f32_e32 v10, s19, v19
	v_mul_f32_e32 v11, s18, v19
	flat_load_dwordx2 v[5:6], v[5:6] offset:128
	v_fma_f32 v10, v18, s18, -v10
	v_fmac_f32_e32 v11, s19, v18
	s_waitcnt vmcnt(0) lgkmcnt(0)
	v_mul_f32_e32 v14, s35, v6
	v_mul_f32_e32 v6, s34, v6
	v_fma_f32 v14, v5, s34, -v14
	v_fmac_f32_e32 v6, s35, v5
	v_add_f32_e32 v5, v10, v14
	v_add_co_u32 v10, s1, v8, v3
	v_add_f32_e32 v6, v11, v6
	v_add_co_ci_u32_e64 v11, null, v9, v4, s1
	flat_store_dwordx2 v[10:11], v[5:6] offset:128
.LBB254_29:
	s_or_b32 exec_lo, exec_lo, s2
	v_add_co_u32 v1, s1, v1, 16
	v_add_co_ci_u32_e64 v2, null, 0, v2, s1
	v_cmp_gt_i64_e64 s1, s[14:15], v[1:2]
	s_and_b32 exec_lo, exec_lo, s1
	s_cbranch_execz .LBB254_34
; %bb.30:
	s_lshl_b64 s[2:3], s[38:39], 7
	v_add_co_u32 v0, s1, v0, s2
	v_add_co_ci_u32_e64 v1, null, s3, v7, s1
	s_lshl_b64 s[2:3], s[28:29], 7
	v_add_co_u32 v2, s1, v8, s2
	v_add_co_ci_u32_e64 v7, null, s3, v9, s1
	v_add_co_u32 v5, s1, v0, v3
	v_add_co_ci_u32_e64 v6, null, v1, v4, s1
	v_add_co_u32 v0, s1, v2, v3
	v_add_co_ci_u32_e64 v1, null, v7, v4, s1
	s_and_saveexec_b32 s1, vcc_lo
	s_cbranch_execz .LBB254_32
; %bb.31:
	flat_load_dwordx2 v[2:3], v[5:6]
	v_mul_f32_e32 v4, s19, v17
	v_mul_f32_e32 v7, s18, v17
	v_fma_f32 v4, v15, s18, -v4
	v_fmac_f32_e32 v7, s19, v15
	s_waitcnt vmcnt(0) lgkmcnt(0)
	v_mul_f32_e32 v8, s35, v3
	v_mul_f32_e32 v3, s34, v3
	v_fma_f32 v8, v2, s34, -v8
	v_fmac_f32_e32 v3, s35, v2
	v_add_f32_e32 v2, v4, v8
	v_add_f32_e32 v3, v7, v3
	flat_store_dwordx2 v[0:1], v[2:3]
.LBB254_32:
	s_or_b32 exec_lo, exec_lo, s1
	s_and_b32 exec_lo, exec_lo, s0
	s_cbranch_execz .LBB254_34
; %bb.33:
	flat_load_dwordx2 v[2:3], v[5:6] offset:128
	v_mul_f32_e32 v4, s19, v13
	v_mul_f32_e32 v5, s18, v13
	v_fma_f32 v4, v12, s18, -v4
	v_fmac_f32_e32 v5, s19, v12
	s_waitcnt vmcnt(0) lgkmcnt(0)
	v_mul_f32_e32 v6, s35, v3
	v_mul_f32_e32 v3, s34, v3
	v_fma_f32 v6, v2, s34, -v6
	v_fmac_f32_e32 v3, s35, v2
	v_add_f32_e32 v2, v4, v6
	v_add_f32_e32 v3, v5, v3
	flat_store_dwordx2 v[0:1], v[2:3] offset:128
.LBB254_34:
	s_endpgm
	.section	.rodata,"a",@progbits
	.p2align	6, 0x0
	.amdhsa_kernel _ZN12_GLOBAL__N_135rocblas_gemm_batched_general_kernelI19rocblas_complex_numIfELi16ELi16ELi32ELi32ELi8ELi32ELi8ELi8ELi32ELc78ELc84EKPKS2_S5_KPS2_EEvlllT_PT11_llSA_llS8_PT12_llPT13_lli
		.amdhsa_group_segment_fixed_size 4096
		.amdhsa_private_segment_fixed_size 0
		.amdhsa_kernarg_size 140
		.amdhsa_user_sgpr_count 6
		.amdhsa_user_sgpr_private_segment_buffer 1
		.amdhsa_user_sgpr_dispatch_ptr 0
		.amdhsa_user_sgpr_queue_ptr 0
		.amdhsa_user_sgpr_kernarg_segment_ptr 1
		.amdhsa_user_sgpr_dispatch_id 0
		.amdhsa_user_sgpr_flat_scratch_init 0
		.amdhsa_user_sgpr_private_segment_size 0
		.amdhsa_wavefront_size32 1
		.amdhsa_uses_dynamic_stack 0
		.amdhsa_system_sgpr_private_segment_wavefront_offset 0
		.amdhsa_system_sgpr_workgroup_id_x 1
		.amdhsa_system_sgpr_workgroup_id_y 1
		.amdhsa_system_sgpr_workgroup_id_z 1
		.amdhsa_system_sgpr_workgroup_info 0
		.amdhsa_system_vgpr_workitem_id 1
		.amdhsa_next_free_vgpr 59
		.amdhsa_next_free_sgpr 48
		.amdhsa_reserve_vcc 1
		.amdhsa_reserve_flat_scratch 0
		.amdhsa_float_round_mode_32 0
		.amdhsa_float_round_mode_16_64 0
		.amdhsa_float_denorm_mode_32 3
		.amdhsa_float_denorm_mode_16_64 3
		.amdhsa_dx10_clamp 1
		.amdhsa_ieee_mode 1
		.amdhsa_fp16_overflow 0
		.amdhsa_workgroup_processor_mode 1
		.amdhsa_memory_ordered 1
		.amdhsa_forward_progress 1
		.amdhsa_shared_vgpr_count 0
		.amdhsa_exception_fp_ieee_invalid_op 0
		.amdhsa_exception_fp_denorm_src 0
		.amdhsa_exception_fp_ieee_div_zero 0
		.amdhsa_exception_fp_ieee_overflow 0
		.amdhsa_exception_fp_ieee_underflow 0
		.amdhsa_exception_fp_ieee_inexact 0
		.amdhsa_exception_int_div_zero 0
	.end_amdhsa_kernel
	.section	.text._ZN12_GLOBAL__N_135rocblas_gemm_batched_general_kernelI19rocblas_complex_numIfELi16ELi16ELi32ELi32ELi8ELi32ELi8ELi8ELi32ELc78ELc84EKPKS2_S5_KPS2_EEvlllT_PT11_llSA_llS8_PT12_llPT13_lli,"axG",@progbits,_ZN12_GLOBAL__N_135rocblas_gemm_batched_general_kernelI19rocblas_complex_numIfELi16ELi16ELi32ELi32ELi8ELi32ELi8ELi8ELi32ELc78ELc84EKPKS2_S5_KPS2_EEvlllT_PT11_llSA_llS8_PT12_llPT13_lli,comdat
.Lfunc_end254:
	.size	_ZN12_GLOBAL__N_135rocblas_gemm_batched_general_kernelI19rocblas_complex_numIfELi16ELi16ELi32ELi32ELi8ELi32ELi8ELi8ELi32ELc78ELc84EKPKS2_S5_KPS2_EEvlllT_PT11_llSA_llS8_PT12_llPT13_lli, .Lfunc_end254-_ZN12_GLOBAL__N_135rocblas_gemm_batched_general_kernelI19rocblas_complex_numIfELi16ELi16ELi32ELi32ELi8ELi32ELi8ELi8ELi32ELc78ELc84EKPKS2_S5_KPS2_EEvlllT_PT11_llSA_llS8_PT12_llPT13_lli
                                        ; -- End function
	.set _ZN12_GLOBAL__N_135rocblas_gemm_batched_general_kernelI19rocblas_complex_numIfELi16ELi16ELi32ELi32ELi8ELi32ELi8ELi8ELi32ELc78ELc84EKPKS2_S5_KPS2_EEvlllT_PT11_llSA_llS8_PT12_llPT13_lli.num_vgpr, 59
	.set _ZN12_GLOBAL__N_135rocblas_gemm_batched_general_kernelI19rocblas_complex_numIfELi16ELi16ELi32ELi32ELi8ELi32ELi8ELi8ELi32ELc78ELc84EKPKS2_S5_KPS2_EEvlllT_PT11_llSA_llS8_PT12_llPT13_lli.num_agpr, 0
	.set _ZN12_GLOBAL__N_135rocblas_gemm_batched_general_kernelI19rocblas_complex_numIfELi16ELi16ELi32ELi32ELi8ELi32ELi8ELi8ELi32ELc78ELc84EKPKS2_S5_KPS2_EEvlllT_PT11_llSA_llS8_PT12_llPT13_lli.numbered_sgpr, 48
	.set _ZN12_GLOBAL__N_135rocblas_gemm_batched_general_kernelI19rocblas_complex_numIfELi16ELi16ELi32ELi32ELi8ELi32ELi8ELi8ELi32ELc78ELc84EKPKS2_S5_KPS2_EEvlllT_PT11_llSA_llS8_PT12_llPT13_lli.num_named_barrier, 0
	.set _ZN12_GLOBAL__N_135rocblas_gemm_batched_general_kernelI19rocblas_complex_numIfELi16ELi16ELi32ELi32ELi8ELi32ELi8ELi8ELi32ELc78ELc84EKPKS2_S5_KPS2_EEvlllT_PT11_llSA_llS8_PT12_llPT13_lli.private_seg_size, 0
	.set _ZN12_GLOBAL__N_135rocblas_gemm_batched_general_kernelI19rocblas_complex_numIfELi16ELi16ELi32ELi32ELi8ELi32ELi8ELi8ELi32ELc78ELc84EKPKS2_S5_KPS2_EEvlllT_PT11_llSA_llS8_PT12_llPT13_lli.uses_vcc, 1
	.set _ZN12_GLOBAL__N_135rocblas_gemm_batched_general_kernelI19rocblas_complex_numIfELi16ELi16ELi32ELi32ELi8ELi32ELi8ELi8ELi32ELc78ELc84EKPKS2_S5_KPS2_EEvlllT_PT11_llSA_llS8_PT12_llPT13_lli.uses_flat_scratch, 0
	.set _ZN12_GLOBAL__N_135rocblas_gemm_batched_general_kernelI19rocblas_complex_numIfELi16ELi16ELi32ELi32ELi8ELi32ELi8ELi8ELi32ELc78ELc84EKPKS2_S5_KPS2_EEvlllT_PT11_llSA_llS8_PT12_llPT13_lli.has_dyn_sized_stack, 0
	.set _ZN12_GLOBAL__N_135rocblas_gemm_batched_general_kernelI19rocblas_complex_numIfELi16ELi16ELi32ELi32ELi8ELi32ELi8ELi8ELi32ELc78ELc84EKPKS2_S5_KPS2_EEvlllT_PT11_llSA_llS8_PT12_llPT13_lli.has_recursion, 0
	.set _ZN12_GLOBAL__N_135rocblas_gemm_batched_general_kernelI19rocblas_complex_numIfELi16ELi16ELi32ELi32ELi8ELi32ELi8ELi8ELi32ELc78ELc84EKPKS2_S5_KPS2_EEvlllT_PT11_llSA_llS8_PT12_llPT13_lli.has_indirect_call, 0
	.section	.AMDGPU.csdata,"",@progbits
; Kernel info:
; codeLenInByte = 2988
; TotalNumSgprs: 50
; NumVgprs: 59
; ScratchSize: 0
; MemoryBound: 1
; FloatMode: 240
; IeeeMode: 1
; LDSByteSize: 4096 bytes/workgroup (compile time only)
; SGPRBlocks: 0
; VGPRBlocks: 7
; NumSGPRsForWavesPerEU: 50
; NumVGPRsForWavesPerEU: 59
; Occupancy: 16
; WaveLimiterHint : 1
; COMPUTE_PGM_RSRC2:SCRATCH_EN: 0
; COMPUTE_PGM_RSRC2:USER_SGPR: 6
; COMPUTE_PGM_RSRC2:TRAP_HANDLER: 0
; COMPUTE_PGM_RSRC2:TGID_X_EN: 1
; COMPUTE_PGM_RSRC2:TGID_Y_EN: 1
; COMPUTE_PGM_RSRC2:TGID_Z_EN: 1
; COMPUTE_PGM_RSRC2:TIDIG_COMP_CNT: 1
	.section	.text._ZN12_GLOBAL__N_135rocblas_gemm_batched_general_kernelI19rocblas_complex_numIfELi16ELi16ELi32ELi32ELi8ELi32ELi8ELi8ELi32ELc84ELc84EKPKS2_S5_KPS2_EEvlllT_PT11_llSA_llS8_PT12_llPT13_lli,"axG",@progbits,_ZN12_GLOBAL__N_135rocblas_gemm_batched_general_kernelI19rocblas_complex_numIfELi16ELi16ELi32ELi32ELi8ELi32ELi8ELi8ELi32ELc84ELc84EKPKS2_S5_KPS2_EEvlllT_PT11_llSA_llS8_PT12_llPT13_lli,comdat
	.globl	_ZN12_GLOBAL__N_135rocblas_gemm_batched_general_kernelI19rocblas_complex_numIfELi16ELi16ELi32ELi32ELi8ELi32ELi8ELi8ELi32ELc84ELc84EKPKS2_S5_KPS2_EEvlllT_PT11_llSA_llS8_PT12_llPT13_lli ; -- Begin function _ZN12_GLOBAL__N_135rocblas_gemm_batched_general_kernelI19rocblas_complex_numIfELi16ELi16ELi32ELi32ELi8ELi32ELi8ELi8ELi32ELc84ELc84EKPKS2_S5_KPS2_EEvlllT_PT11_llSA_llS8_PT12_llPT13_lli
	.p2align	8
	.type	_ZN12_GLOBAL__N_135rocblas_gemm_batched_general_kernelI19rocblas_complex_numIfELi16ELi16ELi32ELi32ELi8ELi32ELi8ELi8ELi32ELc84ELc84EKPKS2_S5_KPS2_EEvlllT_PT11_llSA_llS8_PT12_llPT13_lli,@function
_ZN12_GLOBAL__N_135rocblas_gemm_batched_general_kernelI19rocblas_complex_numIfELi16ELi16ELi32ELi32ELi8ELi32ELi8ELi8ELi32ELc84ELc84EKPKS2_S5_KPS2_EEvlllT_PT11_llSA_llS8_PT12_llPT13_lli: ; @_ZN12_GLOBAL__N_135rocblas_gemm_batched_general_kernelI19rocblas_complex_numIfELi16ELi16ELi32ELi32ELi8ELi32ELi8ELi8ELi32ELc84ELc84EKPKS2_S5_KPS2_EEvlllT_PT11_llSA_llS8_PT12_llPT13_lli
; %bb.0:
	s_clause 0x1
	s_load_dwordx8 s[36:43], s[4:5], 0x58
	s_load_dwordx16 s[12:27], s[4:5], 0x0
	s_mov_b32 s9, 0
	s_load_dwordx4 s[28:31], s[4:5], 0x78
	s_lshl_b64 s[44:45], s[8:9], 3
	s_load_dwordx2 s[8:9], s[4:5], 0x50
	s_mov_b32 s0, s7
	v_mov_b32_e32 v20, 0
	v_mov_b32_e32 v21, 0
	;; [unrolled: 1-line block ×8, first 2 shown]
	s_waitcnt lgkmcnt(0)
	s_add_u32 s2, s36, s44
	s_addc_u32 s3, s37, s45
	s_add_u32 s34, s42, s44
	s_addc_u32 s35, s43, s45
	s_load_dwordx2 s[10:11], s[2:3], 0x0
	s_load_dwordx2 s[2:3], s[34:35], 0x0
	v_cmp_lt_i64_e64 s33, s[16:17], 1
	s_ashr_i32 s7, s6, 31
	s_ashr_i32 s1, s0, 31
	s_lshl_b64 s[34:35], s[6:7], 5
	s_lshl_b64 s[36:37], s[0:1], 5
	s_and_b32 vcc_lo, exec_lo, s33
	s_cbranch_vccnz .LBB255_11
; %bb.1:
	s_load_dwordx4 s[4:7], s[4:5], 0x40
	v_and_b32_e32 v8, 7, v0
	v_lshl_add_u32 v3, v1, 4, v0
	s_add_u32 s26, s26, s44
	s_addc_u32 s27, s27, s45
	s_add_u32 s20, s20, s44
	s_addc_u32 s21, s21, s45
	v_lshrrev_b32_e32 v14, 3, v3
	v_and_b32_e32 v15, 31, v3
	s_lshl_b64 s[42:43], s[0:1], 8
	v_mov_b32_e32 v4, s35
	v_lshrrev_b32_e32 v13, 5, v3
	v_add_co_u32 v11, s0, v14, s36
	v_add_co_ci_u32_e64 v12, null, 0, s37, s0
	v_and_b32_e32 v17, 0x1ff8, v3
	v_or_b32_e32 v3, s34, v15
	s_load_dwordx2 s[26:27], s[26:27], 0x0
	s_load_dwordx2 s[20:21], s[20:21], 0x0
	s_waitcnt lgkmcnt(0)
	v_mad_u64_u32 v[5:6], null, s4, v8, 0
	v_cmp_gt_i64_e32 vcc_lo, s[12:13], v[3:4]
	s_lshl_b64 s[6:7], s[6:7], 3
	v_lshlrev_b32_e32 v16, 3, v8
	s_add_u32 s1, s6, s42
	s_addc_u32 s6, s7, s43
	v_mov_b32_e32 v2, 0
	v_mad_u64_u32 v[6:7], null, s5, v8, v[6:7]
	v_add_co_u32 v7, s0, s34, v15
	v_add_co_ci_u32_e64 v18, null, s35, 0, s0
	v_cmp_gt_i64_e64 s0, s[14:15], v[11:12]
	v_mul_lo_u32 v19, s23, v7
	v_mad_u64_u32 v[3:4], null, s22, v7, 0
	v_mul_lo_u32 v18, s22, v18
	v_lshlrev_b64 v[5:6], 3, v[5:6]
	v_lshlrev_b32_e32 v11, 3, v13
	v_lshlrev_b32_e32 v15, 3, v15
	v_lshl_or_b32 v14, v14, 6, v16
	v_lshlrev_b32_e32 v9, 3, v0
	v_lshl_add_u32 v10, v1, 6, 0x800
	v_add_co_u32 v5, s1, s1, v5
	v_add3_u32 v4, v4, v18, v19
	v_add_co_ci_u32_e64 v6, null, s6, v6, s1
	v_add_co_u32 v5, s1, v5, v17
	v_lshlrev_b64 v[3:4], 3, v[3:4]
	s_lshl_b64 s[6:7], s[24:25], 3
	v_add_co_ci_u32_e64 v6, null, 0, v6, s1
	v_lshl_or_b32 v15, v13, 8, v15
	v_add_nc_u32_e32 v16, 0x800, v14
	v_add_co_u32 v3, s1, v3, s6
	v_add_co_ci_u32_e64 v7, null, s7, v4, s1
	v_add_co_u32 v4, s1, s26, v5
	v_add_co_ci_u32_e64 v5, null, s27, v6, s1
	;; [unrolled: 2-line block ×3, first 2 shown]
	v_mov_b32_e32 v12, 0
	v_add_co_u32 v6, s1, s20, v3
	v_add_co_ci_u32_e64 v7, null, s21, v7, s1
	v_mov_b32_e32 v11, 0
	v_mov_b32_e32 v17, 0
	;; [unrolled: 1-line block ×7, first 2 shown]
	s_lshl_b64 s[4:5], s[4:5], 6
	s_mov_b64 s[6:7], 0
	s_xor_b32 s1, vcc_lo, -1
	s_xor_b32 s0, s0, -1
	s_branch .LBB255_3
.LBB255_2:                              ;   in Loop: Header=BB255_3 Depth=1
	s_or_b32 exec_lo, exec_lo, s20
	s_waitcnt lgkmcnt(0)
	s_barrier
	buffer_gl0_inv
	ds_read_b128 v[22:25], v10
	ds_read2_b64 v[26:29], v9 offset1:16
	ds_read_b128 v[30:33], v10 offset:1024
	ds_read_b128 v[34:37], v10 offset:16
	;; [unrolled: 1-line block ×4, first 2 shown]
	ds_read2_b64 v[46:49], v9 offset0:32 offset1:48
	ds_read_b128 v[50:53], v10 offset:1040
	s_add_u32 s6, s6, 8
	s_addc_u32 s7, s7, 0
	v_add_co_u32 v4, vcc_lo, v4, s4
	v_cmp_lt_i64_e64 s20, s[6:7], s[16:17]
	v_add_co_ci_u32_e64 v5, null, s5, v5, vcc_lo
	v_add_co_u32 v6, vcc_lo, v6, 64
	v_add_co_ci_u32_e64 v7, null, 0, v7, vcc_lo
	s_and_b32 vcc_lo, exec_lo, s20
	s_waitcnt lgkmcnt(6)
	v_mul_f32_e32 v3, v23, v27
	v_mul_f32_e32 v54, v22, v27
	;; [unrolled: 1-line block ×4, first 2 shown]
	s_waitcnt lgkmcnt(5)
	v_mul_f32_e32 v57, v31, v27
	v_mul_f32_e32 v27, v30, v27
	;; [unrolled: 1-line block ×3, first 2 shown]
	v_fma_f32 v3, v22, v26, -v3
	v_fmac_f32_e32 v54, v23, v26
	v_fma_f32 v22, v22, v28, -v55
	v_fmac_f32_e32 v56, v23, v28
	;; [unrolled: 2-line block ×3, first 2 shown]
	v_mul_f32_e32 v29, v30, v29
	v_fma_f32 v26, v30, v28, -v58
	v_add_f32_e32 v3, v20, v3
	v_add_f32_e32 v22, v18, v22
	;; [unrolled: 1-line block ×5, first 2 shown]
	s_waitcnt lgkmcnt(1)
	v_mul_f32_e32 v27, v25, v47
	ds_read2_b64 v[17:20], v9 offset0:64 offset1:80
	v_fmac_f32_e32 v29, v31, v28
	v_mul_f32_e32 v28, v25, v49
	v_add_f32_e32 v11, v11, v26
	v_fma_f32 v27, v24, v46, -v27
	v_mul_f32_e32 v26, v24, v47
	v_add_f32_e32 v12, v12, v29
	v_mul_f32_e32 v29, v24, v49
	v_fma_f32 v24, v24, v48, -v28
	v_add_f32_e32 v3, v3, v27
	v_mul_f32_e32 v27, v33, v47
	v_add_f32_e32 v21, v21, v54
	v_fmac_f32_e32 v26, v25, v46
	v_fmac_f32_e32 v29, v25, v48
	v_add_f32_e32 v25, v22, v24
	v_fma_f32 v22, v32, v46, -v27
	v_mul_f32_e32 v24, v33, v49
	v_add_f32_e32 v26, v21, v26
	v_mul_f32_e32 v21, v32, v47
	v_add_f32_e32 v27, v30, v29
	v_add_f32_e32 v14, v14, v22
	v_fma_f32 v22, v32, v48, -v24
	s_waitcnt lgkmcnt(0)
	v_mul_f32_e32 v24, v35, v18
	v_fmac_f32_e32 v21, v33, v46
	v_mul_f32_e32 v28, v32, v49
	v_mul_f32_e32 v30, v34, v18
	;; [unrolled: 1-line block ×3, first 2 shown]
	v_fma_f32 v31, v34, v17, -v24
	v_add_f32_e32 v29, v23, v21
	v_add_f32_e32 v11, v11, v22
	ds_read2_b64 v[21:24], v9 offset0:96 offset1:112
	v_fmac_f32_e32 v30, v35, v17
	v_add_f32_e32 v3, v3, v31
	v_fma_f32 v31, v34, v19, -v32
	v_fmac_f32_e32 v28, v33, v48
	v_mul_f32_e32 v32, v50, v20
	v_add_f32_e32 v26, v26, v30
	v_mul_f32_e32 v30, v51, v18
	v_mul_f32_e32 v18, v50, v18
	v_add_f32_e32 v25, v25, v31
	v_mul_f32_e32 v31, v51, v20
	v_add_f32_e32 v12, v12, v28
	v_mul_f32_e32 v28, v34, v20
	v_fma_f32 v30, v50, v17, -v30
	v_fmac_f32_e32 v18, v51, v17
	v_fma_f32 v17, v50, v19, -v31
	v_fmac_f32_e32 v32, v51, v19
	v_fmac_f32_e32 v28, v35, v19
	v_add_f32_e32 v14, v14, v30
	v_add_f32_e32 v29, v29, v18
	;; [unrolled: 1-line block ×3, first 2 shown]
	ds_read2_b64 v[17:20], v9 offset0:128 offset1:144
	v_add_f32_e32 v33, v27, v28
	s_waitcnt lgkmcnt(1)
	v_mul_f32_e32 v27, v37, v22
	v_mul_f32_e32 v28, v36, v22
	;; [unrolled: 1-line block ×4, first 2 shown]
	v_add_f32_e32 v12, v12, v32
	v_fma_f32 v27, v36, v21, -v27
	v_fmac_f32_e32 v28, v37, v21
	v_fma_f32 v30, v36, v23, -v30
	v_fmac_f32_e32 v31, v37, v23
	v_mul_f32_e32 v32, v53, v24
	v_add_f32_e32 v3, v3, v27
	v_mul_f32_e32 v27, v53, v22
	v_mul_f32_e32 v22, v52, v22
	v_add_f32_e32 v34, v26, v28
	v_add_f32_e32 v35, v25, v30
	;; [unrolled: 1-line block ×3, first 2 shown]
	v_fma_f32 v30, v52, v21, -v27
	ds_read_b128 v[25:28], v10 offset:1056
	v_fmac_f32_e32 v22, v53, v21
	v_mul_f32_e32 v31, v52, v24
	v_fma_f32 v21, v52, v23, -v32
	s_waitcnt lgkmcnt(1)
	v_mul_f32_e32 v24, v39, v18
	v_add_f32_e32 v14, v14, v30
	v_add_f32_e32 v36, v29, v22
	v_fmac_f32_e32 v31, v53, v23
	v_add_f32_e32 v11, v11, v21
	v_fma_f32 v29, v38, v17, -v24
	ds_read2_b64 v[21:24], v9 offset0:160 offset1:176
	v_mul_f32_e32 v37, v38, v18
	v_mul_f32_e32 v30, v39, v20
	v_add_f32_e32 v12, v12, v31
	v_add_f32_e32 v3, v3, v29
	v_mul_f32_e32 v46, v38, v20
	v_fmac_f32_e32 v37, v39, v17
	v_fma_f32 v38, v38, v19, -v30
	ds_read_b128 v[29:32], v10 offset:1072
	s_waitcnt lgkmcnt(2)
	v_mul_f32_e32 v47, v26, v18
	v_mul_f32_e32 v18, v25, v18
	v_add_f32_e32 v34, v34, v37
	v_fmac_f32_e32 v46, v39, v19
	v_add_f32_e32 v35, v35, v38
	v_fma_f32 v37, v25, v17, -v47
	v_mul_f32_e32 v38, v26, v20
	v_fmac_f32_e32 v18, v26, v17
	v_mul_f32_e32 v39, v25, v20
	v_add_f32_e32 v33, v33, v46
	s_waitcnt lgkmcnt(1)
	v_mul_f32_e32 v20, v41, v22
	v_add_f32_e32 v14, v14, v37
	v_fma_f32 v17, v25, v19, -v38
	v_add_f32_e32 v25, v36, v18
	v_fmac_f32_e32 v39, v26, v19
	v_mul_f32_e32 v26, v40, v22
	v_fma_f32 v36, v40, v21, -v20
	v_mul_f32_e32 v37, v41, v24
	v_add_f32_e32 v11, v11, v17
	ds_read2_b64 v[17:20], v9 offset0:192 offset1:208
	v_fmac_f32_e32 v26, v41, v21
	v_add_f32_e32 v3, v3, v36
	v_mul_f32_e32 v36, v40, v24
	v_fma_f32 v37, v40, v23, -v37
	v_add_f32_e32 v12, v12, v39
	v_add_f32_e32 v26, v34, v26
	v_mul_f32_e32 v34, v28, v22
	v_mul_f32_e32 v22, v27, v22
	v_fmac_f32_e32 v36, v41, v23
	v_add_f32_e32 v35, v35, v37
	v_mul_f32_e32 v37, v28, v24
	v_fma_f32 v34, v27, v21, -v34
	v_fmac_f32_e32 v22, v28, v21
	v_add_f32_e32 v21, v33, v36
	v_mul_f32_e32 v33, v27, v24
	v_fma_f32 v24, v27, v23, -v37
	v_add_f32_e32 v14, v14, v34
	v_add_f32_e32 v27, v25, v22
	v_fmac_f32_e32 v33, v28, v23
	v_add_f32_e32 v11, v11, v24
	ds_read2_b64 v[22:25], v9 offset0:224 offset1:240
	s_waitcnt lgkmcnt(1)
	v_mul_f32_e32 v34, v43, v18
	v_mul_f32_e32 v28, v42, v18
	v_add_f32_e32 v12, v12, v33
	v_mul_f32_e32 v33, v43, v20
	v_mul_f32_e32 v36, v42, v20
	v_fma_f32 v34, v42, v17, -v34
	v_fmac_f32_e32 v28, v43, v17
	s_waitcnt lgkmcnt(0)
	v_fma_f32 v33, v42, v19, -v33
	v_fmac_f32_e32 v36, v43, v19
	v_add_f32_e32 v3, v3, v34
	v_mul_f32_e32 v34, v30, v18
	v_mul_f32_e32 v18, v29, v18
	v_add_f32_e32 v26, v26, v28
	v_add_f32_e32 v33, v35, v33
	;; [unrolled: 1-line block ×3, first 2 shown]
	v_fma_f32 v28, v29, v17, -v34
	v_mul_f32_e32 v34, v30, v20
	v_fmac_f32_e32 v18, v30, v17
	v_mul_f32_e32 v17, v29, v20
	v_mul_f32_e32 v21, v45, v23
	v_add_f32_e32 v14, v14, v28
	v_fma_f32 v20, v29, v19, -v34
	v_add_f32_e32 v27, v27, v18
	v_fmac_f32_e32 v17, v30, v19
	v_fma_f32 v18, v44, v22, -v21
	v_mul_f32_e32 v19, v45, v25
	v_mul_f32_e32 v28, v44, v23
	v_add_f32_e32 v11, v11, v20
	v_mul_f32_e32 v29, v44, v25
	v_add_f32_e32 v12, v12, v17
	v_add_f32_e32 v20, v3, v18
	v_fma_f32 v3, v44, v24, -v19
	v_mul_f32_e32 v17, v32, v23
	v_mul_f32_e32 v23, v31, v23
	;; [unrolled: 1-line block ×4, first 2 shown]
	v_fmac_f32_e32 v28, v45, v22
	v_fmac_f32_e32 v29, v45, v24
	v_add_f32_e32 v18, v33, v3
	v_fma_f32 v3, v31, v22, -v17
	v_fmac_f32_e32 v23, v32, v22
	v_fma_f32 v22, v31, v24, -v19
	v_fmac_f32_e32 v25, v32, v24
	v_add_f32_e32 v21, v26, v28
	v_add_f32_e32 v19, v35, v29
	;; [unrolled: 1-line block ×6, first 2 shown]
	s_barrier
	buffer_gl0_inv
	s_cbranch_vccz .LBB255_11
.LBB255_3:                              ; =>This Inner Loop Header: Depth=1
	v_add_co_u32 v22, s20, v13, s6
	v_add_co_ci_u32_e64 v23, null, 0, s7, s20
	v_cmp_le_i64_e32 vcc_lo, s[16:17], v[22:23]
	s_or_b32 s20, s1, vcc_lo
	s_and_saveexec_b32 s21, s20
	s_xor_b32 s20, exec_lo, s21
; %bb.4:                                ;   in Loop: Header=BB255_3 Depth=1
	v_mov_b32_e32 v3, v2
	ds_write_b64 v15, v[2:3]
; %bb.5:                                ;   in Loop: Header=BB255_3 Depth=1
	s_andn2_saveexec_b32 s20, s20
	s_cbranch_execz .LBB255_7
; %bb.6:                                ;   in Loop: Header=BB255_3 Depth=1
	flat_load_dwordx2 v[22:23], v[6:7]
	s_waitcnt vmcnt(0) lgkmcnt(0)
	ds_write_b64 v15, v[22:23]
.LBB255_7:                              ;   in Loop: Header=BB255_3 Depth=1
	s_or_b32 exec_lo, exec_lo, s20
	v_add_co_u32 v22, s20, v8, s6
	v_add_co_ci_u32_e64 v23, null, 0, s7, s20
	v_cmp_le_i64_e32 vcc_lo, s[16:17], v[22:23]
	s_or_b32 s20, vcc_lo, s0
	s_and_saveexec_b32 s21, s20
	s_xor_b32 s20, exec_lo, s21
; %bb.8:                                ;   in Loop: Header=BB255_3 Depth=1
	v_mov_b32_e32 v3, v2
	ds_write_b64 v16, v[2:3]
; %bb.9:                                ;   in Loop: Header=BB255_3 Depth=1
	s_andn2_saveexec_b32 s20, s20
	s_cbranch_execz .LBB255_2
; %bb.10:                               ;   in Loop: Header=BB255_3 Depth=1
	flat_load_dwordx2 v[22:23], v[4:5]
	s_waitcnt vmcnt(0) lgkmcnt(0)
	ds_write_b64 v16, v[22:23]
	s_branch .LBB255_2
.LBB255_11:
	v_add_co_u32 v1, s4, s36, v1
	v_add_co_ci_u32_e64 v2, null, s37, 0, s4
	s_lshl_b64 s[0:1], s[30:31], 3
	s_waitcnt lgkmcnt(0)
	s_add_u32 s4, s2, s0
	s_addc_u32 s3, s3, s1
	s_or_b32 s1, s8, s9
	v_cmp_gt_i64_e64 s0, s[14:15], v[1:2]
	s_bitset0_b32 s1, 31
	s_cmp_lg_u32 s1, 0
	s_mov_b32 s1, -1
	s_cbranch_scc1 .LBB255_23
; %bb.12:
	s_and_saveexec_b32 s5, s0
	s_cbranch_execz .LBB255_22
; %bb.13:
	v_mul_lo_u32 v5, v2, s28
	v_mul_lo_u32 v6, v1, s29
	v_mad_u64_u32 v[3:4], null, v1, s28, 0
	v_add3_u32 v4, v4, v6, v5
	v_add_co_u32 v5, s1, s34, v0
	v_add_co_ci_u32_e64 v6, null, s35, 0, s1
	v_lshlrev_b64 v[7:8], 3, v[3:4]
	v_cmp_gt_i64_e32 vcc_lo, s[12:13], v[5:6]
	v_lshlrev_b64 v[3:4], 3, v[5:6]
	v_add_co_u32 v7, s1, s4, v7
	v_add_co_ci_u32_e64 v8, null, s3, v8, s1
	s_and_saveexec_b32 s2, vcc_lo
	s_cbranch_execz .LBB255_15
; %bb.14:
	v_mul_f32_e32 v9, s19, v21
	v_mul_f32_e32 v10, s18, v21
	v_add_co_u32 v15, s1, v7, v3
	v_add_co_ci_u32_e64 v16, null, v8, v4, s1
	v_fma_f32 v9, v20, s18, -v9
	v_fmac_f32_e32 v10, s19, v20
	flat_store_dwordx2 v[15:16], v[9:10]
.LBB255_15:
	s_or_b32 exec_lo, exec_lo, s2
	v_add_co_u32 v5, s1, v5, 16
	v_add_co_ci_u32_e64 v6, null, 0, v6, s1
	v_cmp_gt_i64_e64 s1, s[12:13], v[5:6]
	s_and_saveexec_b32 s6, s1
	s_cbranch_execz .LBB255_17
; %bb.16:
	v_mul_f32_e32 v5, s19, v19
	v_mul_f32_e32 v6, s18, v19
	v_add_co_u32 v9, s2, v7, v3
	v_add_co_ci_u32_e64 v10, null, v8, v4, s2
	v_fma_f32 v5, v18, s18, -v5
	v_fmac_f32_e32 v6, s19, v18
	flat_store_dwordx2 v[9:10], v[5:6] offset:128
.LBB255_17:
	s_or_b32 exec_lo, exec_lo, s6
	v_add_co_u32 v5, s2, v1, 16
	v_add_co_ci_u32_e64 v6, null, 0, v2, s2
	v_cmp_gt_i64_e64 s2, s[14:15], v[5:6]
	s_and_b32 exec_lo, exec_lo, s2
	s_cbranch_execz .LBB255_22
; %bb.18:
	s_lshl_b64 s[6:7], s[28:29], 7
	v_add_co_u32 v5, s2, v7, s6
	v_add_co_ci_u32_e64 v6, null, s7, v8, s2
	v_add_co_u32 v3, s2, v5, v3
	v_add_co_ci_u32_e64 v4, null, v6, v4, s2
	s_and_saveexec_b32 s2, vcc_lo
	s_cbranch_execz .LBB255_20
; %bb.19:
	v_mul_f32_e32 v5, s19, v17
	v_mul_f32_e32 v6, s18, v17
	v_fma_f32 v5, v14, s18, -v5
	v_fmac_f32_e32 v6, s19, v14
	flat_store_dwordx2 v[3:4], v[5:6]
.LBB255_20:
	s_or_b32 exec_lo, exec_lo, s2
	s_and_b32 exec_lo, exec_lo, s1
	s_cbranch_execz .LBB255_22
; %bb.21:
	v_mul_f32_e32 v5, s19, v12
	v_mul_f32_e32 v6, s18, v12
	v_fma_f32 v5, v11, s18, -v5
	v_fmac_f32_e32 v6, s19, v11
	flat_store_dwordx2 v[3:4], v[5:6] offset:128
.LBB255_22:
	s_or_b32 exec_lo, exec_lo, s5
	s_mov_b32 s1, 0
.LBB255_23:
	s_andn2_b32 vcc_lo, exec_lo, s1
	s_cbranch_vccnz .LBB255_34
; %bb.24:
	s_and_saveexec_b32 s1, s0
	s_cbranch_execz .LBB255_34
; %bb.25:
	v_mul_lo_u32 v5, v2, s38
	v_mul_lo_u32 v6, v1, s39
	v_mad_u64_u32 v[3:4], null, v1, s38, 0
	v_mul_lo_u32 v9, v2, s28
	v_mul_lo_u32 v10, v1, s29
	v_mad_u64_u32 v[7:8], null, v1, s28, 0
	s_lshl_b64 s[0:1], s[40:41], 3
	v_add3_u32 v4, v4, v6, v5
	v_add_co_u32 v5, s2, s34, v0
	v_add_co_ci_u32_e64 v6, null, s35, 0, s2
	v_add3_u32 v8, v8, v10, v9
	v_lshlrev_b64 v[3:4], 3, v[3:4]
	s_add_u32 s0, s10, s0
	s_addc_u32 s1, s11, s1
	v_cmp_gt_i64_e32 vcc_lo, s[12:13], v[5:6]
	v_lshlrev_b64 v[8:9], 3, v[7:8]
	v_add_co_u32 v0, s0, s0, v3
	v_add_co_ci_u32_e64 v7, null, s1, v4, s0
	v_add_co_u32 v8, s0, s4, v8
	v_lshlrev_b64 v[3:4], 3, v[5:6]
	v_add_co_ci_u32_e64 v9, null, s3, v9, s0
	s_and_saveexec_b32 s1, vcc_lo
	s_cbranch_execz .LBB255_27
; %bb.26:
	v_add_co_u32 v15, s0, v0, v3
	v_add_co_ci_u32_e64 v16, null, v7, v4, s0
	v_mul_f32_e32 v10, s19, v21
	v_mul_f32_e32 v13, s18, v21
	flat_load_dwordx2 v[15:16], v[15:16]
	v_fma_f32 v10, v20, s18, -v10
	v_fmac_f32_e32 v13, s19, v20
	s_waitcnt vmcnt(0) lgkmcnt(0)
	v_mul_f32_e32 v21, s9, v16
	v_mul_f32_e32 v16, s8, v16
	v_fma_f32 v20, v15, s8, -v21
	v_fmac_f32_e32 v16, s9, v15
	v_add_f32_e32 v15, v10, v20
	v_add_co_u32 v20, s0, v8, v3
	v_add_f32_e32 v16, v13, v16
	v_add_co_ci_u32_e64 v21, null, v9, v4, s0
	flat_store_dwordx2 v[20:21], v[15:16]
.LBB255_27:
	s_or_b32 exec_lo, exec_lo, s1
	v_add_co_u32 v5, s0, v5, 16
	v_add_co_ci_u32_e64 v6, null, 0, v6, s0
	v_cmp_gt_i64_e64 s0, s[12:13], v[5:6]
	s_and_saveexec_b32 s2, s0
	s_cbranch_execz .LBB255_29
; %bb.28:
	v_add_co_u32 v5, s1, v0, v3
	v_add_co_ci_u32_e64 v6, null, v7, v4, s1
	v_mul_f32_e32 v10, s19, v19
	v_mul_f32_e32 v13, s18, v19
	flat_load_dwordx2 v[5:6], v[5:6] offset:128
	v_fma_f32 v10, v18, s18, -v10
	v_fmac_f32_e32 v13, s19, v18
	s_waitcnt vmcnt(0) lgkmcnt(0)
	v_mul_f32_e32 v15, s9, v6
	v_mul_f32_e32 v6, s8, v6
	v_fma_f32 v15, v5, s8, -v15
	v_fmac_f32_e32 v6, s9, v5
	v_add_f32_e32 v5, v10, v15
	v_add_co_u32 v15, s1, v8, v3
	v_add_f32_e32 v6, v13, v6
	v_add_co_ci_u32_e64 v16, null, v9, v4, s1
	flat_store_dwordx2 v[15:16], v[5:6] offset:128
.LBB255_29:
	s_or_b32 exec_lo, exec_lo, s2
	v_add_co_u32 v1, s1, v1, 16
	v_add_co_ci_u32_e64 v2, null, 0, v2, s1
	v_cmp_gt_i64_e64 s1, s[14:15], v[1:2]
	s_and_b32 exec_lo, exec_lo, s1
	s_cbranch_execz .LBB255_34
; %bb.30:
	s_lshl_b64 s[2:3], s[38:39], 7
	v_add_co_u32 v0, s1, v0, s2
	v_add_co_ci_u32_e64 v1, null, s3, v7, s1
	s_lshl_b64 s[2:3], s[28:29], 7
	v_add_co_u32 v2, s1, v8, s2
	v_add_co_ci_u32_e64 v7, null, s3, v9, s1
	v_add_co_u32 v5, s1, v0, v3
	v_add_co_ci_u32_e64 v6, null, v1, v4, s1
	v_add_co_u32 v0, s1, v2, v3
	v_add_co_ci_u32_e64 v1, null, v7, v4, s1
	s_and_saveexec_b32 s1, vcc_lo
	s_cbranch_execz .LBB255_32
; %bb.31:
	flat_load_dwordx2 v[2:3], v[5:6]
	v_mul_f32_e32 v4, s19, v17
	v_mul_f32_e32 v7, s18, v17
	v_fma_f32 v4, v14, s18, -v4
	v_fmac_f32_e32 v7, s19, v14
	s_waitcnt vmcnt(0) lgkmcnt(0)
	v_mul_f32_e32 v8, s9, v3
	v_mul_f32_e32 v3, s8, v3
	v_fma_f32 v8, v2, s8, -v8
	v_fmac_f32_e32 v3, s9, v2
	v_add_f32_e32 v2, v4, v8
	v_add_f32_e32 v3, v7, v3
	flat_store_dwordx2 v[0:1], v[2:3]
.LBB255_32:
	s_or_b32 exec_lo, exec_lo, s1
	s_and_b32 exec_lo, exec_lo, s0
	s_cbranch_execz .LBB255_34
; %bb.33:
	flat_load_dwordx2 v[2:3], v[5:6] offset:128
	v_mul_f32_e32 v4, s19, v12
	v_mul_f32_e32 v5, s18, v12
	v_fma_f32 v4, v11, s18, -v4
	v_fmac_f32_e32 v5, s19, v11
	s_waitcnt vmcnt(0) lgkmcnt(0)
	v_mul_f32_e32 v6, s9, v3
	v_mul_f32_e32 v3, s8, v3
	v_fma_f32 v6, v2, s8, -v6
	v_fmac_f32_e32 v3, s9, v2
	v_add_f32_e32 v2, v4, v6
	v_add_f32_e32 v3, v5, v3
	flat_store_dwordx2 v[0:1], v[2:3] offset:128
.LBB255_34:
	s_endpgm
	.section	.rodata,"a",@progbits
	.p2align	6, 0x0
	.amdhsa_kernel _ZN12_GLOBAL__N_135rocblas_gemm_batched_general_kernelI19rocblas_complex_numIfELi16ELi16ELi32ELi32ELi8ELi32ELi8ELi8ELi32ELc84ELc84EKPKS2_S5_KPS2_EEvlllT_PT11_llSA_llS8_PT12_llPT13_lli
		.amdhsa_group_segment_fixed_size 4096
		.amdhsa_private_segment_fixed_size 0
		.amdhsa_kernarg_size 140
		.amdhsa_user_sgpr_count 6
		.amdhsa_user_sgpr_private_segment_buffer 1
		.amdhsa_user_sgpr_dispatch_ptr 0
		.amdhsa_user_sgpr_queue_ptr 0
		.amdhsa_user_sgpr_kernarg_segment_ptr 1
		.amdhsa_user_sgpr_dispatch_id 0
		.amdhsa_user_sgpr_flat_scratch_init 0
		.amdhsa_user_sgpr_private_segment_size 0
		.amdhsa_wavefront_size32 1
		.amdhsa_uses_dynamic_stack 0
		.amdhsa_system_sgpr_private_segment_wavefront_offset 0
		.amdhsa_system_sgpr_workgroup_id_x 1
		.amdhsa_system_sgpr_workgroup_id_y 1
		.amdhsa_system_sgpr_workgroup_id_z 1
		.amdhsa_system_sgpr_workgroup_info 0
		.amdhsa_system_vgpr_workitem_id 1
		.amdhsa_next_free_vgpr 59
		.amdhsa_next_free_sgpr 46
		.amdhsa_reserve_vcc 1
		.amdhsa_reserve_flat_scratch 0
		.amdhsa_float_round_mode_32 0
		.amdhsa_float_round_mode_16_64 0
		.amdhsa_float_denorm_mode_32 3
		.amdhsa_float_denorm_mode_16_64 3
		.amdhsa_dx10_clamp 1
		.amdhsa_ieee_mode 1
		.amdhsa_fp16_overflow 0
		.amdhsa_workgroup_processor_mode 1
		.amdhsa_memory_ordered 1
		.amdhsa_forward_progress 1
		.amdhsa_shared_vgpr_count 0
		.amdhsa_exception_fp_ieee_invalid_op 0
		.amdhsa_exception_fp_denorm_src 0
		.amdhsa_exception_fp_ieee_div_zero 0
		.amdhsa_exception_fp_ieee_overflow 0
		.amdhsa_exception_fp_ieee_underflow 0
		.amdhsa_exception_fp_ieee_inexact 0
		.amdhsa_exception_int_div_zero 0
	.end_amdhsa_kernel
	.section	.text._ZN12_GLOBAL__N_135rocblas_gemm_batched_general_kernelI19rocblas_complex_numIfELi16ELi16ELi32ELi32ELi8ELi32ELi8ELi8ELi32ELc84ELc84EKPKS2_S5_KPS2_EEvlllT_PT11_llSA_llS8_PT12_llPT13_lli,"axG",@progbits,_ZN12_GLOBAL__N_135rocblas_gemm_batched_general_kernelI19rocblas_complex_numIfELi16ELi16ELi32ELi32ELi8ELi32ELi8ELi8ELi32ELc84ELc84EKPKS2_S5_KPS2_EEvlllT_PT11_llSA_llS8_PT12_llPT13_lli,comdat
.Lfunc_end255:
	.size	_ZN12_GLOBAL__N_135rocblas_gemm_batched_general_kernelI19rocblas_complex_numIfELi16ELi16ELi32ELi32ELi8ELi32ELi8ELi8ELi32ELc84ELc84EKPKS2_S5_KPS2_EEvlllT_PT11_llSA_llS8_PT12_llPT13_lli, .Lfunc_end255-_ZN12_GLOBAL__N_135rocblas_gemm_batched_general_kernelI19rocblas_complex_numIfELi16ELi16ELi32ELi32ELi8ELi32ELi8ELi8ELi32ELc84ELc84EKPKS2_S5_KPS2_EEvlllT_PT11_llSA_llS8_PT12_llPT13_lli
                                        ; -- End function
	.set _ZN12_GLOBAL__N_135rocblas_gemm_batched_general_kernelI19rocblas_complex_numIfELi16ELi16ELi32ELi32ELi8ELi32ELi8ELi8ELi32ELc84ELc84EKPKS2_S5_KPS2_EEvlllT_PT11_llSA_llS8_PT12_llPT13_lli.num_vgpr, 59
	.set _ZN12_GLOBAL__N_135rocblas_gemm_batched_general_kernelI19rocblas_complex_numIfELi16ELi16ELi32ELi32ELi8ELi32ELi8ELi8ELi32ELc84ELc84EKPKS2_S5_KPS2_EEvlllT_PT11_llSA_llS8_PT12_llPT13_lli.num_agpr, 0
	.set _ZN12_GLOBAL__N_135rocblas_gemm_batched_general_kernelI19rocblas_complex_numIfELi16ELi16ELi32ELi32ELi8ELi32ELi8ELi8ELi32ELc84ELc84EKPKS2_S5_KPS2_EEvlllT_PT11_llSA_llS8_PT12_llPT13_lli.numbered_sgpr, 46
	.set _ZN12_GLOBAL__N_135rocblas_gemm_batched_general_kernelI19rocblas_complex_numIfELi16ELi16ELi32ELi32ELi8ELi32ELi8ELi8ELi32ELc84ELc84EKPKS2_S5_KPS2_EEvlllT_PT11_llSA_llS8_PT12_llPT13_lli.num_named_barrier, 0
	.set _ZN12_GLOBAL__N_135rocblas_gemm_batched_general_kernelI19rocblas_complex_numIfELi16ELi16ELi32ELi32ELi8ELi32ELi8ELi8ELi32ELc84ELc84EKPKS2_S5_KPS2_EEvlllT_PT11_llSA_llS8_PT12_llPT13_lli.private_seg_size, 0
	.set _ZN12_GLOBAL__N_135rocblas_gemm_batched_general_kernelI19rocblas_complex_numIfELi16ELi16ELi32ELi32ELi8ELi32ELi8ELi8ELi32ELc84ELc84EKPKS2_S5_KPS2_EEvlllT_PT11_llSA_llS8_PT12_llPT13_lli.uses_vcc, 1
	.set _ZN12_GLOBAL__N_135rocblas_gemm_batched_general_kernelI19rocblas_complex_numIfELi16ELi16ELi32ELi32ELi8ELi32ELi8ELi8ELi32ELc84ELc84EKPKS2_S5_KPS2_EEvlllT_PT11_llSA_llS8_PT12_llPT13_lli.uses_flat_scratch, 0
	.set _ZN12_GLOBAL__N_135rocblas_gemm_batched_general_kernelI19rocblas_complex_numIfELi16ELi16ELi32ELi32ELi8ELi32ELi8ELi8ELi32ELc84ELc84EKPKS2_S5_KPS2_EEvlllT_PT11_llSA_llS8_PT12_llPT13_lli.has_dyn_sized_stack, 0
	.set _ZN12_GLOBAL__N_135rocblas_gemm_batched_general_kernelI19rocblas_complex_numIfELi16ELi16ELi32ELi32ELi8ELi32ELi8ELi8ELi32ELc84ELc84EKPKS2_S5_KPS2_EEvlllT_PT11_llSA_llS8_PT12_llPT13_lli.has_recursion, 0
	.set _ZN12_GLOBAL__N_135rocblas_gemm_batched_general_kernelI19rocblas_complex_numIfELi16ELi16ELi32ELi32ELi8ELi32ELi8ELi8ELi32ELc84ELc84EKPKS2_S5_KPS2_EEvlllT_PT11_llSA_llS8_PT12_llPT13_lli.has_indirect_call, 0
	.section	.AMDGPU.csdata,"",@progbits
; Kernel info:
; codeLenInByte = 2988
; TotalNumSgprs: 48
; NumVgprs: 59
; ScratchSize: 0
; MemoryBound: 1
; FloatMode: 240
; IeeeMode: 1
; LDSByteSize: 4096 bytes/workgroup (compile time only)
; SGPRBlocks: 0
; VGPRBlocks: 7
; NumSGPRsForWavesPerEU: 48
; NumVGPRsForWavesPerEU: 59
; Occupancy: 16
; WaveLimiterHint : 1
; COMPUTE_PGM_RSRC2:SCRATCH_EN: 0
; COMPUTE_PGM_RSRC2:USER_SGPR: 6
; COMPUTE_PGM_RSRC2:TRAP_HANDLER: 0
; COMPUTE_PGM_RSRC2:TGID_X_EN: 1
; COMPUTE_PGM_RSRC2:TGID_Y_EN: 1
; COMPUTE_PGM_RSRC2:TGID_Z_EN: 1
; COMPUTE_PGM_RSRC2:TIDIG_COMP_CNT: 1
	.section	.text._ZN12_GLOBAL__N_135rocblas_gemm_batched_general_kernelI19rocblas_complex_numIfELi16ELi16ELi32ELi32ELi8ELi32ELi8ELi8ELi32ELc67ELc67EKPKS2_S5_KPS2_EEvlllT_PT11_llSA_llS8_PT12_llPT13_lli,"axG",@progbits,_ZN12_GLOBAL__N_135rocblas_gemm_batched_general_kernelI19rocblas_complex_numIfELi16ELi16ELi32ELi32ELi8ELi32ELi8ELi8ELi32ELc67ELc67EKPKS2_S5_KPS2_EEvlllT_PT11_llSA_llS8_PT12_llPT13_lli,comdat
	.globl	_ZN12_GLOBAL__N_135rocblas_gemm_batched_general_kernelI19rocblas_complex_numIfELi16ELi16ELi32ELi32ELi8ELi32ELi8ELi8ELi32ELc67ELc67EKPKS2_S5_KPS2_EEvlllT_PT11_llSA_llS8_PT12_llPT13_lli ; -- Begin function _ZN12_GLOBAL__N_135rocblas_gemm_batched_general_kernelI19rocblas_complex_numIfELi16ELi16ELi32ELi32ELi8ELi32ELi8ELi8ELi32ELc67ELc67EKPKS2_S5_KPS2_EEvlllT_PT11_llSA_llS8_PT12_llPT13_lli
	.p2align	8
	.type	_ZN12_GLOBAL__N_135rocblas_gemm_batched_general_kernelI19rocblas_complex_numIfELi16ELi16ELi32ELi32ELi8ELi32ELi8ELi8ELi32ELc67ELc67EKPKS2_S5_KPS2_EEvlllT_PT11_llSA_llS8_PT12_llPT13_lli,@function
_ZN12_GLOBAL__N_135rocblas_gemm_batched_general_kernelI19rocblas_complex_numIfELi16ELi16ELi32ELi32ELi8ELi32ELi8ELi8ELi32ELc67ELc67EKPKS2_S5_KPS2_EEvlllT_PT11_llSA_llS8_PT12_llPT13_lli: ; @_ZN12_GLOBAL__N_135rocblas_gemm_batched_general_kernelI19rocblas_complex_numIfELi16ELi16ELi32ELi32ELi8ELi32ELi8ELi8ELi32ELc67ELc67EKPKS2_S5_KPS2_EEvlllT_PT11_llSA_llS8_PT12_llPT13_lli
; %bb.0:
	s_clause 0x1
	s_load_dwordx8 s[36:43], s[4:5], 0x58
	s_load_dwordx16 s[12:27], s[4:5], 0x0
	s_mov_b32 s9, 0
	s_load_dwordx4 s[28:31], s[4:5], 0x78
	s_lshl_b64 s[44:45], s[8:9], 3
	s_load_dwordx2 s[8:9], s[4:5], 0x50
	s_mov_b32 s0, s7
	v_mov_b32_e32 v19, 0
	v_mov_b32_e32 v20, 0
	;; [unrolled: 1-line block ×8, first 2 shown]
	s_waitcnt lgkmcnt(0)
	s_add_u32 s2, s36, s44
	s_addc_u32 s3, s37, s45
	s_add_u32 s34, s42, s44
	s_addc_u32 s35, s43, s45
	s_load_dwordx2 s[10:11], s[2:3], 0x0
	s_load_dwordx2 s[2:3], s[34:35], 0x0
	v_cmp_lt_i64_e64 s33, s[16:17], 1
	s_ashr_i32 s7, s6, 31
	s_ashr_i32 s1, s0, 31
	s_lshl_b64 s[34:35], s[6:7], 5
	s_lshl_b64 s[36:37], s[0:1], 5
	s_and_b32 vcc_lo, exec_lo, s33
	s_cbranch_vccnz .LBB256_11
; %bb.1:
	s_load_dwordx4 s[4:7], s[4:5], 0x40
	v_and_b32_e32 v7, 7, v0
	v_lshl_add_u32 v2, v1, 4, v0
	v_mov_b32_e32 v6, 0
	s_add_u32 s26, s26, s44
	s_addc_u32 s27, s27, s45
	s_add_u32 s20, s20, s44
	v_lshrrev_b32_e32 v15, 3, v2
	v_and_b32_e32 v16, 31, v2
	s_addc_u32 s21, s21, s45
	s_lshl_b64 s[42:43], s[0:1], 8
	v_mov_b32_e32 v3, s35
	v_add_co_u32 v10, s0, v15, s36
	v_add_co_ci_u32_e64 v11, null, 0, s37, s0
	v_lshrrev_b32_e32 v12, 5, v2
	v_lshlrev_b32_e32 v17, 3, v7
	v_and_b32_e32 v18, 0x1ff8, v2
	v_or_b32_e32 v2, s34, v16
	s_waitcnt lgkmcnt(0)
	v_mad_u64_u32 v[4:5], null, s4, v7, 0
	v_lshl_or_b32 v15, v15, 6, v17
	s_load_dwordx2 s[26:27], s[26:27], 0x0
	v_cmp_gt_i64_e32 vcc_lo, s[12:13], v[2:3]
	s_lshl_b64 s[6:7], s[6:7], 3
	s_load_dwordx2 s[20:21], s[20:21], 0x0
	s_add_u32 s1, s6, s42
	v_mad_u64_u32 v[13:14], null, s5, v7, v[5:6]
	v_add_co_u32 v14, s0, s34, v16
	v_add_co_ci_u32_e64 v5, null, s35, 0, s0
	s_addc_u32 s6, s7, s43
	v_mul_lo_u32 v17, s23, v14
	v_mad_u64_u32 v[2:3], null, s22, v14, 0
	v_mul_lo_u32 v19, s22, v5
	v_mov_b32_e32 v5, v13
	v_cmp_gt_i64_e64 s0, s[14:15], v[10:11]
	v_lshlrev_b32_e32 v13, 3, v12
	v_lshlrev_b32_e32 v16, 3, v16
	;; [unrolled: 1-line block ×3, first 2 shown]
	v_lshlrev_b64 v[4:5], 3, v[4:5]
	v_lshl_add_u32 v9, v1, 6, 0x800
	v_add3_u32 v3, v3, v19, v17
	v_lshl_or_b32 v14, v12, 8, v16
	v_add_nc_u32_e32 v15, 0x800, v15
	v_mov_b32_e32 v16, 0
	v_add_co_u32 v4, s1, s1, v4
	v_lshlrev_b64 v[2:3], 3, v[2:3]
	v_add_co_ci_u32_e64 v5, null, s6, v5, s1
	v_add_co_u32 v4, s1, v4, v18
	s_lshl_b64 s[6:7], s[24:25], 3
	v_add_co_ci_u32_e64 v5, null, 0, v5, s1
	v_add_co_u32 v10, s1, v2, s6
	v_add_co_ci_u32_e64 v11, null, s7, v3, s1
	s_waitcnt lgkmcnt(0)
	v_add_co_u32 v2, s1, s26, v4
	v_add_co_ci_u32_e64 v3, null, s27, v5, s1
	v_add_co_u32 v4, s1, v10, v13
	v_add_co_ci_u32_e64 v5, null, 0, v11, s1
	v_mov_b32_e32 v11, 0
	v_add_co_u32 v4, s1, s20, v4
	v_add_co_ci_u32_e64 v5, null, s21, v5, s1
	v_mov_b32_e32 v10, 0
	v_mov_b32_e32 v13, 0
	;; [unrolled: 1-line block ×6, first 2 shown]
	s_lshl_b64 s[4:5], s[4:5], 6
	s_mov_b64 s[6:7], 0
	s_xor_b32 s1, vcc_lo, -1
	s_xor_b32 s0, s0, -1
	s_branch .LBB256_3
.LBB256_2:                              ;   in Loop: Header=BB256_3 Depth=1
	s_or_b32 exec_lo, exec_lo, s20
	ds_write_b32 v15, v21 offset:4
	s_waitcnt lgkmcnt(0)
	s_barrier
	buffer_gl0_inv
	ds_read_b128 v[21:24], v9
	ds_read2_b64 v[25:28], v8 offset1:16
	ds_read_b128 v[29:32], v9 offset:1024
	ds_read_b128 v[33:36], v9 offset:16
	;; [unrolled: 1-line block ×4, first 2 shown]
	ds_read2_b64 v[45:48], v8 offset0:32 offset1:48
	ds_read_b128 v[49:52], v9 offset:1040
	s_add_u32 s6, s6, 8
	s_addc_u32 s7, s7, 0
	v_add_co_u32 v2, vcc_lo, v2, s4
	v_cmp_lt_i64_e64 s20, s[6:7], s[16:17]
	v_add_co_ci_u32_e64 v3, null, s5, v3, vcc_lo
	v_add_co_u32 v4, vcc_lo, v4, 64
	v_add_co_ci_u32_e64 v5, null, 0, v5, vcc_lo
	s_and_b32 vcc_lo, exec_lo, s20
	s_waitcnt lgkmcnt(6)
	v_mul_f32_e32 v53, v22, v26
	v_mul_f32_e32 v54, v21, v26
	;; [unrolled: 1-line block ×4, first 2 shown]
	s_waitcnt lgkmcnt(5)
	v_mul_f32_e32 v57, v30, v26
	v_mul_f32_e32 v26, v29, v26
	;; [unrolled: 1-line block ×3, first 2 shown]
	v_fma_f32 v53, v21, v25, -v53
	v_fmac_f32_e32 v54, v22, v25
	v_fma_f32 v21, v21, v27, -v55
	v_fmac_f32_e32 v56, v22, v27
	;; [unrolled: 2-line block ×3, first 2 shown]
	v_mul_f32_e32 v28, v29, v28
	v_fma_f32 v25, v29, v27, -v58
	v_add_f32_e32 v29, v19, v53
	v_add_f32_e32 v21, v17, v21
	;; [unrolled: 1-line block ×5, first 2 shown]
	ds_read2_b64 v[16:19], v8 offset0:64 offset1:80
	s_waitcnt lgkmcnt(2)
	v_mul_f32_e32 v26, v24, v46
	v_fmac_f32_e32 v28, v30, v27
	v_mul_f32_e32 v27, v24, v48
	v_add_f32_e32 v10, v10, v25
	v_mul_f32_e32 v25, v23, v46
	v_fma_f32 v26, v23, v45, -v26
	v_add_f32_e32 v11, v11, v28
	v_mul_f32_e32 v28, v23, v48
	v_fma_f32 v23, v23, v47, -v27
	v_mul_f32_e32 v27, v32, v46
	v_add_f32_e32 v20, v20, v54
	v_fmac_f32_e32 v25, v24, v45
	v_fmac_f32_e32 v28, v24, v47
	v_add_f32_e32 v24, v21, v23
	v_fma_f32 v21, v31, v45, -v27
	v_mul_f32_e32 v23, v32, v48
	v_add_f32_e32 v25, v20, v25
	v_mul_f32_e32 v20, v31, v46
	v_add_f32_e32 v27, v53, v28
	;; [unrolled: 2-line block ×3, first 2 shown]
	v_fma_f32 v21, v31, v47, -v23
	s_waitcnt lgkmcnt(0)
	v_mul_f32_e32 v23, v34, v17
	v_add_f32_e32 v26, v29, v26
	v_fmac_f32_e32 v20, v32, v45
	v_fmac_f32_e32 v28, v32, v47
	v_mul_f32_e32 v30, v33, v17
	v_fma_f32 v31, v33, v16, -v23
	v_mul_f32_e32 v32, v34, v19
	v_add_f32_e32 v29, v22, v20
	v_add_f32_e32 v10, v10, v21
	ds_read2_b64 v[20:23], v8 offset0:96 offset1:112
	v_fmac_f32_e32 v30, v34, v16
	v_add_f32_e32 v26, v26, v31
	v_fma_f32 v31, v33, v18, -v32
	v_add_f32_e32 v11, v11, v28
	v_mul_f32_e32 v28, v33, v19
	v_add_f32_e32 v25, v25, v30
	v_mul_f32_e32 v30, v50, v17
	v_mul_f32_e32 v17, v49, v17
	v_add_f32_e32 v24, v24, v31
	v_mul_f32_e32 v31, v50, v19
	v_mul_f32_e32 v32, v49, v19
	v_fma_f32 v30, v49, v16, -v30
	v_fmac_f32_e32 v17, v50, v16
	v_fmac_f32_e32 v28, v34, v18
	v_fma_f32 v16, v49, v18, -v31
	v_fmac_f32_e32 v32, v50, v18
	v_add_f32_e32 v13, v13, v30
	v_add_f32_e32 v29, v29, v17
	;; [unrolled: 1-line block ×4, first 2 shown]
	ds_read2_b64 v[16:19], v8 offset0:128 offset1:144
	s_waitcnt lgkmcnt(1)
	v_mul_f32_e32 v27, v36, v21
	v_mul_f32_e32 v31, v36, v23
	;; [unrolled: 1-line block ×3, first 2 shown]
	v_add_f32_e32 v11, v11, v32
	v_mul_f32_e32 v32, v35, v23
	v_fma_f32 v27, v35, v20, -v27
	v_fma_f32 v31, v35, v22, -v31
	v_fmac_f32_e32 v30, v36, v20
	v_fmac_f32_e32 v32, v36, v22
	v_add_f32_e32 v33, v26, v27
	v_mul_f32_e32 v26, v52, v21
	v_add_f32_e32 v35, v24, v31
	v_mul_f32_e32 v21, v51, v21
	v_mul_f32_e32 v31, v52, v23
	v_add_f32_e32 v34, v25, v30
	v_fma_f32 v30, v51, v20, -v26
	ds_read_b128 v[24:27], v9 offset:1056
	v_add_f32_e32 v32, v28, v32
	v_fmac_f32_e32 v21, v52, v20
	v_mul_f32_e32 v28, v51, v23
	v_fma_f32 v20, v51, v22, -v31
	s_waitcnt lgkmcnt(1)
	v_mul_f32_e32 v23, v38, v17
	v_add_f32_e32 v13, v13, v30
	v_add_f32_e32 v36, v29, v21
	v_fmac_f32_e32 v28, v52, v22
	v_add_f32_e32 v10, v10, v20
	v_fma_f32 v29, v37, v16, -v23
	ds_read2_b64 v[20:23], v8 offset0:160 offset1:176
	v_mul_f32_e32 v45, v37, v17
	v_mul_f32_e32 v30, v38, v19
	;; [unrolled: 1-line block ×3, first 2 shown]
	v_add_f32_e32 v11, v11, v28
	v_add_f32_e32 v33, v33, v29
	v_fmac_f32_e32 v45, v38, v16
	v_fma_f32 v37, v37, v18, -v30
	ds_read_b128 v[28:31], v9 offset:1072
	s_waitcnt lgkmcnt(2)
	v_mul_f32_e32 v47, v25, v17
	v_fmac_f32_e32 v46, v38, v18
	v_mul_f32_e32 v17, v24, v17
	v_mul_f32_e32 v38, v25, v19
	v_add_f32_e32 v34, v34, v45
	v_add_f32_e32 v35, v35, v37
	v_fma_f32 v37, v24, v16, -v47
	v_fmac_f32_e32 v17, v25, v16
	v_mul_f32_e32 v45, v24, v19
	v_fma_f32 v16, v24, v18, -v38
	v_add_f32_e32 v32, v32, v46
	s_waitcnt lgkmcnt(1)
	v_mul_f32_e32 v19, v40, v21
	v_add_f32_e32 v13, v13, v37
	v_add_f32_e32 v24, v36, v17
	v_fmac_f32_e32 v45, v25, v18
	v_mul_f32_e32 v25, v39, v21
	v_add_f32_e32 v10, v10, v16
	v_fma_f32 v36, v39, v20, -v19
	ds_read2_b64 v[16:19], v8 offset0:192 offset1:208
	v_mul_f32_e32 v37, v40, v23
	v_fmac_f32_e32 v25, v40, v20
	v_add_f32_e32 v11, v11, v45
	v_add_f32_e32 v33, v33, v36
	v_mul_f32_e32 v36, v39, v23
	v_fma_f32 v37, v39, v22, -v37
	v_add_f32_e32 v25, v34, v25
	v_mul_f32_e32 v34, v27, v21
	v_mul_f32_e32 v21, v26, v21
	v_fmac_f32_e32 v36, v40, v22
	v_add_f32_e32 v35, v35, v37
	v_mul_f32_e32 v37, v27, v23
	v_fma_f32 v34, v26, v20, -v34
	v_fmac_f32_e32 v21, v27, v20
	v_add_f32_e32 v20, v32, v36
	v_mul_f32_e32 v32, v26, v23
	v_fma_f32 v23, v26, v22, -v37
	v_add_f32_e32 v13, v13, v34
	v_add_f32_e32 v26, v24, v21
	s_waitcnt lgkmcnt(0)
	v_mul_f32_e32 v34, v42, v17
	v_fmac_f32_e32 v32, v27, v22
	v_add_f32_e32 v10, v10, v23
	ds_read2_b64 v[21:24], v8 offset0:224 offset1:240
	v_mul_f32_e32 v27, v41, v17
	v_fma_f32 v34, v41, v16, -v34
	v_add_f32_e32 v11, v11, v32
	v_mul_f32_e32 v32, v42, v19
	v_mul_f32_e32 v36, v41, v19
	v_fmac_f32_e32 v27, v42, v16
	v_add_f32_e32 v33, v33, v34
	v_mul_f32_e32 v34, v29, v17
	v_mul_f32_e32 v17, v28, v17
	v_fma_f32 v32, v41, v18, -v32
	v_add_f32_e32 v25, v25, v27
	v_fmac_f32_e32 v36, v42, v18
	v_fma_f32 v27, v28, v16, -v34
	v_mul_f32_e32 v34, v29, v19
	v_fmac_f32_e32 v17, v29, v16
	v_mul_f32_e32 v16, v28, v19
	v_add_f32_e32 v32, v35, v32
	v_add_f32_e32 v13, v13, v27
	v_add_f32_e32 v35, v20, v36
	s_waitcnt lgkmcnt(0)
	v_mul_f32_e32 v27, v43, v22
	v_fma_f32 v19, v28, v18, -v34
	v_mul_f32_e32 v20, v44, v22
	v_fmac_f32_e32 v16, v29, v18
	v_mul_f32_e32 v18, v44, v24
	v_fmac_f32_e32 v27, v44, v21
	v_add_f32_e32 v26, v26, v17
	v_fma_f32 v17, v43, v21, -v20
	v_mul_f32_e32 v28, v43, v24
	v_add_f32_e32 v11, v11, v16
	v_add_f32_e32 v20, v25, v27
	v_fma_f32 v16, v43, v23, -v18
	v_mul_f32_e32 v18, v31, v22
	v_mul_f32_e32 v22, v30, v22
	;; [unrolled: 1-line block ×4, first 2 shown]
	v_add_f32_e32 v10, v10, v19
	v_add_f32_e32 v19, v33, v17
	v_fmac_f32_e32 v28, v44, v23
	v_add_f32_e32 v17, v32, v16
	v_fma_f32 v16, v30, v21, -v18
	v_fmac_f32_e32 v22, v31, v21
	v_fma_f32 v21, v30, v23, -v25
	v_fmac_f32_e32 v24, v31, v23
	v_add_f32_e32 v18, v35, v28
	v_add_f32_e32 v13, v13, v16
	;; [unrolled: 1-line block ×5, first 2 shown]
	s_barrier
	buffer_gl0_inv
	s_cbranch_vccz .LBB256_11
.LBB256_3:                              ; =>This Inner Loop Header: Depth=1
	v_add_co_u32 v21, s20, v12, s6
	v_add_co_ci_u32_e64 v22, null, 0, s7, s20
	v_cmp_le_i64_e32 vcc_lo, s[16:17], v[21:22]
	s_or_b32 s20, s1, vcc_lo
	s_and_saveexec_b32 s21, s20
	s_xor_b32 s20, exec_lo, s21
; %bb.4:                                ;   in Loop: Header=BB256_3 Depth=1
	ds_write_b32 v14, v6
; %bb.5:                                ;   in Loop: Header=BB256_3 Depth=1
	s_or_saveexec_b32 s20, s20
	v_mov_b32_e32 v21, 0
	s_xor_b32 exec_lo, exec_lo, s20
	s_cbranch_execz .LBB256_7
; %bb.6:                                ;   in Loop: Header=BB256_3 Depth=1
	flat_load_dwordx2 v[22:23], v[4:5]
	s_waitcnt vmcnt(0) lgkmcnt(0)
	v_xor_b32_e32 v21, 0x80000000, v23
	ds_write_b32 v14, v22
.LBB256_7:                              ;   in Loop: Header=BB256_3 Depth=1
	s_or_b32 exec_lo, exec_lo, s20
	v_add_co_u32 v22, s20, v7, s6
	v_add_co_ci_u32_e64 v23, null, 0, s7, s20
	ds_write_b32 v14, v21 offset:4
	v_cmp_le_i64_e32 vcc_lo, s[16:17], v[22:23]
	s_or_b32 s20, vcc_lo, s0
	s_and_saveexec_b32 s21, s20
	s_xor_b32 s20, exec_lo, s21
; %bb.8:                                ;   in Loop: Header=BB256_3 Depth=1
	ds_write_b32 v15, v6
; %bb.9:                                ;   in Loop: Header=BB256_3 Depth=1
	s_or_saveexec_b32 s20, s20
	v_mov_b32_e32 v21, 0
	s_xor_b32 exec_lo, exec_lo, s20
	s_cbranch_execz .LBB256_2
; %bb.10:                               ;   in Loop: Header=BB256_3 Depth=1
	flat_load_dwordx2 v[22:23], v[2:3]
	s_waitcnt vmcnt(0) lgkmcnt(0)
	v_xor_b32_e32 v21, 0x80000000, v23
	ds_write_b32 v15, v22
	s_branch .LBB256_2
.LBB256_11:
	v_add_co_u32 v1, s4, s36, v1
	v_add_co_ci_u32_e64 v2, null, s37, 0, s4
	s_lshl_b64 s[0:1], s[30:31], 3
	s_waitcnt lgkmcnt(0)
	s_add_u32 s4, s2, s0
	s_addc_u32 s3, s3, s1
	s_or_b32 s1, s8, s9
	v_cmp_gt_i64_e64 s0, s[14:15], v[1:2]
	s_bitset0_b32 s1, 31
	s_cmp_lg_u32 s1, 0
	s_mov_b32 s1, -1
	s_cbranch_scc1 .LBB256_23
; %bb.12:
	s_and_saveexec_b32 s5, s0
	s_cbranch_execz .LBB256_22
; %bb.13:
	v_mul_lo_u32 v5, v2, s28
	v_mul_lo_u32 v6, v1, s29
	v_mad_u64_u32 v[3:4], null, v1, s28, 0
	v_add3_u32 v4, v4, v6, v5
	v_add_co_u32 v5, s1, s34, v0
	v_add_co_ci_u32_e64 v6, null, s35, 0, s1
	v_lshlrev_b64 v[7:8], 3, v[3:4]
	v_cmp_gt_i64_e32 vcc_lo, s[12:13], v[5:6]
	v_lshlrev_b64 v[3:4], 3, v[5:6]
	v_add_co_u32 v7, s1, s4, v7
	v_add_co_ci_u32_e64 v8, null, s3, v8, s1
	s_and_saveexec_b32 s2, vcc_lo
	s_cbranch_execz .LBB256_15
; %bb.14:
	v_mul_f32_e32 v9, s19, v20
	v_mul_f32_e32 v15, s18, v20
	v_add_co_u32 v21, s1, v7, v3
	v_add_co_ci_u32_e64 v22, null, v8, v4, s1
	v_fma_f32 v14, v19, s18, -v9
	v_fmac_f32_e32 v15, s19, v19
	flat_store_dwordx2 v[21:22], v[14:15]
.LBB256_15:
	s_or_b32 exec_lo, exec_lo, s2
	v_add_co_u32 v5, s1, v5, 16
	v_add_co_ci_u32_e64 v6, null, 0, v6, s1
	v_cmp_gt_i64_e64 s1, s[12:13], v[5:6]
	s_and_saveexec_b32 s6, s1
	s_cbranch_execz .LBB256_17
; %bb.16:
	v_mul_f32_e32 v5, s19, v18
	v_mul_f32_e32 v6, s18, v18
	v_add_co_u32 v14, s2, v7, v3
	v_add_co_ci_u32_e64 v15, null, v8, v4, s2
	v_fma_f32 v5, v17, s18, -v5
	v_fmac_f32_e32 v6, s19, v17
	flat_store_dwordx2 v[14:15], v[5:6] offset:128
.LBB256_17:
	s_or_b32 exec_lo, exec_lo, s6
	v_add_co_u32 v5, s2, v1, 16
	v_add_co_ci_u32_e64 v6, null, 0, v2, s2
	v_cmp_gt_i64_e64 s2, s[14:15], v[5:6]
	s_and_b32 exec_lo, exec_lo, s2
	s_cbranch_execz .LBB256_22
; %bb.18:
	s_lshl_b64 s[6:7], s[28:29], 7
	v_add_co_u32 v5, s2, v7, s6
	v_add_co_ci_u32_e64 v6, null, s7, v8, s2
	v_add_co_u32 v3, s2, v5, v3
	v_add_co_ci_u32_e64 v4, null, v6, v4, s2
	s_and_saveexec_b32 s2, vcc_lo
	s_cbranch_execz .LBB256_20
; %bb.19:
	v_mul_f32_e32 v5, s19, v16
	v_mul_f32_e32 v6, s18, v16
	v_fma_f32 v5, v13, s18, -v5
	v_fmac_f32_e32 v6, s19, v13
	flat_store_dwordx2 v[3:4], v[5:6]
.LBB256_20:
	s_or_b32 exec_lo, exec_lo, s2
	s_and_b32 exec_lo, exec_lo, s1
	s_cbranch_execz .LBB256_22
; %bb.21:
	v_mul_f32_e32 v5, s19, v11
	v_mul_f32_e32 v6, s18, v11
	v_fma_f32 v5, v10, s18, -v5
	v_fmac_f32_e32 v6, s19, v10
	flat_store_dwordx2 v[3:4], v[5:6] offset:128
.LBB256_22:
	s_or_b32 exec_lo, exec_lo, s5
	s_mov_b32 s1, 0
.LBB256_23:
	s_andn2_b32 vcc_lo, exec_lo, s1
	s_cbranch_vccnz .LBB256_34
; %bb.24:
	s_and_saveexec_b32 s1, s0
	s_cbranch_execz .LBB256_34
; %bb.25:
	v_mul_lo_u32 v5, v2, s38
	v_mul_lo_u32 v6, v1, s39
	v_mad_u64_u32 v[3:4], null, v1, s38, 0
	v_mul_lo_u32 v9, v2, s28
	v_mul_lo_u32 v12, v1, s29
	v_mad_u64_u32 v[7:8], null, v1, s28, 0
	s_lshl_b64 s[0:1], s[40:41], 3
	v_add3_u32 v4, v4, v6, v5
	v_add_co_u32 v5, s2, s34, v0
	v_add_co_ci_u32_e64 v6, null, s35, 0, s2
	v_add3_u32 v8, v8, v12, v9
	v_lshlrev_b64 v[3:4], 3, v[3:4]
	s_add_u32 s0, s10, s0
	s_addc_u32 s1, s11, s1
	v_cmp_gt_i64_e32 vcc_lo, s[12:13], v[5:6]
	v_lshlrev_b64 v[8:9], 3, v[7:8]
	v_add_co_u32 v0, s0, s0, v3
	v_add_co_ci_u32_e64 v7, null, s1, v4, s0
	v_add_co_u32 v8, s0, s4, v8
	v_lshlrev_b64 v[3:4], 3, v[5:6]
	v_add_co_ci_u32_e64 v9, null, s3, v9, s0
	s_and_saveexec_b32 s1, vcc_lo
	s_cbranch_execz .LBB256_27
; %bb.26:
	v_add_co_u32 v14, s0, v0, v3
	v_add_co_ci_u32_e64 v15, null, v7, v4, s0
	v_mul_f32_e32 v12, s19, v20
	v_mul_f32_e32 v20, s18, v20
	flat_load_dwordx2 v[14:15], v[14:15]
	v_fma_f32 v12, v19, s18, -v12
	v_fmac_f32_e32 v20, s19, v19
	s_waitcnt vmcnt(0) lgkmcnt(0)
	v_mul_f32_e32 v21, s9, v15
	v_mul_f32_e32 v15, s8, v15
	v_fma_f32 v19, v14, s8, -v21
	v_fmac_f32_e32 v15, s9, v14
	v_add_f32_e32 v14, v12, v19
	v_add_co_u32 v19, s0, v8, v3
	v_add_f32_e32 v15, v20, v15
	v_add_co_ci_u32_e64 v20, null, v9, v4, s0
	flat_store_dwordx2 v[19:20], v[14:15]
.LBB256_27:
	s_or_b32 exec_lo, exec_lo, s1
	v_add_co_u32 v5, s0, v5, 16
	v_add_co_ci_u32_e64 v6, null, 0, v6, s0
	v_cmp_gt_i64_e64 s0, s[12:13], v[5:6]
	s_and_saveexec_b32 s2, s0
	s_cbranch_execz .LBB256_29
; %bb.28:
	v_add_co_u32 v5, s1, v0, v3
	v_add_co_ci_u32_e64 v6, null, v7, v4, s1
	v_mul_f32_e32 v14, s18, v18
	v_mul_f32_e32 v12, s19, v18
	flat_load_dwordx2 v[5:6], v[5:6] offset:128
	v_fmac_f32_e32 v14, s19, v17
	v_fma_f32 v12, v17, s18, -v12
	s_waitcnt vmcnt(0) lgkmcnt(0)
	v_mul_f32_e32 v15, s9, v6
	v_mul_f32_e32 v6, s8, v6
	v_fma_f32 v15, v5, s8, -v15
	v_fmac_f32_e32 v6, s9, v5
	v_add_f32_e32 v5, v12, v15
	v_add_f32_e32 v6, v14, v6
	v_add_co_u32 v14, s1, v8, v3
	v_add_co_ci_u32_e64 v15, null, v9, v4, s1
	flat_store_dwordx2 v[14:15], v[5:6] offset:128
.LBB256_29:
	s_or_b32 exec_lo, exec_lo, s2
	v_add_co_u32 v1, s1, v1, 16
	v_add_co_ci_u32_e64 v2, null, 0, v2, s1
	v_cmp_gt_i64_e64 s1, s[14:15], v[1:2]
	s_and_b32 exec_lo, exec_lo, s1
	s_cbranch_execz .LBB256_34
; %bb.30:
	s_lshl_b64 s[2:3], s[38:39], 7
	v_add_co_u32 v0, s1, v0, s2
	v_add_co_ci_u32_e64 v1, null, s3, v7, s1
	s_lshl_b64 s[2:3], s[28:29], 7
	v_add_co_u32 v2, s1, v8, s2
	v_add_co_ci_u32_e64 v7, null, s3, v9, s1
	v_add_co_u32 v5, s1, v0, v3
	v_add_co_ci_u32_e64 v6, null, v1, v4, s1
	v_add_co_u32 v0, s1, v2, v3
	v_add_co_ci_u32_e64 v1, null, v7, v4, s1
	s_and_saveexec_b32 s1, vcc_lo
	s_cbranch_execz .LBB256_32
; %bb.31:
	flat_load_dwordx2 v[2:3], v[5:6]
	v_mul_f32_e32 v4, s19, v16
	v_mul_f32_e32 v7, s18, v16
	v_fma_f32 v4, v13, s18, -v4
	v_fmac_f32_e32 v7, s19, v13
	s_waitcnt vmcnt(0) lgkmcnt(0)
	v_mul_f32_e32 v8, s9, v3
	v_mul_f32_e32 v3, s8, v3
	v_fma_f32 v8, v2, s8, -v8
	v_fmac_f32_e32 v3, s9, v2
	v_add_f32_e32 v2, v4, v8
	v_add_f32_e32 v3, v7, v3
	flat_store_dwordx2 v[0:1], v[2:3]
.LBB256_32:
	s_or_b32 exec_lo, exec_lo, s1
	s_and_b32 exec_lo, exec_lo, s0
	s_cbranch_execz .LBB256_34
; %bb.33:
	flat_load_dwordx2 v[2:3], v[5:6] offset:128
	v_mul_f32_e32 v4, s19, v11
	v_mul_f32_e32 v5, s18, v11
	v_fma_f32 v4, v10, s18, -v4
	v_fmac_f32_e32 v5, s19, v10
	s_waitcnt vmcnt(0) lgkmcnt(0)
	v_mul_f32_e32 v6, s9, v3
	v_mul_f32_e32 v3, s8, v3
	v_fma_f32 v6, v2, s8, -v6
	v_fmac_f32_e32 v3, s9, v2
	v_add_f32_e32 v2, v4, v6
	v_add_f32_e32 v3, v5, v3
	flat_store_dwordx2 v[0:1], v[2:3] offset:128
.LBB256_34:
	s_endpgm
	.section	.rodata,"a",@progbits
	.p2align	6, 0x0
	.amdhsa_kernel _ZN12_GLOBAL__N_135rocblas_gemm_batched_general_kernelI19rocblas_complex_numIfELi16ELi16ELi32ELi32ELi8ELi32ELi8ELi8ELi32ELc67ELc67EKPKS2_S5_KPS2_EEvlllT_PT11_llSA_llS8_PT12_llPT13_lli
		.amdhsa_group_segment_fixed_size 4096
		.amdhsa_private_segment_fixed_size 0
		.amdhsa_kernarg_size 140
		.amdhsa_user_sgpr_count 6
		.amdhsa_user_sgpr_private_segment_buffer 1
		.amdhsa_user_sgpr_dispatch_ptr 0
		.amdhsa_user_sgpr_queue_ptr 0
		.amdhsa_user_sgpr_kernarg_segment_ptr 1
		.amdhsa_user_sgpr_dispatch_id 0
		.amdhsa_user_sgpr_flat_scratch_init 0
		.amdhsa_user_sgpr_private_segment_size 0
		.amdhsa_wavefront_size32 1
		.amdhsa_uses_dynamic_stack 0
		.amdhsa_system_sgpr_private_segment_wavefront_offset 0
		.amdhsa_system_sgpr_workgroup_id_x 1
		.amdhsa_system_sgpr_workgroup_id_y 1
		.amdhsa_system_sgpr_workgroup_id_z 1
		.amdhsa_system_sgpr_workgroup_info 0
		.amdhsa_system_vgpr_workitem_id 1
		.amdhsa_next_free_vgpr 59
		.amdhsa_next_free_sgpr 46
		.amdhsa_reserve_vcc 1
		.amdhsa_reserve_flat_scratch 0
		.amdhsa_float_round_mode_32 0
		.amdhsa_float_round_mode_16_64 0
		.amdhsa_float_denorm_mode_32 3
		.amdhsa_float_denorm_mode_16_64 3
		.amdhsa_dx10_clamp 1
		.amdhsa_ieee_mode 1
		.amdhsa_fp16_overflow 0
		.amdhsa_workgroup_processor_mode 1
		.amdhsa_memory_ordered 1
		.amdhsa_forward_progress 1
		.amdhsa_shared_vgpr_count 0
		.amdhsa_exception_fp_ieee_invalid_op 0
		.amdhsa_exception_fp_denorm_src 0
		.amdhsa_exception_fp_ieee_div_zero 0
		.amdhsa_exception_fp_ieee_overflow 0
		.amdhsa_exception_fp_ieee_underflow 0
		.amdhsa_exception_fp_ieee_inexact 0
		.amdhsa_exception_int_div_zero 0
	.end_amdhsa_kernel
	.section	.text._ZN12_GLOBAL__N_135rocblas_gemm_batched_general_kernelI19rocblas_complex_numIfELi16ELi16ELi32ELi32ELi8ELi32ELi8ELi8ELi32ELc67ELc67EKPKS2_S5_KPS2_EEvlllT_PT11_llSA_llS8_PT12_llPT13_lli,"axG",@progbits,_ZN12_GLOBAL__N_135rocblas_gemm_batched_general_kernelI19rocblas_complex_numIfELi16ELi16ELi32ELi32ELi8ELi32ELi8ELi8ELi32ELc67ELc67EKPKS2_S5_KPS2_EEvlllT_PT11_llSA_llS8_PT12_llPT13_lli,comdat
.Lfunc_end256:
	.size	_ZN12_GLOBAL__N_135rocblas_gemm_batched_general_kernelI19rocblas_complex_numIfELi16ELi16ELi32ELi32ELi8ELi32ELi8ELi8ELi32ELc67ELc67EKPKS2_S5_KPS2_EEvlllT_PT11_llSA_llS8_PT12_llPT13_lli, .Lfunc_end256-_ZN12_GLOBAL__N_135rocblas_gemm_batched_general_kernelI19rocblas_complex_numIfELi16ELi16ELi32ELi32ELi8ELi32ELi8ELi8ELi32ELc67ELc67EKPKS2_S5_KPS2_EEvlllT_PT11_llSA_llS8_PT12_llPT13_lli
                                        ; -- End function
	.set _ZN12_GLOBAL__N_135rocblas_gemm_batched_general_kernelI19rocblas_complex_numIfELi16ELi16ELi32ELi32ELi8ELi32ELi8ELi8ELi32ELc67ELc67EKPKS2_S5_KPS2_EEvlllT_PT11_llSA_llS8_PT12_llPT13_lli.num_vgpr, 59
	.set _ZN12_GLOBAL__N_135rocblas_gemm_batched_general_kernelI19rocblas_complex_numIfELi16ELi16ELi32ELi32ELi8ELi32ELi8ELi8ELi32ELc67ELc67EKPKS2_S5_KPS2_EEvlllT_PT11_llSA_llS8_PT12_llPT13_lli.num_agpr, 0
	.set _ZN12_GLOBAL__N_135rocblas_gemm_batched_general_kernelI19rocblas_complex_numIfELi16ELi16ELi32ELi32ELi8ELi32ELi8ELi8ELi32ELc67ELc67EKPKS2_S5_KPS2_EEvlllT_PT11_llSA_llS8_PT12_llPT13_lli.numbered_sgpr, 46
	.set _ZN12_GLOBAL__N_135rocblas_gemm_batched_general_kernelI19rocblas_complex_numIfELi16ELi16ELi32ELi32ELi8ELi32ELi8ELi8ELi32ELc67ELc67EKPKS2_S5_KPS2_EEvlllT_PT11_llSA_llS8_PT12_llPT13_lli.num_named_barrier, 0
	.set _ZN12_GLOBAL__N_135rocblas_gemm_batched_general_kernelI19rocblas_complex_numIfELi16ELi16ELi32ELi32ELi8ELi32ELi8ELi8ELi32ELc67ELc67EKPKS2_S5_KPS2_EEvlllT_PT11_llSA_llS8_PT12_llPT13_lli.private_seg_size, 0
	.set _ZN12_GLOBAL__N_135rocblas_gemm_batched_general_kernelI19rocblas_complex_numIfELi16ELi16ELi32ELi32ELi8ELi32ELi8ELi8ELi32ELc67ELc67EKPKS2_S5_KPS2_EEvlllT_PT11_llSA_llS8_PT12_llPT13_lli.uses_vcc, 1
	.set _ZN12_GLOBAL__N_135rocblas_gemm_batched_general_kernelI19rocblas_complex_numIfELi16ELi16ELi32ELi32ELi8ELi32ELi8ELi8ELi32ELc67ELc67EKPKS2_S5_KPS2_EEvlllT_PT11_llSA_llS8_PT12_llPT13_lli.uses_flat_scratch, 0
	.set _ZN12_GLOBAL__N_135rocblas_gemm_batched_general_kernelI19rocblas_complex_numIfELi16ELi16ELi32ELi32ELi8ELi32ELi8ELi8ELi32ELc67ELc67EKPKS2_S5_KPS2_EEvlllT_PT11_llSA_llS8_PT12_llPT13_lli.has_dyn_sized_stack, 0
	.set _ZN12_GLOBAL__N_135rocblas_gemm_batched_general_kernelI19rocblas_complex_numIfELi16ELi16ELi32ELi32ELi8ELi32ELi8ELi8ELi32ELc67ELc67EKPKS2_S5_KPS2_EEvlllT_PT11_llSA_llS8_PT12_llPT13_lli.has_recursion, 0
	.set _ZN12_GLOBAL__N_135rocblas_gemm_batched_general_kernelI19rocblas_complex_numIfELi16ELi16ELi32ELi32ELi8ELi32ELi8ELi8ELi32ELc67ELc67EKPKS2_S5_KPS2_EEvlllT_PT11_llSA_llS8_PT12_llPT13_lli.has_indirect_call, 0
	.section	.AMDGPU.csdata,"",@progbits
; Kernel info:
; codeLenInByte = 3036
; TotalNumSgprs: 48
; NumVgprs: 59
; ScratchSize: 0
; MemoryBound: 0
; FloatMode: 240
; IeeeMode: 1
; LDSByteSize: 4096 bytes/workgroup (compile time only)
; SGPRBlocks: 0
; VGPRBlocks: 7
; NumSGPRsForWavesPerEU: 48
; NumVGPRsForWavesPerEU: 59
; Occupancy: 16
; WaveLimiterHint : 1
; COMPUTE_PGM_RSRC2:SCRATCH_EN: 0
; COMPUTE_PGM_RSRC2:USER_SGPR: 6
; COMPUTE_PGM_RSRC2:TRAP_HANDLER: 0
; COMPUTE_PGM_RSRC2:TGID_X_EN: 1
; COMPUTE_PGM_RSRC2:TGID_Y_EN: 1
; COMPUTE_PGM_RSRC2:TGID_Z_EN: 1
; COMPUTE_PGM_RSRC2:TIDIG_COMP_CNT: 1
	.section	.text._ZN12_GLOBAL__N_135rocblas_gemm_batched_general_kernelI19rocblas_complex_numIfELi16ELi16ELi32ELi32ELi8ELi32ELi8ELi8ELi32ELc67ELc78EKPKS2_S5_KPS2_EEvlllT_PT11_llSA_llS8_PT12_llPT13_lli,"axG",@progbits,_ZN12_GLOBAL__N_135rocblas_gemm_batched_general_kernelI19rocblas_complex_numIfELi16ELi16ELi32ELi32ELi8ELi32ELi8ELi8ELi32ELc67ELc78EKPKS2_S5_KPS2_EEvlllT_PT11_llSA_llS8_PT12_llPT13_lli,comdat
	.globl	_ZN12_GLOBAL__N_135rocblas_gemm_batched_general_kernelI19rocblas_complex_numIfELi16ELi16ELi32ELi32ELi8ELi32ELi8ELi8ELi32ELc67ELc78EKPKS2_S5_KPS2_EEvlllT_PT11_llSA_llS8_PT12_llPT13_lli ; -- Begin function _ZN12_GLOBAL__N_135rocblas_gemm_batched_general_kernelI19rocblas_complex_numIfELi16ELi16ELi32ELi32ELi8ELi32ELi8ELi8ELi32ELc67ELc78EKPKS2_S5_KPS2_EEvlllT_PT11_llSA_llS8_PT12_llPT13_lli
	.p2align	8
	.type	_ZN12_GLOBAL__N_135rocblas_gemm_batched_general_kernelI19rocblas_complex_numIfELi16ELi16ELi32ELi32ELi8ELi32ELi8ELi8ELi32ELc67ELc78EKPKS2_S5_KPS2_EEvlllT_PT11_llSA_llS8_PT12_llPT13_lli,@function
_ZN12_GLOBAL__N_135rocblas_gemm_batched_general_kernelI19rocblas_complex_numIfELi16ELi16ELi32ELi32ELi8ELi32ELi8ELi8ELi32ELc67ELc78EKPKS2_S5_KPS2_EEvlllT_PT11_llSA_llS8_PT12_llPT13_lli: ; @_ZN12_GLOBAL__N_135rocblas_gemm_batched_general_kernelI19rocblas_complex_numIfELi16ELi16ELi32ELi32ELi8ELi32ELi8ELi8ELi32ELc67ELc78EKPKS2_S5_KPS2_EEvlllT_PT11_llSA_llS8_PT12_llPT13_lli
; %bb.0:
	s_clause 0x1
	s_load_dwordx8 s[36:43], s[4:5], 0x58
	s_load_dwordx16 s[12:27], s[4:5], 0x0
	s_mov_b32 s9, 0
	s_load_dwordx4 s[28:31], s[4:5], 0x78
	s_lshl_b64 s[44:45], s[8:9], 3
	s_load_dwordx2 s[8:9], s[4:5], 0x50
	s_mov_b32 s0, s7
	v_mov_b32_e32 v20, 0
	v_mov_b32_e32 v21, 0
	;; [unrolled: 1-line block ×8, first 2 shown]
	s_waitcnt lgkmcnt(0)
	s_add_u32 s2, s36, s44
	s_addc_u32 s3, s37, s45
	s_add_u32 s34, s42, s44
	s_addc_u32 s35, s43, s45
	s_load_dwordx2 s[10:11], s[2:3], 0x0
	s_load_dwordx2 s[34:35], s[34:35], 0x0
	v_cmp_lt_i64_e64 s2, s[16:17], 1
	s_ashr_i32 s7, s6, 31
	s_ashr_i32 s1, s0, 31
	s_lshl_b64 s[6:7], s[6:7], 5
	s_lshl_b64 s[36:37], s[0:1], 5
	s_and_b32 vcc_lo, exec_lo, s2
	s_cbranch_vccnz .LBB257_11
; %bb.1:
	s_load_dwordx4 s[0:3], s[4:5], 0x40
	v_lshl_add_u32 v3, v1, 4, v0
	s_add_u32 s4, s26, s44
	v_and_b32_e32 v8, 7, v0
	v_mov_b32_e32 v4, s7
	s_addc_u32 s5, s27, s45
	v_lshrrev_b32_e32 v7, 3, v3
	v_and_b32_e32 v10, 31, v3
	v_lshrrev_b32_e32 v9, 5, v3
	s_add_u32 s20, s20, s44
	s_load_dwordx2 s[4:5], s[4:5], 0x0
	v_add_co_u32 v5, s26, v7, s36
	v_add_co_ci_u32_e64 v6, null, 0, s37, s26
	v_or_b32_e32 v3, s6, v10
	v_lshlrev_b32_e32 v13, 3, v10
	s_addc_u32 s21, s21, s45
	v_lshlrev_b32_e32 v12, 3, v8
	s_load_dwordx2 s[20:21], s[20:21], 0x0
	s_waitcnt lgkmcnt(0)
	v_mul_lo_u32 v14, s1, v5
	v_add_co_u32 v15, s1, s6, v10
	v_add_co_ci_u32_e64 v16, null, s7, 0, s1
	v_mul_lo_u32 v17, s0, v6
	v_mad_u64_u32 v[10:11], null, s0, v5, 0
	v_mul_lo_u32 v20, s23, v15
	v_mul_lo_u32 v16, s22, v16
	v_mad_u64_u32 v[18:19], null, s22, v15, 0
	v_cmp_gt_i64_e32 vcc_lo, s[12:13], v[3:4]
	v_cmp_gt_i64_e64 s0, s[14:15], v[5:6]
	v_add3_u32 v11, v11, v17, v14
	s_lshl_b64 s[2:3], s[2:3], 3
	v_lshl_or_b32 v7, v7, 6, v12
	v_mov_b32_e32 v2, 0
	v_add3_u32 v19, v19, v16, v20
	v_lshlrev_b64 v[3:4], 3, v[10:11]
	v_lshl_or_b32 v13, v9, 8, v13
	v_add_nc_u32_e32 v14, 0x800, v7
	v_lshlrev_b32_e32 v7, 3, v9
	v_lshlrev_b64 v[5:6], 3, v[18:19]
	v_lshlrev_b32_e32 v16, 3, v0
	v_add_co_u32 v3, s1, v3, s2
	v_add_co_ci_u32_e64 v4, null, s3, v4, s1
	s_lshl_b64 s[2:3], s[24:25], 3
	v_lshl_add_u32 v17, v1, 6, 0x800
	v_add_co_u32 v5, s1, v5, s2
	v_add_co_ci_u32_e64 v6, null, s3, v6, s1
	v_add_co_u32 v3, s1, v3, v12
	v_add_co_ci_u32_e64 v10, null, 0, v4, s1
	;; [unrolled: 2-line block ×5, first 2 shown]
	v_mov_b32_e32 v11, 0
	v_mov_b32_e32 v10, 0
	;; [unrolled: 1-line block ×8, first 2 shown]
	s_mov_b64 s[2:3], 0
	s_xor_b32 s1, vcc_lo, -1
	s_xor_b32 s0, s0, -1
	s_branch .LBB257_3
.LBB257_2:                              ;   in Loop: Header=BB257_3 Depth=1
	s_or_b32 exec_lo, exec_lo, s4
	s_waitcnt lgkmcnt(0)
	s_barrier
	buffer_gl0_inv
	ds_read_b128 v[22:25], v17
	ds_read2_b64 v[26:29], v16 offset1:16
	ds_read_b128 v[30:33], v17 offset:1024
	ds_read_b128 v[34:37], v17 offset:16
	;; [unrolled: 1-line block ×4, first 2 shown]
	ds_read2_b64 v[46:49], v16 offset0:32 offset1:48
	ds_read_b128 v[50:53], v17 offset:1040
	s_add_u32 s2, s2, 8
	s_addc_u32 s3, s3, 0
	v_add_co_u32 v4, vcc_lo, v4, 64
	v_cmp_lt_i64_e64 s4, s[2:3], s[16:17]
	v_add_co_ci_u32_e64 v5, null, 0, v5, vcc_lo
	v_add_co_u32 v6, vcc_lo, v6, 64
	v_add_co_ci_u32_e64 v7, null, 0, v7, vcc_lo
	s_and_b32 vcc_lo, exec_lo, s4
	s_waitcnt lgkmcnt(6)
	v_mul_f32_e32 v3, v23, v27
	v_mul_f32_e32 v54, v22, v27
	v_mul_f32_e32 v55, v23, v29
	v_mul_f32_e32 v56, v22, v29
	s_waitcnt lgkmcnt(5)
	v_mul_f32_e32 v57, v31, v27
	v_mul_f32_e32 v27, v30, v27
	;; [unrolled: 1-line block ×3, first 2 shown]
	v_fma_f32 v3, v22, v26, -v3
	v_fmac_f32_e32 v54, v23, v26
	v_fma_f32 v22, v22, v28, -v55
	v_fmac_f32_e32 v56, v23, v28
	v_fma_f32 v23, v30, v26, -v57
	v_mul_f32_e32 v29, v30, v29
	v_fmac_f32_e32 v27, v31, v26
	v_fma_f32 v26, v30, v28, -v58
	v_add_f32_e32 v3, v20, v3
	v_add_f32_e32 v30, v21, v54
	;; [unrolled: 1-line block ×5, first 2 shown]
	s_waitcnt lgkmcnt(1)
	v_mul_f32_e32 v23, v25, v47
	ds_read2_b64 v[18:21], v16 offset0:64 offset1:80
	v_add_f32_e32 v15, v15, v27
	v_mul_f32_e32 v27, v25, v49
	v_fmac_f32_e32 v29, v31, v28
	v_fma_f32 v23, v24, v46, -v23
	v_add_f32_e32 v10, v10, v26
	v_mul_f32_e32 v26, v24, v47
	v_mul_f32_e32 v28, v24, v49
	v_add_f32_e32 v11, v11, v29
	v_add_f32_e32 v3, v3, v23
	v_fma_f32 v23, v24, v48, -v27
	v_mul_f32_e32 v24, v33, v47
	v_fmac_f32_e32 v26, v25, v46
	v_fmac_f32_e32 v28, v25, v48
	v_mul_f32_e32 v25, v32, v47
	v_add_f32_e32 v27, v22, v23
	v_fma_f32 v22, v32, v46, -v24
	v_mul_f32_e32 v23, v33, v49
	v_add_f32_e32 v26, v30, v26
	v_fmac_f32_e32 v25, v33, v46
	v_mul_f32_e32 v29, v32, v49
	v_add_f32_e32 v12, v12, v22
	v_fma_f32 v22, v32, v48, -v23
	s_waitcnt lgkmcnt(0)
	v_mul_f32_e32 v23, v35, v19
	v_mul_f32_e32 v30, v34, v19
	;; [unrolled: 1-line block ×3, first 2 shown]
	v_add_f32_e32 v15, v15, v25
	v_add_f32_e32 v10, v10, v22
	v_fma_f32 v31, v34, v18, -v23
	ds_read2_b64 v[22:25], v16 offset0:96 offset1:112
	v_fmac_f32_e32 v30, v35, v18
	v_fmac_f32_e32 v29, v33, v48
	v_add_f32_e32 v28, v54, v28
	v_add_f32_e32 v3, v3, v31
	v_fma_f32 v31, v34, v20, -v32
	v_add_f32_e32 v26, v26, v30
	v_mul_f32_e32 v30, v51, v19
	v_mul_f32_e32 v19, v50, v19
	v_add_f32_e32 v11, v11, v29
	v_add_f32_e32 v27, v27, v31
	v_mul_f32_e32 v31, v51, v21
	v_mul_f32_e32 v29, v34, v21
	v_fma_f32 v30, v50, v18, -v30
	v_fmac_f32_e32 v19, v51, v18
	v_mul_f32_e32 v32, v50, v21
	v_fma_f32 v18, v50, v20, -v31
	v_fmac_f32_e32 v29, v35, v20
	v_add_f32_e32 v12, v12, v30
	v_add_f32_e32 v15, v15, v19
	v_fmac_f32_e32 v32, v51, v20
	v_add_f32_e32 v10, v10, v18
	ds_read2_b64 v[18:21], v16 offset0:128 offset1:144
	v_add_f32_e32 v33, v28, v29
	s_waitcnt lgkmcnt(1)
	v_mul_f32_e32 v28, v37, v23
	v_mul_f32_e32 v29, v36, v23
	;; [unrolled: 1-line block ×4, first 2 shown]
	v_add_f32_e32 v11, v11, v32
	v_fma_f32 v28, v36, v22, -v28
	v_fmac_f32_e32 v29, v37, v22
	v_fma_f32 v30, v36, v24, -v30
	v_fmac_f32_e32 v31, v37, v24
	v_mul_f32_e32 v32, v53, v25
	v_add_f32_e32 v3, v3, v28
	v_mul_f32_e32 v28, v53, v23
	v_mul_f32_e32 v23, v52, v23
	v_add_f32_e32 v34, v26, v29
	v_add_f32_e32 v35, v27, v30
	;; [unrolled: 1-line block ×3, first 2 shown]
	v_fma_f32 v30, v52, v22, -v28
	ds_read_b128 v[26:29], v17 offset:1056
	v_fmac_f32_e32 v23, v53, v22
	v_mul_f32_e32 v31, v52, v25
	v_fma_f32 v22, v52, v24, -v32
	s_waitcnt lgkmcnt(1)
	v_mul_f32_e32 v25, v39, v19
	v_add_f32_e32 v12, v12, v30
	v_add_f32_e32 v15, v15, v23
	v_fmac_f32_e32 v31, v53, v24
	v_add_f32_e32 v10, v10, v22
	v_fma_f32 v30, v38, v18, -v25
	ds_read2_b64 v[22:25], v16 offset0:160 offset1:176
	v_mul_f32_e32 v32, v39, v21
	v_mul_f32_e32 v37, v38, v19
	;; [unrolled: 1-line block ×3, first 2 shown]
	v_add_f32_e32 v11, v11, v31
	v_add_f32_e32 v3, v3, v30
	v_fma_f32 v38, v38, v20, -v32
	v_fmac_f32_e32 v37, v39, v18
	ds_read_b128 v[30:33], v17 offset:1072
	v_fmac_f32_e32 v46, v39, v20
	s_waitcnt lgkmcnt(2)
	v_mul_f32_e32 v47, v27, v19
	v_mul_f32_e32 v19, v26, v19
	v_add_f32_e32 v35, v35, v38
	v_mul_f32_e32 v38, v27, v21
	v_add_f32_e32 v34, v34, v37
	v_fma_f32 v37, v26, v18, -v47
	v_fmac_f32_e32 v19, v27, v18
	v_mul_f32_e32 v39, v26, v21
	v_fma_f32 v18, v26, v20, -v38
	v_add_f32_e32 v36, v36, v46
	s_waitcnt lgkmcnt(1)
	v_mul_f32_e32 v21, v41, v23
	v_add_f32_e32 v12, v12, v37
	v_add_f32_e32 v15, v15, v19
	v_fmac_f32_e32 v39, v27, v20
	v_mul_f32_e32 v26, v40, v23
	v_add_f32_e32 v10, v10, v18
	v_fma_f32 v27, v40, v22, -v21
	ds_read2_b64 v[18:21], v16 offset0:192 offset1:208
	v_mul_f32_e32 v37, v41, v25
	v_fmac_f32_e32 v26, v41, v22
	v_add_f32_e32 v11, v11, v39
	v_add_f32_e32 v3, v3, v27
	v_mul_f32_e32 v27, v40, v25
	v_fma_f32 v37, v40, v24, -v37
	v_add_f32_e32 v26, v34, v26
	v_mul_f32_e32 v34, v29, v23
	v_mul_f32_e32 v23, v28, v23
	v_fmac_f32_e32 v27, v41, v24
	v_add_f32_e32 v35, v35, v37
	v_mul_f32_e32 v37, v29, v25
	v_fma_f32 v34, v28, v22, -v34
	v_fmac_f32_e32 v23, v29, v22
	v_add_f32_e32 v27, v36, v27
	v_mul_f32_e32 v36, v28, v25
	v_fma_f32 v22, v28, v24, -v37
	v_add_f32_e32 v12, v12, v34
	v_add_f32_e32 v15, v15, v23
	s_waitcnt lgkmcnt(0)
	v_mul_f32_e32 v28, v43, v19
	v_fmac_f32_e32 v36, v29, v24
	v_add_f32_e32 v10, v10, v22
	ds_read2_b64 v[22:25], v16 offset0:224 offset1:240
	v_mul_f32_e32 v29, v42, v19
	v_fma_f32 v28, v42, v18, -v28
	v_mul_f32_e32 v34, v43, v21
	v_add_f32_e32 v11, v11, v36
	v_mul_f32_e32 v36, v42, v21
	v_fmac_f32_e32 v29, v43, v18
	v_add_f32_e32 v3, v3, v28
	v_mul_f32_e32 v28, v31, v19
	v_fma_f32 v34, v42, v20, -v34
	v_mul_f32_e32 v19, v30, v19
	v_add_f32_e32 v26, v26, v29
	v_fmac_f32_e32 v36, v43, v20
	v_fma_f32 v28, v30, v18, -v28
	v_add_f32_e32 v29, v35, v34
	v_mul_f32_e32 v34, v31, v21
	v_fmac_f32_e32 v19, v31, v18
	v_mul_f32_e32 v18, v30, v21
	v_add_f32_e32 v12, v12, v28
	v_add_f32_e32 v27, v27, v36
	v_fma_f32 v21, v30, v20, -v34
	s_waitcnt lgkmcnt(0)
	v_mul_f32_e32 v28, v45, v23
	v_mul_f32_e32 v30, v44, v23
	v_add_f32_e32 v15, v15, v19
	v_fmac_f32_e32 v18, v31, v20
	v_add_f32_e32 v10, v10, v21
	v_fma_f32 v19, v44, v22, -v28
	v_fmac_f32_e32 v30, v45, v22
	v_mul_f32_e32 v28, v45, v25
	v_mul_f32_e32 v31, v44, v25
	v_add_f32_e32 v11, v11, v18
	v_add_f32_e32 v20, v3, v19
	;; [unrolled: 1-line block ×3, first 2 shown]
	v_fma_f32 v3, v44, v24, -v28
	v_mul_f32_e32 v19, v33, v23
	v_mul_f32_e32 v23, v32, v23
	;; [unrolled: 1-line block ×4, first 2 shown]
	v_fmac_f32_e32 v31, v45, v24
	v_add_f32_e32 v18, v29, v3
	v_fma_f32 v3, v32, v22, -v19
	v_fmac_f32_e32 v23, v33, v22
	v_fma_f32 v22, v32, v24, -v26
	v_fmac_f32_e32 v25, v33, v24
	v_add_f32_e32 v19, v27, v31
	v_add_f32_e32 v12, v12, v3
	;; [unrolled: 1-line block ×5, first 2 shown]
	s_barrier
	buffer_gl0_inv
	s_cbranch_vccz .LBB257_11
.LBB257_3:                              ; =>This Inner Loop Header: Depth=1
	v_add_co_u32 v22, s4, v9, s2
	v_add_co_ci_u32_e64 v23, null, 0, s3, s4
	v_cmp_le_i64_e32 vcc_lo, s[16:17], v[22:23]
	s_or_b32 s4, s1, vcc_lo
	s_and_saveexec_b32 s5, s4
	s_xor_b32 s4, exec_lo, s5
; %bb.4:                                ;   in Loop: Header=BB257_3 Depth=1
	ds_write_b32 v13, v2
; %bb.5:                                ;   in Loop: Header=BB257_3 Depth=1
	s_or_saveexec_b32 s4, s4
	v_mov_b32_e32 v3, 0
	s_xor_b32 exec_lo, exec_lo, s4
	s_cbranch_execz .LBB257_7
; %bb.6:                                ;   in Loop: Header=BB257_3 Depth=1
	flat_load_dwordx2 v[22:23], v[6:7]
	s_waitcnt vmcnt(0) lgkmcnt(0)
	v_xor_b32_e32 v3, 0x80000000, v23
	ds_write_b32 v13, v22
.LBB257_7:                              ;   in Loop: Header=BB257_3 Depth=1
	s_or_b32 exec_lo, exec_lo, s4
	v_add_co_u32 v22, s4, v8, s2
	v_add_co_ci_u32_e64 v23, null, 0, s3, s4
	ds_write_b32 v13, v3 offset:4
	v_cmp_le_i64_e32 vcc_lo, s[16:17], v[22:23]
	s_or_b32 s4, vcc_lo, s0
	s_and_saveexec_b32 s5, s4
	s_xor_b32 s4, exec_lo, s5
; %bb.8:                                ;   in Loop: Header=BB257_3 Depth=1
	v_mov_b32_e32 v3, v2
	ds_write_b64 v14, v[2:3]
; %bb.9:                                ;   in Loop: Header=BB257_3 Depth=1
	s_andn2_saveexec_b32 s4, s4
	s_cbranch_execz .LBB257_2
; %bb.10:                               ;   in Loop: Header=BB257_3 Depth=1
	flat_load_dwordx2 v[22:23], v[4:5]
	s_waitcnt vmcnt(0) lgkmcnt(0)
	ds_write_b64 v14, v[22:23]
	s_branch .LBB257_2
.LBB257_11:
	v_add_co_u32 v1, s2, s36, v1
	v_add_co_ci_u32_e64 v2, null, s37, 0, s2
	s_lshl_b64 s[0:1], s[30:31], 3
	s_waitcnt lgkmcnt(0)
	s_add_u32 s3, s34, s0
	s_addc_u32 s4, s35, s1
	s_or_b32 s1, s8, s9
	v_cmp_gt_i64_e64 s0, s[14:15], v[1:2]
	s_bitset0_b32 s1, 31
	s_cmp_lg_u32 s1, 0
	s_mov_b32 s1, -1
	s_cbranch_scc1 .LBB257_23
; %bb.12:
	s_and_saveexec_b32 s5, s0
	s_cbranch_execz .LBB257_22
; %bb.13:
	v_mul_lo_u32 v5, v2, s28
	v_mul_lo_u32 v6, v1, s29
	v_mad_u64_u32 v[3:4], null, v1, s28, 0
	v_add3_u32 v4, v4, v6, v5
	v_add_co_u32 v5, s1, s6, v0
	v_add_co_ci_u32_e64 v6, null, s7, 0, s1
	v_lshlrev_b64 v[7:8], 3, v[3:4]
	v_cmp_gt_i64_e32 vcc_lo, s[12:13], v[5:6]
	v_lshlrev_b64 v[3:4], 3, v[5:6]
	v_add_co_u32 v7, s1, s3, v7
	v_add_co_ci_u32_e64 v8, null, s4, v8, s1
	s_and_saveexec_b32 s2, vcc_lo
	s_cbranch_execz .LBB257_15
; %bb.14:
	v_mul_f32_e32 v9, s19, v21
	v_mul_f32_e32 v14, s18, v21
	v_add_co_u32 v16, s1, v7, v3
	v_add_co_ci_u32_e64 v17, null, v8, v4, s1
	v_fma_f32 v13, v20, s18, -v9
	v_fmac_f32_e32 v14, s19, v20
	flat_store_dwordx2 v[16:17], v[13:14]
.LBB257_15:
	s_or_b32 exec_lo, exec_lo, s2
	v_add_co_u32 v5, s1, v5, 16
	v_add_co_ci_u32_e64 v6, null, 0, v6, s1
	v_cmp_gt_i64_e64 s1, s[12:13], v[5:6]
	s_and_saveexec_b32 s16, s1
	s_cbranch_execz .LBB257_17
; %bb.16:
	v_mul_f32_e32 v5, s19, v19
	v_mul_f32_e32 v6, s18, v19
	v_add_co_u32 v13, s2, v7, v3
	v_add_co_ci_u32_e64 v14, null, v8, v4, s2
	v_fma_f32 v5, v18, s18, -v5
	v_fmac_f32_e32 v6, s19, v18
	flat_store_dwordx2 v[13:14], v[5:6] offset:128
.LBB257_17:
	s_or_b32 exec_lo, exec_lo, s16
	v_add_co_u32 v5, s2, v1, 16
	v_add_co_ci_u32_e64 v6, null, 0, v2, s2
	v_cmp_gt_i64_e64 s2, s[14:15], v[5:6]
	s_and_b32 exec_lo, exec_lo, s2
	s_cbranch_execz .LBB257_22
; %bb.18:
	s_lshl_b64 s[16:17], s[28:29], 7
	v_add_co_u32 v5, s2, v7, s16
	v_add_co_ci_u32_e64 v6, null, s17, v8, s2
	v_add_co_u32 v3, s2, v5, v3
	v_add_co_ci_u32_e64 v4, null, v6, v4, s2
	s_and_saveexec_b32 s2, vcc_lo
	s_cbranch_execz .LBB257_20
; %bb.19:
	v_mul_f32_e32 v5, s19, v15
	v_mul_f32_e32 v6, s18, v15
	v_fma_f32 v5, v12, s18, -v5
	v_fmac_f32_e32 v6, s19, v12
	flat_store_dwordx2 v[3:4], v[5:6]
.LBB257_20:
	s_or_b32 exec_lo, exec_lo, s2
	s_and_b32 exec_lo, exec_lo, s1
	s_cbranch_execz .LBB257_22
; %bb.21:
	v_mul_f32_e32 v5, s19, v11
	v_mul_f32_e32 v6, s18, v11
	v_fma_f32 v5, v10, s18, -v5
	v_fmac_f32_e32 v6, s19, v10
	flat_store_dwordx2 v[3:4], v[5:6] offset:128
.LBB257_22:
	s_or_b32 exec_lo, exec_lo, s5
	s_mov_b32 s1, 0
.LBB257_23:
	s_andn2_b32 vcc_lo, exec_lo, s1
	s_cbranch_vccnz .LBB257_34
; %bb.24:
	s_and_saveexec_b32 s1, s0
	s_cbranch_execz .LBB257_34
; %bb.25:
	v_mul_lo_u32 v5, v2, s38
	v_mul_lo_u32 v6, v1, s39
	v_mad_u64_u32 v[3:4], null, v1, s38, 0
	v_mul_lo_u32 v9, v2, s28
	v_mul_lo_u32 v13, v1, s29
	v_mad_u64_u32 v[7:8], null, v1, s28, 0
	s_lshl_b64 s[0:1], s[40:41], 3
	v_add3_u32 v4, v4, v6, v5
	v_add_co_u32 v5, s2, s6, v0
	v_add_co_ci_u32_e64 v6, null, s7, 0, s2
	v_add3_u32 v8, v8, v13, v9
	v_lshlrev_b64 v[3:4], 3, v[3:4]
	s_add_u32 s0, s10, s0
	s_addc_u32 s1, s11, s1
	v_cmp_gt_i64_e32 vcc_lo, s[12:13], v[5:6]
	v_lshlrev_b64 v[8:9], 3, v[7:8]
	v_add_co_u32 v0, s0, s0, v3
	v_add_co_ci_u32_e64 v7, null, s1, v4, s0
	v_add_co_u32 v8, s0, s3, v8
	v_lshlrev_b64 v[3:4], 3, v[5:6]
	v_add_co_ci_u32_e64 v9, null, s4, v9, s0
	s_and_saveexec_b32 s1, vcc_lo
	s_cbranch_execz .LBB257_27
; %bb.26:
	v_add_co_u32 v13, s0, v0, v3
	v_add_co_ci_u32_e64 v14, null, v7, v4, s0
	v_mul_f32_e32 v16, s19, v21
	v_mul_f32_e32 v17, s18, v21
	flat_load_dwordx2 v[13:14], v[13:14]
	v_fma_f32 v16, v20, s18, -v16
	v_fmac_f32_e32 v17, s19, v20
	s_waitcnt vmcnt(0) lgkmcnt(0)
	v_mul_f32_e32 v21, s9, v14
	v_mul_f32_e32 v14, s8, v14
	v_fma_f32 v20, v13, s8, -v21
	v_fmac_f32_e32 v14, s9, v13
	v_add_f32_e32 v13, v16, v20
	v_add_co_u32 v16, s0, v8, v3
	v_add_f32_e32 v14, v17, v14
	v_add_co_ci_u32_e64 v17, null, v9, v4, s0
	flat_store_dwordx2 v[16:17], v[13:14]
.LBB257_27:
	s_or_b32 exec_lo, exec_lo, s1
	v_add_co_u32 v5, s0, v5, 16
	v_add_co_ci_u32_e64 v6, null, 0, v6, s0
	v_cmp_gt_i64_e64 s0, s[12:13], v[5:6]
	s_and_saveexec_b32 s2, s0
	s_cbranch_execz .LBB257_29
; %bb.28:
	v_add_co_u32 v5, s1, v0, v3
	v_add_co_ci_u32_e64 v6, null, v7, v4, s1
	v_mul_f32_e32 v13, s19, v19
	v_mul_f32_e32 v14, s18, v19
	flat_load_dwordx2 v[5:6], v[5:6] offset:128
	v_fma_f32 v13, v18, s18, -v13
	v_fmac_f32_e32 v14, s19, v18
	s_waitcnt vmcnt(0) lgkmcnt(0)
	v_mul_f32_e32 v16, s9, v6
	v_mul_f32_e32 v6, s8, v6
	v_fma_f32 v16, v5, s8, -v16
	v_fmac_f32_e32 v6, s9, v5
	v_add_f32_e32 v5, v13, v16
	v_add_co_u32 v13, s1, v8, v3
	v_add_f32_e32 v6, v14, v6
	v_add_co_ci_u32_e64 v14, null, v9, v4, s1
	flat_store_dwordx2 v[13:14], v[5:6] offset:128
.LBB257_29:
	s_or_b32 exec_lo, exec_lo, s2
	v_add_co_u32 v1, s1, v1, 16
	v_add_co_ci_u32_e64 v2, null, 0, v2, s1
	v_cmp_gt_i64_e64 s1, s[14:15], v[1:2]
	s_and_b32 exec_lo, exec_lo, s1
	s_cbranch_execz .LBB257_34
; %bb.30:
	s_lshl_b64 s[2:3], s[38:39], 7
	v_add_co_u32 v0, s1, v0, s2
	v_add_co_ci_u32_e64 v1, null, s3, v7, s1
	s_lshl_b64 s[2:3], s[28:29], 7
	v_add_co_u32 v2, s1, v8, s2
	v_add_co_ci_u32_e64 v7, null, s3, v9, s1
	v_add_co_u32 v5, s1, v0, v3
	v_add_co_ci_u32_e64 v6, null, v1, v4, s1
	;; [unrolled: 2-line block ×3, first 2 shown]
	s_and_saveexec_b32 s1, vcc_lo
	s_cbranch_execz .LBB257_32
; %bb.31:
	flat_load_dwordx2 v[2:3], v[5:6]
	v_mul_f32_e32 v4, s19, v15
	v_mul_f32_e32 v7, s18, v15
	v_fma_f32 v4, v12, s18, -v4
	v_fmac_f32_e32 v7, s19, v12
	s_waitcnt vmcnt(0) lgkmcnt(0)
	v_mul_f32_e32 v8, s9, v3
	v_mul_f32_e32 v3, s8, v3
	v_fma_f32 v8, v2, s8, -v8
	v_fmac_f32_e32 v3, s9, v2
	v_add_f32_e32 v2, v4, v8
	v_add_f32_e32 v3, v7, v3
	flat_store_dwordx2 v[0:1], v[2:3]
.LBB257_32:
	s_or_b32 exec_lo, exec_lo, s1
	s_and_b32 exec_lo, exec_lo, s0
	s_cbranch_execz .LBB257_34
; %bb.33:
	flat_load_dwordx2 v[2:3], v[5:6] offset:128
	v_mul_f32_e32 v4, s19, v11
	v_mul_f32_e32 v5, s18, v11
	v_fma_f32 v4, v10, s18, -v4
	v_fmac_f32_e32 v5, s19, v10
	s_waitcnt vmcnt(0) lgkmcnt(0)
	v_mul_f32_e32 v6, s9, v3
	v_mul_f32_e32 v3, s8, v3
	v_fma_f32 v6, v2, s8, -v6
	v_fmac_f32_e32 v3, s9, v2
	v_add_f32_e32 v2, v4, v6
	v_add_f32_e32 v3, v5, v3
	flat_store_dwordx2 v[0:1], v[2:3] offset:128
.LBB257_34:
	s_endpgm
	.section	.rodata,"a",@progbits
	.p2align	6, 0x0
	.amdhsa_kernel _ZN12_GLOBAL__N_135rocblas_gemm_batched_general_kernelI19rocblas_complex_numIfELi16ELi16ELi32ELi32ELi8ELi32ELi8ELi8ELi32ELc67ELc78EKPKS2_S5_KPS2_EEvlllT_PT11_llSA_llS8_PT12_llPT13_lli
		.amdhsa_group_segment_fixed_size 4096
		.amdhsa_private_segment_fixed_size 0
		.amdhsa_kernarg_size 140
		.amdhsa_user_sgpr_count 6
		.amdhsa_user_sgpr_private_segment_buffer 1
		.amdhsa_user_sgpr_dispatch_ptr 0
		.amdhsa_user_sgpr_queue_ptr 0
		.amdhsa_user_sgpr_kernarg_segment_ptr 1
		.amdhsa_user_sgpr_dispatch_id 0
		.amdhsa_user_sgpr_flat_scratch_init 0
		.amdhsa_user_sgpr_private_segment_size 0
		.amdhsa_wavefront_size32 1
		.amdhsa_uses_dynamic_stack 0
		.amdhsa_system_sgpr_private_segment_wavefront_offset 0
		.amdhsa_system_sgpr_workgroup_id_x 1
		.amdhsa_system_sgpr_workgroup_id_y 1
		.amdhsa_system_sgpr_workgroup_id_z 1
		.amdhsa_system_sgpr_workgroup_info 0
		.amdhsa_system_vgpr_workitem_id 1
		.amdhsa_next_free_vgpr 59
		.amdhsa_next_free_sgpr 46
		.amdhsa_reserve_vcc 1
		.amdhsa_reserve_flat_scratch 0
		.amdhsa_float_round_mode_32 0
		.amdhsa_float_round_mode_16_64 0
		.amdhsa_float_denorm_mode_32 3
		.amdhsa_float_denorm_mode_16_64 3
		.amdhsa_dx10_clamp 1
		.amdhsa_ieee_mode 1
		.amdhsa_fp16_overflow 0
		.amdhsa_workgroup_processor_mode 1
		.amdhsa_memory_ordered 1
		.amdhsa_forward_progress 1
		.amdhsa_shared_vgpr_count 0
		.amdhsa_exception_fp_ieee_invalid_op 0
		.amdhsa_exception_fp_denorm_src 0
		.amdhsa_exception_fp_ieee_div_zero 0
		.amdhsa_exception_fp_ieee_overflow 0
		.amdhsa_exception_fp_ieee_underflow 0
		.amdhsa_exception_fp_ieee_inexact 0
		.amdhsa_exception_int_div_zero 0
	.end_amdhsa_kernel
	.section	.text._ZN12_GLOBAL__N_135rocblas_gemm_batched_general_kernelI19rocblas_complex_numIfELi16ELi16ELi32ELi32ELi8ELi32ELi8ELi8ELi32ELc67ELc78EKPKS2_S5_KPS2_EEvlllT_PT11_llSA_llS8_PT12_llPT13_lli,"axG",@progbits,_ZN12_GLOBAL__N_135rocblas_gemm_batched_general_kernelI19rocblas_complex_numIfELi16ELi16ELi32ELi32ELi8ELi32ELi8ELi8ELi32ELc67ELc78EKPKS2_S5_KPS2_EEvlllT_PT11_llSA_llS8_PT12_llPT13_lli,comdat
.Lfunc_end257:
	.size	_ZN12_GLOBAL__N_135rocblas_gemm_batched_general_kernelI19rocblas_complex_numIfELi16ELi16ELi32ELi32ELi8ELi32ELi8ELi8ELi32ELc67ELc78EKPKS2_S5_KPS2_EEvlllT_PT11_llSA_llS8_PT12_llPT13_lli, .Lfunc_end257-_ZN12_GLOBAL__N_135rocblas_gemm_batched_general_kernelI19rocblas_complex_numIfELi16ELi16ELi32ELi32ELi8ELi32ELi8ELi8ELi32ELc67ELc78EKPKS2_S5_KPS2_EEvlllT_PT11_llSA_llS8_PT12_llPT13_lli
                                        ; -- End function
	.set _ZN12_GLOBAL__N_135rocblas_gemm_batched_general_kernelI19rocblas_complex_numIfELi16ELi16ELi32ELi32ELi8ELi32ELi8ELi8ELi32ELc67ELc78EKPKS2_S5_KPS2_EEvlllT_PT11_llSA_llS8_PT12_llPT13_lli.num_vgpr, 59
	.set _ZN12_GLOBAL__N_135rocblas_gemm_batched_general_kernelI19rocblas_complex_numIfELi16ELi16ELi32ELi32ELi8ELi32ELi8ELi8ELi32ELc67ELc78EKPKS2_S5_KPS2_EEvlllT_PT11_llSA_llS8_PT12_llPT13_lli.num_agpr, 0
	.set _ZN12_GLOBAL__N_135rocblas_gemm_batched_general_kernelI19rocblas_complex_numIfELi16ELi16ELi32ELi32ELi8ELi32ELi8ELi8ELi32ELc67ELc78EKPKS2_S5_KPS2_EEvlllT_PT11_llSA_llS8_PT12_llPT13_lli.numbered_sgpr, 46
	.set _ZN12_GLOBAL__N_135rocblas_gemm_batched_general_kernelI19rocblas_complex_numIfELi16ELi16ELi32ELi32ELi8ELi32ELi8ELi8ELi32ELc67ELc78EKPKS2_S5_KPS2_EEvlllT_PT11_llSA_llS8_PT12_llPT13_lli.num_named_barrier, 0
	.set _ZN12_GLOBAL__N_135rocblas_gemm_batched_general_kernelI19rocblas_complex_numIfELi16ELi16ELi32ELi32ELi8ELi32ELi8ELi8ELi32ELc67ELc78EKPKS2_S5_KPS2_EEvlllT_PT11_llSA_llS8_PT12_llPT13_lli.private_seg_size, 0
	.set _ZN12_GLOBAL__N_135rocblas_gemm_batched_general_kernelI19rocblas_complex_numIfELi16ELi16ELi32ELi32ELi8ELi32ELi8ELi8ELi32ELc67ELc78EKPKS2_S5_KPS2_EEvlllT_PT11_llSA_llS8_PT12_llPT13_lli.uses_vcc, 1
	.set _ZN12_GLOBAL__N_135rocblas_gemm_batched_general_kernelI19rocblas_complex_numIfELi16ELi16ELi32ELi32ELi8ELi32ELi8ELi8ELi32ELc67ELc78EKPKS2_S5_KPS2_EEvlllT_PT11_llSA_llS8_PT12_llPT13_lli.uses_flat_scratch, 0
	.set _ZN12_GLOBAL__N_135rocblas_gemm_batched_general_kernelI19rocblas_complex_numIfELi16ELi16ELi32ELi32ELi8ELi32ELi8ELi8ELi32ELc67ELc78EKPKS2_S5_KPS2_EEvlllT_PT11_llSA_llS8_PT12_llPT13_lli.has_dyn_sized_stack, 0
	.set _ZN12_GLOBAL__N_135rocblas_gemm_batched_general_kernelI19rocblas_complex_numIfELi16ELi16ELi32ELi32ELi8ELi32ELi8ELi8ELi32ELc67ELc78EKPKS2_S5_KPS2_EEvlllT_PT11_llSA_llS8_PT12_llPT13_lli.has_recursion, 0
	.set _ZN12_GLOBAL__N_135rocblas_gemm_batched_general_kernelI19rocblas_complex_numIfELi16ELi16ELi32ELi32ELi8ELi32ELi8ELi8ELi32ELc67ELc78EKPKS2_S5_KPS2_EEvlllT_PT11_llSA_llS8_PT12_llPT13_lli.has_indirect_call, 0
	.section	.AMDGPU.csdata,"",@progbits
; Kernel info:
; codeLenInByte = 3000
; TotalNumSgprs: 48
; NumVgprs: 59
; ScratchSize: 0
; MemoryBound: 1
; FloatMode: 240
; IeeeMode: 1
; LDSByteSize: 4096 bytes/workgroup (compile time only)
; SGPRBlocks: 0
; VGPRBlocks: 7
; NumSGPRsForWavesPerEU: 48
; NumVGPRsForWavesPerEU: 59
; Occupancy: 16
; WaveLimiterHint : 1
; COMPUTE_PGM_RSRC2:SCRATCH_EN: 0
; COMPUTE_PGM_RSRC2:USER_SGPR: 6
; COMPUTE_PGM_RSRC2:TRAP_HANDLER: 0
; COMPUTE_PGM_RSRC2:TGID_X_EN: 1
; COMPUTE_PGM_RSRC2:TGID_Y_EN: 1
; COMPUTE_PGM_RSRC2:TGID_Z_EN: 1
; COMPUTE_PGM_RSRC2:TIDIG_COMP_CNT: 1
	.section	.text._ZN12_GLOBAL__N_135rocblas_gemm_batched_general_kernelI19rocblas_complex_numIfELi16ELi16ELi32ELi32ELi8ELi32ELi8ELi8ELi32ELc67ELc84EKPKS2_S5_KPS2_EEvlllT_PT11_llSA_llS8_PT12_llPT13_lli,"axG",@progbits,_ZN12_GLOBAL__N_135rocblas_gemm_batched_general_kernelI19rocblas_complex_numIfELi16ELi16ELi32ELi32ELi8ELi32ELi8ELi8ELi32ELc67ELc84EKPKS2_S5_KPS2_EEvlllT_PT11_llSA_llS8_PT12_llPT13_lli,comdat
	.globl	_ZN12_GLOBAL__N_135rocblas_gemm_batched_general_kernelI19rocblas_complex_numIfELi16ELi16ELi32ELi32ELi8ELi32ELi8ELi8ELi32ELc67ELc84EKPKS2_S5_KPS2_EEvlllT_PT11_llSA_llS8_PT12_llPT13_lli ; -- Begin function _ZN12_GLOBAL__N_135rocblas_gemm_batched_general_kernelI19rocblas_complex_numIfELi16ELi16ELi32ELi32ELi8ELi32ELi8ELi8ELi32ELc67ELc84EKPKS2_S5_KPS2_EEvlllT_PT11_llSA_llS8_PT12_llPT13_lli
	.p2align	8
	.type	_ZN12_GLOBAL__N_135rocblas_gemm_batched_general_kernelI19rocblas_complex_numIfELi16ELi16ELi32ELi32ELi8ELi32ELi8ELi8ELi32ELc67ELc84EKPKS2_S5_KPS2_EEvlllT_PT11_llSA_llS8_PT12_llPT13_lli,@function
_ZN12_GLOBAL__N_135rocblas_gemm_batched_general_kernelI19rocblas_complex_numIfELi16ELi16ELi32ELi32ELi8ELi32ELi8ELi8ELi32ELc67ELc84EKPKS2_S5_KPS2_EEvlllT_PT11_llSA_llS8_PT12_llPT13_lli: ; @_ZN12_GLOBAL__N_135rocblas_gemm_batched_general_kernelI19rocblas_complex_numIfELi16ELi16ELi32ELi32ELi8ELi32ELi8ELi8ELi32ELc67ELc84EKPKS2_S5_KPS2_EEvlllT_PT11_llSA_llS8_PT12_llPT13_lli
; %bb.0:
	s_clause 0x1
	s_load_dwordx8 s[36:43], s[4:5], 0x58
	s_load_dwordx16 s[12:27], s[4:5], 0x0
	s_mov_b32 s9, 0
	s_load_dwordx4 s[28:31], s[4:5], 0x78
	s_lshl_b64 s[44:45], s[8:9], 3
	s_load_dwordx2 s[8:9], s[4:5], 0x50
	s_mov_b32 s0, s7
	v_mov_b32_e32 v20, 0
	v_mov_b32_e32 v21, 0
	;; [unrolled: 1-line block ×8, first 2 shown]
	s_waitcnt lgkmcnt(0)
	s_add_u32 s2, s36, s44
	s_addc_u32 s3, s37, s45
	s_add_u32 s34, s42, s44
	s_addc_u32 s35, s43, s45
	s_load_dwordx2 s[10:11], s[2:3], 0x0
	s_load_dwordx2 s[2:3], s[34:35], 0x0
	v_cmp_lt_i64_e64 s33, s[16:17], 1
	s_ashr_i32 s7, s6, 31
	s_ashr_i32 s1, s0, 31
	s_lshl_b64 s[34:35], s[6:7], 5
	s_lshl_b64 s[36:37], s[0:1], 5
	s_and_b32 vcc_lo, exec_lo, s33
	s_cbranch_vccnz .LBB258_11
; %bb.1:
	s_load_dwordx4 s[4:7], s[4:5], 0x40
	v_and_b32_e32 v8, 7, v0
	v_lshl_add_u32 v3, v1, 4, v0
	s_add_u32 s26, s26, s44
	s_addc_u32 s27, s27, s45
	s_add_u32 s20, s20, s44
	s_addc_u32 s21, s21, s45
	v_lshrrev_b32_e32 v14, 3, v3
	v_and_b32_e32 v15, 31, v3
	s_lshl_b64 s[42:43], s[0:1], 8
	v_mov_b32_e32 v4, s35
	v_lshrrev_b32_e32 v13, 5, v3
	v_add_co_u32 v11, s0, v14, s36
	v_add_co_ci_u32_e64 v12, null, 0, s37, s0
	v_and_b32_e32 v17, 0x1ff8, v3
	v_or_b32_e32 v3, s34, v15
	s_load_dwordx2 s[26:27], s[26:27], 0x0
	s_load_dwordx2 s[20:21], s[20:21], 0x0
	s_waitcnt lgkmcnt(0)
	v_mad_u64_u32 v[5:6], null, s4, v8, 0
	v_cmp_gt_i64_e32 vcc_lo, s[12:13], v[3:4]
	s_lshl_b64 s[6:7], s[6:7], 3
	v_lshlrev_b32_e32 v16, 3, v8
	s_add_u32 s1, s6, s42
	s_addc_u32 s6, s7, s43
	v_mov_b32_e32 v2, 0
	v_mad_u64_u32 v[6:7], null, s5, v8, v[6:7]
	v_add_co_u32 v7, s0, s34, v15
	v_add_co_ci_u32_e64 v18, null, s35, 0, s0
	v_cmp_gt_i64_e64 s0, s[14:15], v[11:12]
	v_mul_lo_u32 v19, s23, v7
	v_mad_u64_u32 v[3:4], null, s22, v7, 0
	v_mul_lo_u32 v18, s22, v18
	v_lshlrev_b64 v[5:6], 3, v[5:6]
	v_lshlrev_b32_e32 v11, 3, v13
	v_lshlrev_b32_e32 v15, 3, v15
	v_lshl_or_b32 v14, v14, 6, v16
	v_lshlrev_b32_e32 v9, 3, v0
	v_lshl_add_u32 v10, v1, 6, 0x800
	v_add_co_u32 v5, s1, s1, v5
	v_add3_u32 v4, v4, v18, v19
	v_add_co_ci_u32_e64 v6, null, s6, v6, s1
	v_add_co_u32 v5, s1, v5, v17
	v_lshlrev_b64 v[3:4], 3, v[3:4]
	s_lshl_b64 s[6:7], s[24:25], 3
	v_add_co_ci_u32_e64 v6, null, 0, v6, s1
	v_lshl_or_b32 v15, v13, 8, v15
	v_add_nc_u32_e32 v16, 0x800, v14
	v_add_co_u32 v3, s1, v3, s6
	v_add_co_ci_u32_e64 v7, null, s7, v4, s1
	v_add_co_u32 v4, s1, s26, v5
	v_add_co_ci_u32_e64 v5, null, s27, v6, s1
	;; [unrolled: 2-line block ×3, first 2 shown]
	v_mov_b32_e32 v12, 0
	v_add_co_u32 v6, s1, s20, v3
	v_add_co_ci_u32_e64 v7, null, s21, v7, s1
	v_mov_b32_e32 v11, 0
	v_mov_b32_e32 v17, 0
	;; [unrolled: 1-line block ×7, first 2 shown]
	s_lshl_b64 s[4:5], s[4:5], 6
	s_mov_b64 s[6:7], 0
	s_xor_b32 s1, vcc_lo, -1
	s_xor_b32 s0, s0, -1
	s_branch .LBB258_3
.LBB258_2:                              ;   in Loop: Header=BB258_3 Depth=1
	s_or_b32 exec_lo, exec_lo, s20
	s_waitcnt lgkmcnt(0)
	s_barrier
	buffer_gl0_inv
	ds_read_b128 v[22:25], v10
	ds_read2_b64 v[26:29], v9 offset1:16
	ds_read_b128 v[30:33], v10 offset:1024
	ds_read_b128 v[34:37], v10 offset:16
	ds_read_b128 v[38:41], v10 offset:32
	ds_read_b128 v[42:45], v10 offset:48
	ds_read2_b64 v[46:49], v9 offset0:32 offset1:48
	ds_read_b128 v[50:53], v10 offset:1040
	s_add_u32 s6, s6, 8
	s_addc_u32 s7, s7, 0
	v_add_co_u32 v4, vcc_lo, v4, s4
	v_cmp_lt_i64_e64 s20, s[6:7], s[16:17]
	v_add_co_ci_u32_e64 v5, null, s5, v5, vcc_lo
	v_add_co_u32 v6, vcc_lo, v6, 64
	v_add_co_ci_u32_e64 v7, null, 0, v7, vcc_lo
	s_and_b32 vcc_lo, exec_lo, s20
	s_waitcnt lgkmcnt(6)
	v_mul_f32_e32 v3, v23, v27
	v_mul_f32_e32 v54, v22, v27
	;; [unrolled: 1-line block ×4, first 2 shown]
	s_waitcnt lgkmcnt(5)
	v_mul_f32_e32 v57, v31, v27
	v_mul_f32_e32 v27, v30, v27
	;; [unrolled: 1-line block ×3, first 2 shown]
	v_fma_f32 v3, v22, v26, -v3
	v_fmac_f32_e32 v54, v23, v26
	v_fma_f32 v22, v22, v28, -v55
	v_fmac_f32_e32 v56, v23, v28
	;; [unrolled: 2-line block ×3, first 2 shown]
	v_mul_f32_e32 v29, v30, v29
	v_fma_f32 v26, v30, v28, -v58
	v_add_f32_e32 v3, v20, v3
	v_add_f32_e32 v22, v18, v22
	;; [unrolled: 1-line block ×5, first 2 shown]
	s_waitcnt lgkmcnt(1)
	v_mul_f32_e32 v27, v25, v47
	ds_read2_b64 v[17:20], v9 offset0:64 offset1:80
	v_fmac_f32_e32 v29, v31, v28
	v_mul_f32_e32 v28, v25, v49
	v_add_f32_e32 v11, v11, v26
	v_fma_f32 v27, v24, v46, -v27
	v_mul_f32_e32 v26, v24, v47
	v_add_f32_e32 v12, v12, v29
	v_mul_f32_e32 v29, v24, v49
	v_fma_f32 v24, v24, v48, -v28
	v_add_f32_e32 v3, v3, v27
	v_mul_f32_e32 v27, v33, v47
	v_add_f32_e32 v21, v21, v54
	v_fmac_f32_e32 v26, v25, v46
	v_fmac_f32_e32 v29, v25, v48
	v_add_f32_e32 v25, v22, v24
	v_fma_f32 v22, v32, v46, -v27
	v_mul_f32_e32 v24, v33, v49
	v_add_f32_e32 v26, v21, v26
	v_mul_f32_e32 v21, v32, v47
	v_add_f32_e32 v27, v30, v29
	v_add_f32_e32 v14, v14, v22
	v_fma_f32 v22, v32, v48, -v24
	s_waitcnt lgkmcnt(0)
	v_mul_f32_e32 v24, v35, v18
	v_fmac_f32_e32 v21, v33, v46
	v_mul_f32_e32 v28, v32, v49
	v_mul_f32_e32 v30, v34, v18
	;; [unrolled: 1-line block ×3, first 2 shown]
	v_fma_f32 v31, v34, v17, -v24
	v_add_f32_e32 v29, v23, v21
	v_add_f32_e32 v11, v11, v22
	ds_read2_b64 v[21:24], v9 offset0:96 offset1:112
	v_fmac_f32_e32 v30, v35, v17
	v_add_f32_e32 v3, v3, v31
	v_fma_f32 v31, v34, v19, -v32
	v_fmac_f32_e32 v28, v33, v48
	v_mul_f32_e32 v32, v50, v20
	v_add_f32_e32 v26, v26, v30
	v_mul_f32_e32 v30, v51, v18
	v_mul_f32_e32 v18, v50, v18
	v_add_f32_e32 v25, v25, v31
	v_mul_f32_e32 v31, v51, v20
	v_add_f32_e32 v12, v12, v28
	v_mul_f32_e32 v28, v34, v20
	v_fma_f32 v30, v50, v17, -v30
	v_fmac_f32_e32 v18, v51, v17
	v_fma_f32 v17, v50, v19, -v31
	v_fmac_f32_e32 v32, v51, v19
	v_fmac_f32_e32 v28, v35, v19
	v_add_f32_e32 v14, v14, v30
	v_add_f32_e32 v29, v29, v18
	;; [unrolled: 1-line block ×3, first 2 shown]
	ds_read2_b64 v[17:20], v9 offset0:128 offset1:144
	v_add_f32_e32 v33, v27, v28
	s_waitcnt lgkmcnt(1)
	v_mul_f32_e32 v27, v37, v22
	v_mul_f32_e32 v28, v36, v22
	;; [unrolled: 1-line block ×4, first 2 shown]
	v_add_f32_e32 v12, v12, v32
	v_fma_f32 v27, v36, v21, -v27
	v_fmac_f32_e32 v28, v37, v21
	v_fma_f32 v30, v36, v23, -v30
	v_fmac_f32_e32 v31, v37, v23
	v_mul_f32_e32 v32, v53, v24
	v_add_f32_e32 v3, v3, v27
	v_mul_f32_e32 v27, v53, v22
	v_mul_f32_e32 v22, v52, v22
	v_add_f32_e32 v34, v26, v28
	v_add_f32_e32 v35, v25, v30
	;; [unrolled: 1-line block ×3, first 2 shown]
	v_fma_f32 v30, v52, v21, -v27
	ds_read_b128 v[25:28], v10 offset:1056
	v_fmac_f32_e32 v22, v53, v21
	v_mul_f32_e32 v31, v52, v24
	v_fma_f32 v21, v52, v23, -v32
	s_waitcnt lgkmcnt(1)
	v_mul_f32_e32 v24, v39, v18
	v_add_f32_e32 v14, v14, v30
	v_add_f32_e32 v36, v29, v22
	v_fmac_f32_e32 v31, v53, v23
	v_add_f32_e32 v11, v11, v21
	v_fma_f32 v29, v38, v17, -v24
	ds_read2_b64 v[21:24], v9 offset0:160 offset1:176
	v_mul_f32_e32 v37, v38, v18
	v_mul_f32_e32 v30, v39, v20
	v_add_f32_e32 v12, v12, v31
	v_add_f32_e32 v3, v3, v29
	v_mul_f32_e32 v46, v38, v20
	v_fmac_f32_e32 v37, v39, v17
	v_fma_f32 v38, v38, v19, -v30
	ds_read_b128 v[29:32], v10 offset:1072
	s_waitcnt lgkmcnt(2)
	v_mul_f32_e32 v47, v26, v18
	v_mul_f32_e32 v18, v25, v18
	v_add_f32_e32 v34, v34, v37
	v_fmac_f32_e32 v46, v39, v19
	v_add_f32_e32 v35, v35, v38
	v_fma_f32 v37, v25, v17, -v47
	v_mul_f32_e32 v38, v26, v20
	v_fmac_f32_e32 v18, v26, v17
	v_mul_f32_e32 v39, v25, v20
	v_add_f32_e32 v33, v33, v46
	s_waitcnt lgkmcnt(1)
	v_mul_f32_e32 v20, v41, v22
	v_add_f32_e32 v14, v14, v37
	v_fma_f32 v17, v25, v19, -v38
	v_add_f32_e32 v25, v36, v18
	v_fmac_f32_e32 v39, v26, v19
	v_mul_f32_e32 v26, v40, v22
	v_fma_f32 v36, v40, v21, -v20
	v_mul_f32_e32 v37, v41, v24
	v_add_f32_e32 v11, v11, v17
	ds_read2_b64 v[17:20], v9 offset0:192 offset1:208
	v_fmac_f32_e32 v26, v41, v21
	v_add_f32_e32 v3, v3, v36
	v_mul_f32_e32 v36, v40, v24
	v_fma_f32 v37, v40, v23, -v37
	v_add_f32_e32 v12, v12, v39
	v_add_f32_e32 v26, v34, v26
	v_mul_f32_e32 v34, v28, v22
	v_mul_f32_e32 v22, v27, v22
	v_fmac_f32_e32 v36, v41, v23
	v_add_f32_e32 v35, v35, v37
	v_mul_f32_e32 v37, v28, v24
	v_fma_f32 v34, v27, v21, -v34
	v_fmac_f32_e32 v22, v28, v21
	v_add_f32_e32 v21, v33, v36
	v_mul_f32_e32 v33, v27, v24
	v_fma_f32 v24, v27, v23, -v37
	v_add_f32_e32 v14, v14, v34
	v_add_f32_e32 v27, v25, v22
	v_fmac_f32_e32 v33, v28, v23
	v_add_f32_e32 v11, v11, v24
	ds_read2_b64 v[22:25], v9 offset0:224 offset1:240
	s_waitcnt lgkmcnt(1)
	v_mul_f32_e32 v34, v43, v18
	v_mul_f32_e32 v28, v42, v18
	v_add_f32_e32 v12, v12, v33
	v_mul_f32_e32 v33, v43, v20
	v_mul_f32_e32 v36, v42, v20
	v_fma_f32 v34, v42, v17, -v34
	v_fmac_f32_e32 v28, v43, v17
	s_waitcnt lgkmcnt(0)
	v_fma_f32 v33, v42, v19, -v33
	v_fmac_f32_e32 v36, v43, v19
	v_add_f32_e32 v3, v3, v34
	v_mul_f32_e32 v34, v30, v18
	v_mul_f32_e32 v18, v29, v18
	v_add_f32_e32 v26, v26, v28
	v_add_f32_e32 v33, v35, v33
	;; [unrolled: 1-line block ×3, first 2 shown]
	v_fma_f32 v28, v29, v17, -v34
	v_mul_f32_e32 v34, v30, v20
	v_fmac_f32_e32 v18, v30, v17
	v_mul_f32_e32 v17, v29, v20
	v_mul_f32_e32 v21, v45, v23
	v_add_f32_e32 v14, v14, v28
	v_fma_f32 v20, v29, v19, -v34
	v_add_f32_e32 v27, v27, v18
	v_fmac_f32_e32 v17, v30, v19
	v_fma_f32 v18, v44, v22, -v21
	v_mul_f32_e32 v19, v45, v25
	v_mul_f32_e32 v28, v44, v23
	v_add_f32_e32 v11, v11, v20
	v_mul_f32_e32 v29, v44, v25
	v_add_f32_e32 v12, v12, v17
	v_add_f32_e32 v20, v3, v18
	v_fma_f32 v3, v44, v24, -v19
	v_mul_f32_e32 v17, v32, v23
	v_mul_f32_e32 v23, v31, v23
	;; [unrolled: 1-line block ×4, first 2 shown]
	v_fmac_f32_e32 v28, v45, v22
	v_fmac_f32_e32 v29, v45, v24
	v_add_f32_e32 v18, v33, v3
	v_fma_f32 v3, v31, v22, -v17
	v_fmac_f32_e32 v23, v32, v22
	v_fma_f32 v22, v31, v24, -v19
	v_fmac_f32_e32 v25, v32, v24
	v_add_f32_e32 v21, v26, v28
	v_add_f32_e32 v19, v35, v29
	;; [unrolled: 1-line block ×6, first 2 shown]
	s_barrier
	buffer_gl0_inv
	s_cbranch_vccz .LBB258_11
.LBB258_3:                              ; =>This Inner Loop Header: Depth=1
	v_add_co_u32 v22, s20, v13, s6
	v_add_co_ci_u32_e64 v23, null, 0, s7, s20
	v_cmp_le_i64_e32 vcc_lo, s[16:17], v[22:23]
	s_or_b32 s20, s1, vcc_lo
	s_and_saveexec_b32 s21, s20
	s_xor_b32 s20, exec_lo, s21
; %bb.4:                                ;   in Loop: Header=BB258_3 Depth=1
	ds_write_b32 v15, v2
; %bb.5:                                ;   in Loop: Header=BB258_3 Depth=1
	s_or_saveexec_b32 s20, s20
	v_mov_b32_e32 v3, 0
	s_xor_b32 exec_lo, exec_lo, s20
	s_cbranch_execz .LBB258_7
; %bb.6:                                ;   in Loop: Header=BB258_3 Depth=1
	flat_load_dwordx2 v[22:23], v[6:7]
	s_waitcnt vmcnt(0) lgkmcnt(0)
	v_xor_b32_e32 v3, 0x80000000, v23
	ds_write_b32 v15, v22
.LBB258_7:                              ;   in Loop: Header=BB258_3 Depth=1
	s_or_b32 exec_lo, exec_lo, s20
	v_add_co_u32 v22, s20, v8, s6
	v_add_co_ci_u32_e64 v23, null, 0, s7, s20
	ds_write_b32 v15, v3 offset:4
	v_cmp_le_i64_e32 vcc_lo, s[16:17], v[22:23]
	s_or_b32 s20, vcc_lo, s0
	s_and_saveexec_b32 s21, s20
	s_xor_b32 s20, exec_lo, s21
; %bb.8:                                ;   in Loop: Header=BB258_3 Depth=1
	v_mov_b32_e32 v3, v2
	ds_write_b64 v16, v[2:3]
; %bb.9:                                ;   in Loop: Header=BB258_3 Depth=1
	s_andn2_saveexec_b32 s20, s20
	s_cbranch_execz .LBB258_2
; %bb.10:                               ;   in Loop: Header=BB258_3 Depth=1
	flat_load_dwordx2 v[22:23], v[4:5]
	s_waitcnt vmcnt(0) lgkmcnt(0)
	ds_write_b64 v16, v[22:23]
	s_branch .LBB258_2
.LBB258_11:
	v_add_co_u32 v1, s4, s36, v1
	v_add_co_ci_u32_e64 v2, null, s37, 0, s4
	s_lshl_b64 s[0:1], s[30:31], 3
	s_waitcnt lgkmcnt(0)
	s_add_u32 s4, s2, s0
	s_addc_u32 s3, s3, s1
	s_or_b32 s1, s8, s9
	v_cmp_gt_i64_e64 s0, s[14:15], v[1:2]
	s_bitset0_b32 s1, 31
	s_cmp_lg_u32 s1, 0
	s_mov_b32 s1, -1
	s_cbranch_scc1 .LBB258_23
; %bb.12:
	s_and_saveexec_b32 s5, s0
	s_cbranch_execz .LBB258_22
; %bb.13:
	v_mul_lo_u32 v5, v2, s28
	v_mul_lo_u32 v6, v1, s29
	v_mad_u64_u32 v[3:4], null, v1, s28, 0
	v_add3_u32 v4, v4, v6, v5
	v_add_co_u32 v5, s1, s34, v0
	v_add_co_ci_u32_e64 v6, null, s35, 0, s1
	v_lshlrev_b64 v[7:8], 3, v[3:4]
	v_cmp_gt_i64_e32 vcc_lo, s[12:13], v[5:6]
	v_lshlrev_b64 v[3:4], 3, v[5:6]
	v_add_co_u32 v7, s1, s4, v7
	v_add_co_ci_u32_e64 v8, null, s3, v8, s1
	s_and_saveexec_b32 s2, vcc_lo
	s_cbranch_execz .LBB258_15
; %bb.14:
	v_mul_f32_e32 v9, s19, v21
	v_mul_f32_e32 v10, s18, v21
	v_add_co_u32 v15, s1, v7, v3
	v_add_co_ci_u32_e64 v16, null, v8, v4, s1
	v_fma_f32 v9, v20, s18, -v9
	v_fmac_f32_e32 v10, s19, v20
	flat_store_dwordx2 v[15:16], v[9:10]
.LBB258_15:
	s_or_b32 exec_lo, exec_lo, s2
	v_add_co_u32 v5, s1, v5, 16
	v_add_co_ci_u32_e64 v6, null, 0, v6, s1
	v_cmp_gt_i64_e64 s1, s[12:13], v[5:6]
	s_and_saveexec_b32 s6, s1
	s_cbranch_execz .LBB258_17
; %bb.16:
	v_mul_f32_e32 v5, s19, v19
	v_mul_f32_e32 v6, s18, v19
	v_add_co_u32 v9, s2, v7, v3
	v_add_co_ci_u32_e64 v10, null, v8, v4, s2
	v_fma_f32 v5, v18, s18, -v5
	v_fmac_f32_e32 v6, s19, v18
	flat_store_dwordx2 v[9:10], v[5:6] offset:128
.LBB258_17:
	s_or_b32 exec_lo, exec_lo, s6
	v_add_co_u32 v5, s2, v1, 16
	v_add_co_ci_u32_e64 v6, null, 0, v2, s2
	v_cmp_gt_i64_e64 s2, s[14:15], v[5:6]
	s_and_b32 exec_lo, exec_lo, s2
	s_cbranch_execz .LBB258_22
; %bb.18:
	s_lshl_b64 s[6:7], s[28:29], 7
	v_add_co_u32 v5, s2, v7, s6
	v_add_co_ci_u32_e64 v6, null, s7, v8, s2
	v_add_co_u32 v3, s2, v5, v3
	v_add_co_ci_u32_e64 v4, null, v6, v4, s2
	s_and_saveexec_b32 s2, vcc_lo
	s_cbranch_execz .LBB258_20
; %bb.19:
	v_mul_f32_e32 v5, s19, v17
	v_mul_f32_e32 v6, s18, v17
	v_fma_f32 v5, v14, s18, -v5
	v_fmac_f32_e32 v6, s19, v14
	flat_store_dwordx2 v[3:4], v[5:6]
.LBB258_20:
	s_or_b32 exec_lo, exec_lo, s2
	s_and_b32 exec_lo, exec_lo, s1
	s_cbranch_execz .LBB258_22
; %bb.21:
	v_mul_f32_e32 v5, s19, v12
	v_mul_f32_e32 v6, s18, v12
	v_fma_f32 v5, v11, s18, -v5
	v_fmac_f32_e32 v6, s19, v11
	flat_store_dwordx2 v[3:4], v[5:6] offset:128
.LBB258_22:
	s_or_b32 exec_lo, exec_lo, s5
	s_mov_b32 s1, 0
.LBB258_23:
	s_andn2_b32 vcc_lo, exec_lo, s1
	s_cbranch_vccnz .LBB258_34
; %bb.24:
	s_and_saveexec_b32 s1, s0
	s_cbranch_execz .LBB258_34
; %bb.25:
	v_mul_lo_u32 v5, v2, s38
	v_mul_lo_u32 v6, v1, s39
	v_mad_u64_u32 v[3:4], null, v1, s38, 0
	v_mul_lo_u32 v9, v2, s28
	v_mul_lo_u32 v10, v1, s29
	v_mad_u64_u32 v[7:8], null, v1, s28, 0
	s_lshl_b64 s[0:1], s[40:41], 3
	v_add3_u32 v4, v4, v6, v5
	v_add_co_u32 v5, s2, s34, v0
	v_add_co_ci_u32_e64 v6, null, s35, 0, s2
	v_add3_u32 v8, v8, v10, v9
	v_lshlrev_b64 v[3:4], 3, v[3:4]
	s_add_u32 s0, s10, s0
	s_addc_u32 s1, s11, s1
	v_cmp_gt_i64_e32 vcc_lo, s[12:13], v[5:6]
	v_lshlrev_b64 v[8:9], 3, v[7:8]
	v_add_co_u32 v0, s0, s0, v3
	v_add_co_ci_u32_e64 v7, null, s1, v4, s0
	v_add_co_u32 v8, s0, s4, v8
	v_lshlrev_b64 v[3:4], 3, v[5:6]
	v_add_co_ci_u32_e64 v9, null, s3, v9, s0
	s_and_saveexec_b32 s1, vcc_lo
	s_cbranch_execz .LBB258_27
; %bb.26:
	v_add_co_u32 v15, s0, v0, v3
	v_add_co_ci_u32_e64 v16, null, v7, v4, s0
	v_mul_f32_e32 v10, s19, v21
	v_mul_f32_e32 v13, s18, v21
	flat_load_dwordx2 v[15:16], v[15:16]
	v_fma_f32 v10, v20, s18, -v10
	v_fmac_f32_e32 v13, s19, v20
	s_waitcnt vmcnt(0) lgkmcnt(0)
	v_mul_f32_e32 v21, s9, v16
	v_mul_f32_e32 v16, s8, v16
	v_fma_f32 v20, v15, s8, -v21
	v_fmac_f32_e32 v16, s9, v15
	v_add_f32_e32 v15, v10, v20
	v_add_co_u32 v20, s0, v8, v3
	v_add_f32_e32 v16, v13, v16
	v_add_co_ci_u32_e64 v21, null, v9, v4, s0
	flat_store_dwordx2 v[20:21], v[15:16]
.LBB258_27:
	s_or_b32 exec_lo, exec_lo, s1
	v_add_co_u32 v5, s0, v5, 16
	v_add_co_ci_u32_e64 v6, null, 0, v6, s0
	v_cmp_gt_i64_e64 s0, s[12:13], v[5:6]
	s_and_saveexec_b32 s2, s0
	s_cbranch_execz .LBB258_29
; %bb.28:
	v_add_co_u32 v5, s1, v0, v3
	v_add_co_ci_u32_e64 v6, null, v7, v4, s1
	v_mul_f32_e32 v10, s19, v19
	v_mul_f32_e32 v13, s18, v19
	flat_load_dwordx2 v[5:6], v[5:6] offset:128
	v_fma_f32 v10, v18, s18, -v10
	v_fmac_f32_e32 v13, s19, v18
	s_waitcnt vmcnt(0) lgkmcnt(0)
	v_mul_f32_e32 v15, s9, v6
	v_mul_f32_e32 v6, s8, v6
	v_fma_f32 v15, v5, s8, -v15
	v_fmac_f32_e32 v6, s9, v5
	v_add_f32_e32 v5, v10, v15
	v_add_co_u32 v15, s1, v8, v3
	v_add_f32_e32 v6, v13, v6
	v_add_co_ci_u32_e64 v16, null, v9, v4, s1
	flat_store_dwordx2 v[15:16], v[5:6] offset:128
.LBB258_29:
	s_or_b32 exec_lo, exec_lo, s2
	v_add_co_u32 v1, s1, v1, 16
	v_add_co_ci_u32_e64 v2, null, 0, v2, s1
	v_cmp_gt_i64_e64 s1, s[14:15], v[1:2]
	s_and_b32 exec_lo, exec_lo, s1
	s_cbranch_execz .LBB258_34
; %bb.30:
	s_lshl_b64 s[2:3], s[38:39], 7
	v_add_co_u32 v0, s1, v0, s2
	v_add_co_ci_u32_e64 v1, null, s3, v7, s1
	s_lshl_b64 s[2:3], s[28:29], 7
	v_add_co_u32 v2, s1, v8, s2
	v_add_co_ci_u32_e64 v7, null, s3, v9, s1
	v_add_co_u32 v5, s1, v0, v3
	v_add_co_ci_u32_e64 v6, null, v1, v4, s1
	;; [unrolled: 2-line block ×3, first 2 shown]
	s_and_saveexec_b32 s1, vcc_lo
	s_cbranch_execz .LBB258_32
; %bb.31:
	flat_load_dwordx2 v[2:3], v[5:6]
	v_mul_f32_e32 v4, s19, v17
	v_mul_f32_e32 v7, s18, v17
	v_fma_f32 v4, v14, s18, -v4
	v_fmac_f32_e32 v7, s19, v14
	s_waitcnt vmcnt(0) lgkmcnt(0)
	v_mul_f32_e32 v8, s9, v3
	v_mul_f32_e32 v3, s8, v3
	v_fma_f32 v8, v2, s8, -v8
	v_fmac_f32_e32 v3, s9, v2
	v_add_f32_e32 v2, v4, v8
	v_add_f32_e32 v3, v7, v3
	flat_store_dwordx2 v[0:1], v[2:3]
.LBB258_32:
	s_or_b32 exec_lo, exec_lo, s1
	s_and_b32 exec_lo, exec_lo, s0
	s_cbranch_execz .LBB258_34
; %bb.33:
	flat_load_dwordx2 v[2:3], v[5:6] offset:128
	v_mul_f32_e32 v4, s19, v12
	v_mul_f32_e32 v5, s18, v12
	v_fma_f32 v4, v11, s18, -v4
	v_fmac_f32_e32 v5, s19, v11
	s_waitcnt vmcnt(0) lgkmcnt(0)
	v_mul_f32_e32 v6, s9, v3
	v_mul_f32_e32 v3, s8, v3
	v_fma_f32 v6, v2, s8, -v6
	v_fmac_f32_e32 v3, s9, v2
	v_add_f32_e32 v2, v4, v6
	v_add_f32_e32 v3, v5, v3
	flat_store_dwordx2 v[0:1], v[2:3] offset:128
.LBB258_34:
	s_endpgm
	.section	.rodata,"a",@progbits
	.p2align	6, 0x0
	.amdhsa_kernel _ZN12_GLOBAL__N_135rocblas_gemm_batched_general_kernelI19rocblas_complex_numIfELi16ELi16ELi32ELi32ELi8ELi32ELi8ELi8ELi32ELc67ELc84EKPKS2_S5_KPS2_EEvlllT_PT11_llSA_llS8_PT12_llPT13_lli
		.amdhsa_group_segment_fixed_size 4096
		.amdhsa_private_segment_fixed_size 0
		.amdhsa_kernarg_size 140
		.amdhsa_user_sgpr_count 6
		.amdhsa_user_sgpr_private_segment_buffer 1
		.amdhsa_user_sgpr_dispatch_ptr 0
		.amdhsa_user_sgpr_queue_ptr 0
		.amdhsa_user_sgpr_kernarg_segment_ptr 1
		.amdhsa_user_sgpr_dispatch_id 0
		.amdhsa_user_sgpr_flat_scratch_init 0
		.amdhsa_user_sgpr_private_segment_size 0
		.amdhsa_wavefront_size32 1
		.amdhsa_uses_dynamic_stack 0
		.amdhsa_system_sgpr_private_segment_wavefront_offset 0
		.amdhsa_system_sgpr_workgroup_id_x 1
		.amdhsa_system_sgpr_workgroup_id_y 1
		.amdhsa_system_sgpr_workgroup_id_z 1
		.amdhsa_system_sgpr_workgroup_info 0
		.amdhsa_system_vgpr_workitem_id 1
		.amdhsa_next_free_vgpr 59
		.amdhsa_next_free_sgpr 46
		.amdhsa_reserve_vcc 1
		.amdhsa_reserve_flat_scratch 0
		.amdhsa_float_round_mode_32 0
		.amdhsa_float_round_mode_16_64 0
		.amdhsa_float_denorm_mode_32 3
		.amdhsa_float_denorm_mode_16_64 3
		.amdhsa_dx10_clamp 1
		.amdhsa_ieee_mode 1
		.amdhsa_fp16_overflow 0
		.amdhsa_workgroup_processor_mode 1
		.amdhsa_memory_ordered 1
		.amdhsa_forward_progress 1
		.amdhsa_shared_vgpr_count 0
		.amdhsa_exception_fp_ieee_invalid_op 0
		.amdhsa_exception_fp_denorm_src 0
		.amdhsa_exception_fp_ieee_div_zero 0
		.amdhsa_exception_fp_ieee_overflow 0
		.amdhsa_exception_fp_ieee_underflow 0
		.amdhsa_exception_fp_ieee_inexact 0
		.amdhsa_exception_int_div_zero 0
	.end_amdhsa_kernel
	.section	.text._ZN12_GLOBAL__N_135rocblas_gemm_batched_general_kernelI19rocblas_complex_numIfELi16ELi16ELi32ELi32ELi8ELi32ELi8ELi8ELi32ELc67ELc84EKPKS2_S5_KPS2_EEvlllT_PT11_llSA_llS8_PT12_llPT13_lli,"axG",@progbits,_ZN12_GLOBAL__N_135rocblas_gemm_batched_general_kernelI19rocblas_complex_numIfELi16ELi16ELi32ELi32ELi8ELi32ELi8ELi8ELi32ELc67ELc84EKPKS2_S5_KPS2_EEvlllT_PT11_llSA_llS8_PT12_llPT13_lli,comdat
.Lfunc_end258:
	.size	_ZN12_GLOBAL__N_135rocblas_gemm_batched_general_kernelI19rocblas_complex_numIfELi16ELi16ELi32ELi32ELi8ELi32ELi8ELi8ELi32ELc67ELc84EKPKS2_S5_KPS2_EEvlllT_PT11_llSA_llS8_PT12_llPT13_lli, .Lfunc_end258-_ZN12_GLOBAL__N_135rocblas_gemm_batched_general_kernelI19rocblas_complex_numIfELi16ELi16ELi32ELi32ELi8ELi32ELi8ELi8ELi32ELc67ELc84EKPKS2_S5_KPS2_EEvlllT_PT11_llSA_llS8_PT12_llPT13_lli
                                        ; -- End function
	.set _ZN12_GLOBAL__N_135rocblas_gemm_batched_general_kernelI19rocblas_complex_numIfELi16ELi16ELi32ELi32ELi8ELi32ELi8ELi8ELi32ELc67ELc84EKPKS2_S5_KPS2_EEvlllT_PT11_llSA_llS8_PT12_llPT13_lli.num_vgpr, 59
	.set _ZN12_GLOBAL__N_135rocblas_gemm_batched_general_kernelI19rocblas_complex_numIfELi16ELi16ELi32ELi32ELi8ELi32ELi8ELi8ELi32ELc67ELc84EKPKS2_S5_KPS2_EEvlllT_PT11_llSA_llS8_PT12_llPT13_lli.num_agpr, 0
	.set _ZN12_GLOBAL__N_135rocblas_gemm_batched_general_kernelI19rocblas_complex_numIfELi16ELi16ELi32ELi32ELi8ELi32ELi8ELi8ELi32ELc67ELc84EKPKS2_S5_KPS2_EEvlllT_PT11_llSA_llS8_PT12_llPT13_lli.numbered_sgpr, 46
	.set _ZN12_GLOBAL__N_135rocblas_gemm_batched_general_kernelI19rocblas_complex_numIfELi16ELi16ELi32ELi32ELi8ELi32ELi8ELi8ELi32ELc67ELc84EKPKS2_S5_KPS2_EEvlllT_PT11_llSA_llS8_PT12_llPT13_lli.num_named_barrier, 0
	.set _ZN12_GLOBAL__N_135rocblas_gemm_batched_general_kernelI19rocblas_complex_numIfELi16ELi16ELi32ELi32ELi8ELi32ELi8ELi8ELi32ELc67ELc84EKPKS2_S5_KPS2_EEvlllT_PT11_llSA_llS8_PT12_llPT13_lli.private_seg_size, 0
	.set _ZN12_GLOBAL__N_135rocblas_gemm_batched_general_kernelI19rocblas_complex_numIfELi16ELi16ELi32ELi32ELi8ELi32ELi8ELi8ELi32ELc67ELc84EKPKS2_S5_KPS2_EEvlllT_PT11_llSA_llS8_PT12_llPT13_lli.uses_vcc, 1
	.set _ZN12_GLOBAL__N_135rocblas_gemm_batched_general_kernelI19rocblas_complex_numIfELi16ELi16ELi32ELi32ELi8ELi32ELi8ELi8ELi32ELc67ELc84EKPKS2_S5_KPS2_EEvlllT_PT11_llSA_llS8_PT12_llPT13_lli.uses_flat_scratch, 0
	.set _ZN12_GLOBAL__N_135rocblas_gemm_batched_general_kernelI19rocblas_complex_numIfELi16ELi16ELi32ELi32ELi8ELi32ELi8ELi8ELi32ELc67ELc84EKPKS2_S5_KPS2_EEvlllT_PT11_llSA_llS8_PT12_llPT13_lli.has_dyn_sized_stack, 0
	.set _ZN12_GLOBAL__N_135rocblas_gemm_batched_general_kernelI19rocblas_complex_numIfELi16ELi16ELi32ELi32ELi8ELi32ELi8ELi8ELi32ELc67ELc84EKPKS2_S5_KPS2_EEvlllT_PT11_llSA_llS8_PT12_llPT13_lli.has_recursion, 0
	.set _ZN12_GLOBAL__N_135rocblas_gemm_batched_general_kernelI19rocblas_complex_numIfELi16ELi16ELi32ELi32ELi8ELi32ELi8ELi8ELi32ELc67ELc84EKPKS2_S5_KPS2_EEvlllT_PT11_llSA_llS8_PT12_llPT13_lli.has_indirect_call, 0
	.section	.AMDGPU.csdata,"",@progbits
; Kernel info:
; codeLenInByte = 3008
; TotalNumSgprs: 48
; NumVgprs: 59
; ScratchSize: 0
; MemoryBound: 1
; FloatMode: 240
; IeeeMode: 1
; LDSByteSize: 4096 bytes/workgroup (compile time only)
; SGPRBlocks: 0
; VGPRBlocks: 7
; NumSGPRsForWavesPerEU: 48
; NumVGPRsForWavesPerEU: 59
; Occupancy: 16
; WaveLimiterHint : 1
; COMPUTE_PGM_RSRC2:SCRATCH_EN: 0
; COMPUTE_PGM_RSRC2:USER_SGPR: 6
; COMPUTE_PGM_RSRC2:TRAP_HANDLER: 0
; COMPUTE_PGM_RSRC2:TGID_X_EN: 1
; COMPUTE_PGM_RSRC2:TGID_Y_EN: 1
; COMPUTE_PGM_RSRC2:TGID_Z_EN: 1
; COMPUTE_PGM_RSRC2:TIDIG_COMP_CNT: 1
	.section	.text._ZN12_GLOBAL__N_135rocblas_gemm_batched_general_kernelI19rocblas_complex_numIfELi16ELi16ELi32ELi32ELi8ELi32ELi8ELi8ELi32ELc78ELc67EKPKS2_S5_KPS2_EEvlllT_PT11_llSA_llS8_PT12_llPT13_lli,"axG",@progbits,_ZN12_GLOBAL__N_135rocblas_gemm_batched_general_kernelI19rocblas_complex_numIfELi16ELi16ELi32ELi32ELi8ELi32ELi8ELi8ELi32ELc78ELc67EKPKS2_S5_KPS2_EEvlllT_PT11_llSA_llS8_PT12_llPT13_lli,comdat
	.globl	_ZN12_GLOBAL__N_135rocblas_gemm_batched_general_kernelI19rocblas_complex_numIfELi16ELi16ELi32ELi32ELi8ELi32ELi8ELi8ELi32ELc78ELc67EKPKS2_S5_KPS2_EEvlllT_PT11_llSA_llS8_PT12_llPT13_lli ; -- Begin function _ZN12_GLOBAL__N_135rocblas_gemm_batched_general_kernelI19rocblas_complex_numIfELi16ELi16ELi32ELi32ELi8ELi32ELi8ELi8ELi32ELc78ELc67EKPKS2_S5_KPS2_EEvlllT_PT11_llSA_llS8_PT12_llPT13_lli
	.p2align	8
	.type	_ZN12_GLOBAL__N_135rocblas_gemm_batched_general_kernelI19rocblas_complex_numIfELi16ELi16ELi32ELi32ELi8ELi32ELi8ELi8ELi32ELc78ELc67EKPKS2_S5_KPS2_EEvlllT_PT11_llSA_llS8_PT12_llPT13_lli,@function
_ZN12_GLOBAL__N_135rocblas_gemm_batched_general_kernelI19rocblas_complex_numIfELi16ELi16ELi32ELi32ELi8ELi32ELi8ELi8ELi32ELc78ELc67EKPKS2_S5_KPS2_EEvlllT_PT11_llSA_llS8_PT12_llPT13_lli: ; @_ZN12_GLOBAL__N_135rocblas_gemm_batched_general_kernelI19rocblas_complex_numIfELi16ELi16ELi32ELi32ELi8ELi32ELi8ELi8ELi32ELc78ELc67EKPKS2_S5_KPS2_EEvlllT_PT11_llSA_llS8_PT12_llPT13_lli
; %bb.0:
	s_clause 0x1
	s_load_dwordx8 s[36:43], s[4:5], 0x58
	s_load_dwordx16 s[12:27], s[4:5], 0x0
	s_mov_b32 s9, 0
	s_clause 0x1
	s_load_dwordx4 s[28:31], s[4:5], 0x78
	s_load_dwordx2 s[34:35], s[4:5], 0x50
	s_lshl_b64 s[46:47], s[8:9], 3
	s_mov_b32 s0, s7
	v_mov_b32_e32 v20, 0
	v_mov_b32_e32 v21, 0
	;; [unrolled: 1-line block ×8, first 2 shown]
	s_waitcnt lgkmcnt(0)
	s_add_u32 s2, s36, s46
	s_addc_u32 s3, s37, s47
	s_add_u32 s8, s42, s46
	s_addc_u32 s9, s43, s47
	s_load_dwordx2 s[36:37], s[2:3], 0x0
	s_load_dwordx2 s[2:3], s[8:9], 0x0
	v_cmp_lt_i64_e64 s8, s[16:17], 1
	s_ashr_i32 s7, s6, 31
	s_ashr_i32 s1, s0, 31
	s_lshl_b64 s[42:43], s[6:7], 5
	s_lshl_b64 s[44:45], s[0:1], 5
	s_and_b32 vcc_lo, exec_lo, s8
	s_cbranch_vccnz .LBB259_11
; %bb.1:
	s_load_dwordx4 s[8:11], s[4:5], 0x40
	v_lshl_add_u32 v3, v1, 4, v0
	v_and_b32_e32 v8, 7, v0
	s_add_u32 s4, s26, s46
	s_addc_u32 s5, s27, s47
	s_add_u32 s20, s20, s46
	v_lshrrev_b32_e32 v11, 5, v3
	v_lshrrev_b32_e32 v17, 3, v3
	v_and_b32_e32 v18, 31, v3
	v_lshlrev_b32_e32 v19, 3, v8
	s_load_dwordx2 s[26:27], s[4:5], 0x0
	v_mad_u64_u32 v[12:13], null, s22, v11, 0
	s_addc_u32 s21, s21, s47
	s_lshl_b64 s[4:5], s[0:1], 8
	v_and_b32_e32 v20, 0x1ff8, v3
	v_add_co_u32 v15, s0, v17, s44
	v_or_b32_e32 v3, s42, v18
	v_mov_b32_e32 v7, v13
	s_waitcnt lgkmcnt(0)
	v_mad_u64_u32 v[5:6], null, s8, v8, 0
	v_lshlrev_b32_e32 v21, 3, v18
	v_lshl_or_b32 v19, v17, 6, v19
	v_mad_u64_u32 v[17:18], null, s23, v11, v[7:8]
	v_mov_b32_e32 v4, s43
	s_load_dwordx2 s[20:21], s[20:21], 0x0
	v_mad_u64_u32 v[13:14], null, s9, v8, v[6:7]
	s_lshl_b64 s[10:11], s[10:11], 3
	v_cmp_gt_i64_e32 vcc_lo, s[12:13], v[3:4]
	s_add_u32 s1, s10, s4
	s_addc_u32 s4, s11, s5
	s_lshl_b64 s[6:7], s[6:7], 8
	s_lshl_b64 s[10:11], s[24:25], 3
	v_mov_b32_e32 v6, v13
	v_mov_b32_e32 v13, v17
	v_add_co_ci_u32_e64 v16, null, 0, s45, s0
	v_mov_b32_e32 v2, 0
	v_lshlrev_b64 v[3:4], 3, v[5:6]
	v_lshlrev_b64 v[5:6], 3, v[12:13]
	v_cmp_gt_i64_e64 s0, s[14:15], v[15:16]
	v_lshlrev_b32_e32 v9, 3, v0
	v_lshl_add_u32 v10, v1, 6, 0x800
	v_lshl_or_b32 v14, v11, 8, v21
	v_add_co_u32 v3, s1, s1, v3
	v_add_co_ci_u32_e64 v4, null, s4, v4, s1
	s_lshl_b64 s[4:5], s[8:9], 6
	s_add_u32 s1, s10, s6
	s_addc_u32 s6, s11, s7
	v_add_co_u32 v5, s1, s1, v5
	v_add_co_ci_u32_e64 v6, null, s6, v6, s1
	v_add_co_u32 v3, s1, v3, v20
	v_add_co_ci_u32_e64 v7, null, 0, v4, s1
	;; [unrolled: 2-line block ×4, first 2 shown]
	s_waitcnt lgkmcnt(0)
	v_add_co_u32 v6, s1, s20, v12
	v_add_nc_u32_e32 v16, 0x800, v19
	v_add_co_ci_u32_e64 v7, null, s21, v13, s1
	v_mov_b32_e32 v13, 0
	v_mov_b32_e32 v12, 0
	v_mov_b32_e32 v17, 0
	v_mov_b32_e32 v15, 0
	v_mov_b32_e32 v19, 0
	v_mov_b32_e32 v18, 0
	v_mov_b32_e32 v21, 0
	v_mov_b32_e32 v20, 0
	s_lshl_b64 s[6:7], s[22:23], 6
	s_mov_b64 s[8:9], 0
	s_xor_b32 s1, vcc_lo, -1
	s_xor_b32 s0, s0, -1
	s_branch .LBB259_3
.LBB259_2:                              ;   in Loop: Header=BB259_3 Depth=1
	s_or_b32 exec_lo, exec_lo, s10
	ds_write_b32 v16, v3 offset:4
	s_waitcnt lgkmcnt(0)
	s_barrier
	buffer_gl0_inv
	ds_read_b128 v[22:25], v10
	ds_read2_b64 v[26:29], v9 offset1:16
	ds_read_b128 v[30:33], v10 offset:1024
	ds_read_b128 v[34:37], v10 offset:16
	;; [unrolled: 1-line block ×4, first 2 shown]
	ds_read2_b64 v[46:49], v9 offset0:32 offset1:48
	ds_read_b128 v[50:53], v10 offset:1040
	s_add_u32 s8, s8, 8
	s_addc_u32 s9, s9, 0
	v_add_co_u32 v4, vcc_lo, v4, s4
	v_cmp_lt_i64_e64 s10, s[8:9], s[16:17]
	v_add_co_ci_u32_e64 v5, null, s5, v5, vcc_lo
	v_add_co_u32 v6, vcc_lo, v6, s6
	v_add_co_ci_u32_e64 v7, null, s7, v7, vcc_lo
	s_and_b32 vcc_lo, exec_lo, s10
	s_waitcnt lgkmcnt(6)
	v_mul_f32_e32 v3, v23, v27
	v_mul_f32_e32 v54, v22, v27
	;; [unrolled: 1-line block ×4, first 2 shown]
	s_waitcnt lgkmcnt(5)
	v_mul_f32_e32 v57, v31, v27
	v_mul_f32_e32 v27, v30, v27
	;; [unrolled: 1-line block ×3, first 2 shown]
	v_fma_f32 v3, v22, v26, -v3
	v_fmac_f32_e32 v54, v23, v26
	v_fma_f32 v22, v22, v28, -v55
	v_fmac_f32_e32 v56, v23, v28
	;; [unrolled: 2-line block ×3, first 2 shown]
	v_mul_f32_e32 v29, v30, v29
	v_fma_f32 v26, v30, v28, -v58
	v_add_f32_e32 v3, v20, v3
	v_add_f32_e32 v22, v18, v22
	;; [unrolled: 1-line block ×5, first 2 shown]
	s_waitcnt lgkmcnt(1)
	v_mul_f32_e32 v27, v25, v47
	ds_read2_b64 v[17:20], v9 offset0:64 offset1:80
	v_fmac_f32_e32 v29, v31, v28
	v_mul_f32_e32 v28, v25, v49
	v_add_f32_e32 v12, v12, v26
	v_fma_f32 v27, v24, v46, -v27
	v_mul_f32_e32 v26, v24, v47
	v_add_f32_e32 v13, v13, v29
	v_mul_f32_e32 v29, v24, v49
	v_fma_f32 v24, v24, v48, -v28
	v_add_f32_e32 v3, v3, v27
	v_mul_f32_e32 v27, v33, v47
	v_add_f32_e32 v21, v21, v54
	v_fmac_f32_e32 v26, v25, v46
	v_fmac_f32_e32 v29, v25, v48
	v_add_f32_e32 v25, v22, v24
	v_fma_f32 v22, v32, v46, -v27
	v_mul_f32_e32 v24, v33, v49
	v_add_f32_e32 v26, v21, v26
	v_mul_f32_e32 v21, v32, v47
	v_add_f32_e32 v27, v30, v29
	v_add_f32_e32 v15, v15, v22
	v_fma_f32 v22, v32, v48, -v24
	s_waitcnt lgkmcnt(0)
	v_mul_f32_e32 v24, v35, v18
	v_fmac_f32_e32 v21, v33, v46
	v_mul_f32_e32 v28, v32, v49
	v_mul_f32_e32 v30, v34, v18
	;; [unrolled: 1-line block ×3, first 2 shown]
	v_fma_f32 v31, v34, v17, -v24
	v_add_f32_e32 v29, v23, v21
	v_add_f32_e32 v12, v12, v22
	ds_read2_b64 v[21:24], v9 offset0:96 offset1:112
	v_fmac_f32_e32 v30, v35, v17
	v_add_f32_e32 v3, v3, v31
	v_fma_f32 v31, v34, v19, -v32
	v_fmac_f32_e32 v28, v33, v48
	v_mul_f32_e32 v32, v50, v20
	v_add_f32_e32 v26, v26, v30
	v_mul_f32_e32 v30, v51, v18
	v_mul_f32_e32 v18, v50, v18
	v_add_f32_e32 v25, v25, v31
	v_mul_f32_e32 v31, v51, v20
	v_add_f32_e32 v13, v13, v28
	v_mul_f32_e32 v28, v34, v20
	v_fma_f32 v30, v50, v17, -v30
	v_fmac_f32_e32 v18, v51, v17
	v_fma_f32 v17, v50, v19, -v31
	v_fmac_f32_e32 v32, v51, v19
	v_fmac_f32_e32 v28, v35, v19
	v_add_f32_e32 v15, v15, v30
	v_add_f32_e32 v29, v29, v18
	;; [unrolled: 1-line block ×3, first 2 shown]
	ds_read2_b64 v[17:20], v9 offset0:128 offset1:144
	v_add_f32_e32 v33, v27, v28
	s_waitcnt lgkmcnt(1)
	v_mul_f32_e32 v27, v37, v22
	v_mul_f32_e32 v28, v36, v22
	;; [unrolled: 1-line block ×4, first 2 shown]
	v_add_f32_e32 v13, v13, v32
	v_fma_f32 v27, v36, v21, -v27
	v_fmac_f32_e32 v28, v37, v21
	v_fma_f32 v30, v36, v23, -v30
	v_fmac_f32_e32 v31, v37, v23
	v_mul_f32_e32 v32, v53, v24
	v_add_f32_e32 v3, v3, v27
	v_mul_f32_e32 v27, v53, v22
	v_mul_f32_e32 v22, v52, v22
	v_add_f32_e32 v34, v26, v28
	v_add_f32_e32 v35, v25, v30
	;; [unrolled: 1-line block ×3, first 2 shown]
	v_fma_f32 v30, v52, v21, -v27
	ds_read_b128 v[25:28], v10 offset:1056
	v_fmac_f32_e32 v22, v53, v21
	v_mul_f32_e32 v31, v52, v24
	v_fma_f32 v21, v52, v23, -v32
	s_waitcnt lgkmcnt(1)
	v_mul_f32_e32 v24, v39, v18
	v_add_f32_e32 v15, v15, v30
	v_add_f32_e32 v36, v29, v22
	v_fmac_f32_e32 v31, v53, v23
	v_add_f32_e32 v12, v12, v21
	v_fma_f32 v29, v38, v17, -v24
	ds_read2_b64 v[21:24], v9 offset0:160 offset1:176
	v_mul_f32_e32 v37, v38, v18
	v_mul_f32_e32 v30, v39, v20
	v_add_f32_e32 v13, v13, v31
	v_add_f32_e32 v3, v3, v29
	v_mul_f32_e32 v46, v38, v20
	v_fmac_f32_e32 v37, v39, v17
	v_fma_f32 v38, v38, v19, -v30
	ds_read_b128 v[29:32], v10 offset:1072
	s_waitcnt lgkmcnt(2)
	v_mul_f32_e32 v47, v26, v18
	v_mul_f32_e32 v18, v25, v18
	v_add_f32_e32 v34, v34, v37
	v_fmac_f32_e32 v46, v39, v19
	v_add_f32_e32 v35, v35, v38
	v_fma_f32 v37, v25, v17, -v47
	v_mul_f32_e32 v38, v26, v20
	v_fmac_f32_e32 v18, v26, v17
	v_mul_f32_e32 v39, v25, v20
	v_add_f32_e32 v33, v33, v46
	s_waitcnt lgkmcnt(1)
	v_mul_f32_e32 v20, v41, v22
	v_add_f32_e32 v15, v15, v37
	v_fma_f32 v17, v25, v19, -v38
	v_add_f32_e32 v25, v36, v18
	v_fmac_f32_e32 v39, v26, v19
	v_mul_f32_e32 v26, v40, v22
	v_fma_f32 v36, v40, v21, -v20
	v_mul_f32_e32 v37, v41, v24
	v_add_f32_e32 v12, v12, v17
	ds_read2_b64 v[17:20], v9 offset0:192 offset1:208
	v_fmac_f32_e32 v26, v41, v21
	v_add_f32_e32 v3, v3, v36
	v_mul_f32_e32 v36, v40, v24
	v_fma_f32 v37, v40, v23, -v37
	v_add_f32_e32 v13, v13, v39
	v_add_f32_e32 v26, v34, v26
	v_mul_f32_e32 v34, v28, v22
	v_mul_f32_e32 v22, v27, v22
	v_fmac_f32_e32 v36, v41, v23
	v_add_f32_e32 v35, v35, v37
	v_mul_f32_e32 v37, v28, v24
	v_fma_f32 v34, v27, v21, -v34
	v_fmac_f32_e32 v22, v28, v21
	v_add_f32_e32 v21, v33, v36
	v_mul_f32_e32 v33, v27, v24
	v_fma_f32 v24, v27, v23, -v37
	v_add_f32_e32 v15, v15, v34
	v_add_f32_e32 v27, v25, v22
	v_fmac_f32_e32 v33, v28, v23
	v_add_f32_e32 v12, v12, v24
	ds_read2_b64 v[22:25], v9 offset0:224 offset1:240
	s_waitcnt lgkmcnt(1)
	v_mul_f32_e32 v34, v43, v18
	v_mul_f32_e32 v28, v42, v18
	v_add_f32_e32 v13, v13, v33
	v_mul_f32_e32 v33, v43, v20
	v_mul_f32_e32 v36, v42, v20
	v_fma_f32 v34, v42, v17, -v34
	v_fmac_f32_e32 v28, v43, v17
	s_waitcnt lgkmcnt(0)
	v_fma_f32 v33, v42, v19, -v33
	v_fmac_f32_e32 v36, v43, v19
	v_add_f32_e32 v3, v3, v34
	v_mul_f32_e32 v34, v30, v18
	v_mul_f32_e32 v18, v29, v18
	v_add_f32_e32 v26, v26, v28
	v_add_f32_e32 v33, v35, v33
	;; [unrolled: 1-line block ×3, first 2 shown]
	v_fma_f32 v28, v29, v17, -v34
	v_mul_f32_e32 v34, v30, v20
	v_fmac_f32_e32 v18, v30, v17
	v_mul_f32_e32 v17, v29, v20
	v_mul_f32_e32 v21, v45, v23
	v_add_f32_e32 v15, v15, v28
	v_fma_f32 v20, v29, v19, -v34
	v_add_f32_e32 v27, v27, v18
	v_fmac_f32_e32 v17, v30, v19
	v_fma_f32 v18, v44, v22, -v21
	v_mul_f32_e32 v19, v45, v25
	v_mul_f32_e32 v28, v44, v23
	v_add_f32_e32 v12, v12, v20
	v_mul_f32_e32 v29, v44, v25
	v_add_f32_e32 v13, v13, v17
	v_add_f32_e32 v20, v3, v18
	v_fma_f32 v3, v44, v24, -v19
	v_mul_f32_e32 v17, v32, v23
	v_mul_f32_e32 v23, v31, v23
	v_mul_f32_e32 v19, v32, v25
	v_mul_f32_e32 v25, v31, v25
	v_fmac_f32_e32 v28, v45, v22
	v_fmac_f32_e32 v29, v45, v24
	v_add_f32_e32 v18, v33, v3
	v_fma_f32 v3, v31, v22, -v17
	v_fmac_f32_e32 v23, v32, v22
	v_fma_f32 v22, v31, v24, -v19
	v_fmac_f32_e32 v25, v32, v24
	v_add_f32_e32 v21, v26, v28
	v_add_f32_e32 v19, v35, v29
	;; [unrolled: 1-line block ×6, first 2 shown]
	s_barrier
	buffer_gl0_inv
	s_cbranch_vccz .LBB259_11
.LBB259_3:                              ; =>This Inner Loop Header: Depth=1
	v_add_co_u32 v22, s10, v11, s8
	v_add_co_ci_u32_e64 v23, null, 0, s9, s10
	v_cmp_le_i64_e32 vcc_lo, s[16:17], v[22:23]
	s_or_b32 s10, s1, vcc_lo
	s_and_saveexec_b32 s11, s10
	s_xor_b32 s10, exec_lo, s11
; %bb.4:                                ;   in Loop: Header=BB259_3 Depth=1
	v_mov_b32_e32 v3, v2
	ds_write_b64 v14, v[2:3]
; %bb.5:                                ;   in Loop: Header=BB259_3 Depth=1
	s_andn2_saveexec_b32 s10, s10
	s_cbranch_execz .LBB259_7
; %bb.6:                                ;   in Loop: Header=BB259_3 Depth=1
	flat_load_dwordx2 v[22:23], v[6:7]
	s_waitcnt vmcnt(0) lgkmcnt(0)
	ds_write_b64 v14, v[22:23]
.LBB259_7:                              ;   in Loop: Header=BB259_3 Depth=1
	s_or_b32 exec_lo, exec_lo, s10
	v_add_co_u32 v22, s10, v8, s8
	v_add_co_ci_u32_e64 v23, null, 0, s9, s10
	v_cmp_le_i64_e32 vcc_lo, s[16:17], v[22:23]
	s_or_b32 s10, vcc_lo, s0
	s_and_saveexec_b32 s11, s10
	s_xor_b32 s10, exec_lo, s11
; %bb.8:                                ;   in Loop: Header=BB259_3 Depth=1
	ds_write_b32 v16, v2
; %bb.9:                                ;   in Loop: Header=BB259_3 Depth=1
	s_or_saveexec_b32 s10, s10
	v_mov_b32_e32 v3, 0
	s_xor_b32 exec_lo, exec_lo, s10
	s_cbranch_execz .LBB259_2
; %bb.10:                               ;   in Loop: Header=BB259_3 Depth=1
	flat_load_dwordx2 v[22:23], v[4:5]
	s_waitcnt vmcnt(0) lgkmcnt(0)
	v_xor_b32_e32 v3, 0x80000000, v23
	ds_write_b32 v16, v22
	s_branch .LBB259_2
.LBB259_11:
	v_add_co_u32 v1, s4, s44, v1
	v_add_co_ci_u32_e64 v2, null, s45, 0, s4
	s_lshl_b64 s[0:1], s[30:31], 3
	s_waitcnt lgkmcnt(0)
	s_add_u32 s4, s2, s0
	s_addc_u32 s3, s3, s1
	s_or_b32 s1, s34, s35
	v_cmp_gt_i64_e64 s0, s[14:15], v[1:2]
	s_bitset0_b32 s1, 31
	s_cmp_lg_u32 s1, 0
	s_mov_b32 s1, -1
	s_cbranch_scc1 .LBB259_23
; %bb.12:
	s_and_saveexec_b32 s5, s0
	s_cbranch_execz .LBB259_22
; %bb.13:
	v_mul_lo_u32 v5, v2, s28
	v_mul_lo_u32 v6, v1, s29
	v_mad_u64_u32 v[3:4], null, v1, s28, 0
	v_add3_u32 v4, v4, v6, v5
	v_add_co_u32 v5, s1, s42, v0
	v_add_co_ci_u32_e64 v6, null, s43, 0, s1
	v_lshlrev_b64 v[7:8], 3, v[3:4]
	v_cmp_gt_i64_e32 vcc_lo, s[12:13], v[5:6]
	v_lshlrev_b64 v[3:4], 3, v[5:6]
	v_add_co_u32 v7, s1, s4, v7
	v_add_co_ci_u32_e64 v8, null, s3, v8, s1
	s_and_saveexec_b32 s2, vcc_lo
	s_cbranch_execz .LBB259_15
; %bb.14:
	v_mul_f32_e32 v9, s19, v21
	v_mul_f32_e32 v10, s18, v21
	v_add_co_u32 v22, s1, v7, v3
	v_add_co_ci_u32_e64 v23, null, v8, v4, s1
	v_fma_f32 v9, v20, s18, -v9
	v_fmac_f32_e32 v10, s19, v20
	flat_store_dwordx2 v[22:23], v[9:10]
.LBB259_15:
	s_or_b32 exec_lo, exec_lo, s2
	v_add_co_u32 v5, s1, v5, 16
	v_add_co_ci_u32_e64 v6, null, 0, v6, s1
	v_cmp_gt_i64_e64 s1, s[12:13], v[5:6]
	s_and_saveexec_b32 s6, s1
	s_cbranch_execz .LBB259_17
; %bb.16:
	v_mul_f32_e32 v5, s19, v19
	v_mul_f32_e32 v6, s18, v19
	v_add_co_u32 v9, s2, v7, v3
	v_add_co_ci_u32_e64 v10, null, v8, v4, s2
	v_fma_f32 v5, v18, s18, -v5
	v_fmac_f32_e32 v6, s19, v18
	flat_store_dwordx2 v[9:10], v[5:6] offset:128
.LBB259_17:
	s_or_b32 exec_lo, exec_lo, s6
	v_add_co_u32 v5, s2, v1, 16
	v_add_co_ci_u32_e64 v6, null, 0, v2, s2
	v_cmp_gt_i64_e64 s2, s[14:15], v[5:6]
	s_and_b32 exec_lo, exec_lo, s2
	s_cbranch_execz .LBB259_22
; %bb.18:
	s_lshl_b64 s[6:7], s[28:29], 7
	v_add_co_u32 v5, s2, v7, s6
	v_add_co_ci_u32_e64 v6, null, s7, v8, s2
	v_add_co_u32 v3, s2, v5, v3
	v_add_co_ci_u32_e64 v4, null, v6, v4, s2
	s_and_saveexec_b32 s2, vcc_lo
	s_cbranch_execz .LBB259_20
; %bb.19:
	v_mul_f32_e32 v5, s19, v17
	v_mul_f32_e32 v6, s18, v17
	v_fma_f32 v5, v15, s18, -v5
	v_fmac_f32_e32 v6, s19, v15
	flat_store_dwordx2 v[3:4], v[5:6]
.LBB259_20:
	s_or_b32 exec_lo, exec_lo, s2
	s_and_b32 exec_lo, exec_lo, s1
	s_cbranch_execz .LBB259_22
; %bb.21:
	v_mul_f32_e32 v5, s19, v13
	v_mul_f32_e32 v6, s18, v13
	v_fma_f32 v5, v12, s18, -v5
	v_fmac_f32_e32 v6, s19, v12
	flat_store_dwordx2 v[3:4], v[5:6] offset:128
.LBB259_22:
	s_or_b32 exec_lo, exec_lo, s5
	s_mov_b32 s1, 0
.LBB259_23:
	s_andn2_b32 vcc_lo, exec_lo, s1
	s_cbranch_vccnz .LBB259_34
; %bb.24:
	s_and_saveexec_b32 s1, s0
	s_cbranch_execz .LBB259_34
; %bb.25:
	v_mul_lo_u32 v5, v2, s38
	v_mul_lo_u32 v6, v1, s39
	v_mad_u64_u32 v[3:4], null, v1, s38, 0
	v_mul_lo_u32 v9, v2, s28
	v_mul_lo_u32 v10, v1, s29
	v_mad_u64_u32 v[7:8], null, v1, s28, 0
	s_lshl_b64 s[0:1], s[40:41], 3
	v_add3_u32 v4, v4, v6, v5
	v_add_co_u32 v5, s2, s42, v0
	v_add_co_ci_u32_e64 v6, null, s43, 0, s2
	v_add3_u32 v8, v8, v10, v9
	v_lshlrev_b64 v[3:4], 3, v[3:4]
	s_add_u32 s0, s36, s0
	s_addc_u32 s1, s37, s1
	v_cmp_gt_i64_e32 vcc_lo, s[12:13], v[5:6]
	v_lshlrev_b64 v[8:9], 3, v[7:8]
	v_add_co_u32 v0, s0, s0, v3
	v_add_co_ci_u32_e64 v7, null, s1, v4, s0
	v_add_co_u32 v8, s0, s4, v8
	v_lshlrev_b64 v[3:4], 3, v[5:6]
	v_add_co_ci_u32_e64 v9, null, s3, v9, s0
	s_and_saveexec_b32 s1, vcc_lo
	s_cbranch_execz .LBB259_27
; %bb.26:
	v_add_co_u32 v10, s0, v0, v3
	v_add_co_ci_u32_e64 v11, null, v7, v4, s0
	v_mul_f32_e32 v14, s19, v21
	v_mul_f32_e32 v16, s18, v21
	flat_load_dwordx2 v[10:11], v[10:11]
	v_fma_f32 v14, v20, s18, -v14
	v_fmac_f32_e32 v16, s19, v20
	s_waitcnt vmcnt(0) lgkmcnt(0)
	v_mul_f32_e32 v21, s35, v11
	v_mul_f32_e32 v11, s34, v11
	v_fma_f32 v20, v10, s34, -v21
	v_fmac_f32_e32 v11, s35, v10
	v_add_f32_e32 v10, v14, v20
	v_add_co_u32 v20, s0, v8, v3
	v_add_f32_e32 v11, v16, v11
	v_add_co_ci_u32_e64 v21, null, v9, v4, s0
	flat_store_dwordx2 v[20:21], v[10:11]
.LBB259_27:
	s_or_b32 exec_lo, exec_lo, s1
	v_add_co_u32 v5, s0, v5, 16
	v_add_co_ci_u32_e64 v6, null, 0, v6, s0
	v_cmp_gt_i64_e64 s0, s[12:13], v[5:6]
	s_and_saveexec_b32 s2, s0
	s_cbranch_execz .LBB259_29
; %bb.28:
	v_add_co_u32 v5, s1, v0, v3
	v_add_co_ci_u32_e64 v6, null, v7, v4, s1
	v_mul_f32_e32 v10, s19, v19
	v_mul_f32_e32 v11, s18, v19
	flat_load_dwordx2 v[5:6], v[5:6] offset:128
	v_fma_f32 v10, v18, s18, -v10
	v_fmac_f32_e32 v11, s19, v18
	s_waitcnt vmcnt(0) lgkmcnt(0)
	v_mul_f32_e32 v14, s35, v6
	v_mul_f32_e32 v6, s34, v6
	v_fma_f32 v14, v5, s34, -v14
	v_fmac_f32_e32 v6, s35, v5
	v_add_f32_e32 v5, v10, v14
	v_add_co_u32 v10, s1, v8, v3
	v_add_f32_e32 v6, v11, v6
	v_add_co_ci_u32_e64 v11, null, v9, v4, s1
	flat_store_dwordx2 v[10:11], v[5:6] offset:128
.LBB259_29:
	s_or_b32 exec_lo, exec_lo, s2
	v_add_co_u32 v1, s1, v1, 16
	v_add_co_ci_u32_e64 v2, null, 0, v2, s1
	v_cmp_gt_i64_e64 s1, s[14:15], v[1:2]
	s_and_b32 exec_lo, exec_lo, s1
	s_cbranch_execz .LBB259_34
; %bb.30:
	s_lshl_b64 s[2:3], s[38:39], 7
	v_add_co_u32 v0, s1, v0, s2
	v_add_co_ci_u32_e64 v1, null, s3, v7, s1
	s_lshl_b64 s[2:3], s[28:29], 7
	v_add_co_u32 v2, s1, v8, s2
	v_add_co_ci_u32_e64 v7, null, s3, v9, s1
	v_add_co_u32 v5, s1, v0, v3
	v_add_co_ci_u32_e64 v6, null, v1, v4, s1
	;; [unrolled: 2-line block ×3, first 2 shown]
	s_and_saveexec_b32 s1, vcc_lo
	s_cbranch_execz .LBB259_32
; %bb.31:
	flat_load_dwordx2 v[2:3], v[5:6]
	v_mul_f32_e32 v4, s19, v17
	v_mul_f32_e32 v7, s18, v17
	v_fma_f32 v4, v15, s18, -v4
	v_fmac_f32_e32 v7, s19, v15
	s_waitcnt vmcnt(0) lgkmcnt(0)
	v_mul_f32_e32 v8, s35, v3
	v_mul_f32_e32 v3, s34, v3
	v_fma_f32 v8, v2, s34, -v8
	v_fmac_f32_e32 v3, s35, v2
	v_add_f32_e32 v2, v4, v8
	v_add_f32_e32 v3, v7, v3
	flat_store_dwordx2 v[0:1], v[2:3]
.LBB259_32:
	s_or_b32 exec_lo, exec_lo, s1
	s_and_b32 exec_lo, exec_lo, s0
	s_cbranch_execz .LBB259_34
; %bb.33:
	flat_load_dwordx2 v[2:3], v[5:6] offset:128
	v_mul_f32_e32 v4, s19, v13
	v_mul_f32_e32 v5, s18, v13
	v_fma_f32 v4, v12, s18, -v4
	v_fmac_f32_e32 v5, s19, v12
	s_waitcnt vmcnt(0) lgkmcnt(0)
	v_mul_f32_e32 v6, s35, v3
	v_mul_f32_e32 v3, s34, v3
	v_fma_f32 v6, v2, s34, -v6
	v_fmac_f32_e32 v3, s35, v2
	v_add_f32_e32 v2, v4, v6
	v_add_f32_e32 v3, v5, v3
	flat_store_dwordx2 v[0:1], v[2:3] offset:128
.LBB259_34:
	s_endpgm
	.section	.rodata,"a",@progbits
	.p2align	6, 0x0
	.amdhsa_kernel _ZN12_GLOBAL__N_135rocblas_gemm_batched_general_kernelI19rocblas_complex_numIfELi16ELi16ELi32ELi32ELi8ELi32ELi8ELi8ELi32ELc78ELc67EKPKS2_S5_KPS2_EEvlllT_PT11_llSA_llS8_PT12_llPT13_lli
		.amdhsa_group_segment_fixed_size 4096
		.amdhsa_private_segment_fixed_size 0
		.amdhsa_kernarg_size 140
		.amdhsa_user_sgpr_count 6
		.amdhsa_user_sgpr_private_segment_buffer 1
		.amdhsa_user_sgpr_dispatch_ptr 0
		.amdhsa_user_sgpr_queue_ptr 0
		.amdhsa_user_sgpr_kernarg_segment_ptr 1
		.amdhsa_user_sgpr_dispatch_id 0
		.amdhsa_user_sgpr_flat_scratch_init 0
		.amdhsa_user_sgpr_private_segment_size 0
		.amdhsa_wavefront_size32 1
		.amdhsa_uses_dynamic_stack 0
		.amdhsa_system_sgpr_private_segment_wavefront_offset 0
		.amdhsa_system_sgpr_workgroup_id_x 1
		.amdhsa_system_sgpr_workgroup_id_y 1
		.amdhsa_system_sgpr_workgroup_id_z 1
		.amdhsa_system_sgpr_workgroup_info 0
		.amdhsa_system_vgpr_workitem_id 1
		.amdhsa_next_free_vgpr 59
		.amdhsa_next_free_sgpr 48
		.amdhsa_reserve_vcc 1
		.amdhsa_reserve_flat_scratch 0
		.amdhsa_float_round_mode_32 0
		.amdhsa_float_round_mode_16_64 0
		.amdhsa_float_denorm_mode_32 3
		.amdhsa_float_denorm_mode_16_64 3
		.amdhsa_dx10_clamp 1
		.amdhsa_ieee_mode 1
		.amdhsa_fp16_overflow 0
		.amdhsa_workgroup_processor_mode 1
		.amdhsa_memory_ordered 1
		.amdhsa_forward_progress 1
		.amdhsa_shared_vgpr_count 0
		.amdhsa_exception_fp_ieee_invalid_op 0
		.amdhsa_exception_fp_denorm_src 0
		.amdhsa_exception_fp_ieee_div_zero 0
		.amdhsa_exception_fp_ieee_overflow 0
		.amdhsa_exception_fp_ieee_underflow 0
		.amdhsa_exception_fp_ieee_inexact 0
		.amdhsa_exception_int_div_zero 0
	.end_amdhsa_kernel
	.section	.text._ZN12_GLOBAL__N_135rocblas_gemm_batched_general_kernelI19rocblas_complex_numIfELi16ELi16ELi32ELi32ELi8ELi32ELi8ELi8ELi32ELc78ELc67EKPKS2_S5_KPS2_EEvlllT_PT11_llSA_llS8_PT12_llPT13_lli,"axG",@progbits,_ZN12_GLOBAL__N_135rocblas_gemm_batched_general_kernelI19rocblas_complex_numIfELi16ELi16ELi32ELi32ELi8ELi32ELi8ELi8ELi32ELc78ELc67EKPKS2_S5_KPS2_EEvlllT_PT11_llSA_llS8_PT12_llPT13_lli,comdat
.Lfunc_end259:
	.size	_ZN12_GLOBAL__N_135rocblas_gemm_batched_general_kernelI19rocblas_complex_numIfELi16ELi16ELi32ELi32ELi8ELi32ELi8ELi8ELi32ELc78ELc67EKPKS2_S5_KPS2_EEvlllT_PT11_llSA_llS8_PT12_llPT13_lli, .Lfunc_end259-_ZN12_GLOBAL__N_135rocblas_gemm_batched_general_kernelI19rocblas_complex_numIfELi16ELi16ELi32ELi32ELi8ELi32ELi8ELi8ELi32ELc78ELc67EKPKS2_S5_KPS2_EEvlllT_PT11_llSA_llS8_PT12_llPT13_lli
                                        ; -- End function
	.set _ZN12_GLOBAL__N_135rocblas_gemm_batched_general_kernelI19rocblas_complex_numIfELi16ELi16ELi32ELi32ELi8ELi32ELi8ELi8ELi32ELc78ELc67EKPKS2_S5_KPS2_EEvlllT_PT11_llSA_llS8_PT12_llPT13_lli.num_vgpr, 59
	.set _ZN12_GLOBAL__N_135rocblas_gemm_batched_general_kernelI19rocblas_complex_numIfELi16ELi16ELi32ELi32ELi8ELi32ELi8ELi8ELi32ELc78ELc67EKPKS2_S5_KPS2_EEvlllT_PT11_llSA_llS8_PT12_llPT13_lli.num_agpr, 0
	.set _ZN12_GLOBAL__N_135rocblas_gemm_batched_general_kernelI19rocblas_complex_numIfELi16ELi16ELi32ELi32ELi8ELi32ELi8ELi8ELi32ELc78ELc67EKPKS2_S5_KPS2_EEvlllT_PT11_llSA_llS8_PT12_llPT13_lli.numbered_sgpr, 48
	.set _ZN12_GLOBAL__N_135rocblas_gemm_batched_general_kernelI19rocblas_complex_numIfELi16ELi16ELi32ELi32ELi8ELi32ELi8ELi8ELi32ELc78ELc67EKPKS2_S5_KPS2_EEvlllT_PT11_llSA_llS8_PT12_llPT13_lli.num_named_barrier, 0
	.set _ZN12_GLOBAL__N_135rocblas_gemm_batched_general_kernelI19rocblas_complex_numIfELi16ELi16ELi32ELi32ELi8ELi32ELi8ELi8ELi32ELc78ELc67EKPKS2_S5_KPS2_EEvlllT_PT11_llSA_llS8_PT12_llPT13_lli.private_seg_size, 0
	.set _ZN12_GLOBAL__N_135rocblas_gemm_batched_general_kernelI19rocblas_complex_numIfELi16ELi16ELi32ELi32ELi8ELi32ELi8ELi8ELi32ELc78ELc67EKPKS2_S5_KPS2_EEvlllT_PT11_llSA_llS8_PT12_llPT13_lli.uses_vcc, 1
	.set _ZN12_GLOBAL__N_135rocblas_gemm_batched_general_kernelI19rocblas_complex_numIfELi16ELi16ELi32ELi32ELi8ELi32ELi8ELi8ELi32ELc78ELc67EKPKS2_S5_KPS2_EEvlllT_PT11_llSA_llS8_PT12_llPT13_lli.uses_flat_scratch, 0
	.set _ZN12_GLOBAL__N_135rocblas_gemm_batched_general_kernelI19rocblas_complex_numIfELi16ELi16ELi32ELi32ELi8ELi32ELi8ELi8ELi32ELc78ELc67EKPKS2_S5_KPS2_EEvlllT_PT11_llSA_llS8_PT12_llPT13_lli.has_dyn_sized_stack, 0
	.set _ZN12_GLOBAL__N_135rocblas_gemm_batched_general_kernelI19rocblas_complex_numIfELi16ELi16ELi32ELi32ELi8ELi32ELi8ELi8ELi32ELc78ELc67EKPKS2_S5_KPS2_EEvlllT_PT11_llSA_llS8_PT12_llPT13_lli.has_recursion, 0
	.set _ZN12_GLOBAL__N_135rocblas_gemm_batched_general_kernelI19rocblas_complex_numIfELi16ELi16ELi32ELi32ELi8ELi32ELi8ELi8ELi32ELc78ELc67EKPKS2_S5_KPS2_EEvlllT_PT11_llSA_llS8_PT12_llPT13_lli.has_indirect_call, 0
	.section	.AMDGPU.csdata,"",@progbits
; Kernel info:
; codeLenInByte = 3008
; TotalNumSgprs: 50
; NumVgprs: 59
; ScratchSize: 0
; MemoryBound: 1
; FloatMode: 240
; IeeeMode: 1
; LDSByteSize: 4096 bytes/workgroup (compile time only)
; SGPRBlocks: 0
; VGPRBlocks: 7
; NumSGPRsForWavesPerEU: 50
; NumVGPRsForWavesPerEU: 59
; Occupancy: 16
; WaveLimiterHint : 1
; COMPUTE_PGM_RSRC2:SCRATCH_EN: 0
; COMPUTE_PGM_RSRC2:USER_SGPR: 6
; COMPUTE_PGM_RSRC2:TRAP_HANDLER: 0
; COMPUTE_PGM_RSRC2:TGID_X_EN: 1
; COMPUTE_PGM_RSRC2:TGID_Y_EN: 1
; COMPUTE_PGM_RSRC2:TGID_Z_EN: 1
; COMPUTE_PGM_RSRC2:TIDIG_COMP_CNT: 1
	.section	.text._ZN12_GLOBAL__N_135rocblas_gemm_batched_general_kernelI19rocblas_complex_numIfELi16ELi16ELi32ELi32ELi8ELi32ELi8ELi8ELi32ELc84ELc67EKPKS2_S5_KPS2_EEvlllT_PT11_llSA_llS8_PT12_llPT13_lli,"axG",@progbits,_ZN12_GLOBAL__N_135rocblas_gemm_batched_general_kernelI19rocblas_complex_numIfELi16ELi16ELi32ELi32ELi8ELi32ELi8ELi8ELi32ELc84ELc67EKPKS2_S5_KPS2_EEvlllT_PT11_llSA_llS8_PT12_llPT13_lli,comdat
	.globl	_ZN12_GLOBAL__N_135rocblas_gemm_batched_general_kernelI19rocblas_complex_numIfELi16ELi16ELi32ELi32ELi8ELi32ELi8ELi8ELi32ELc84ELc67EKPKS2_S5_KPS2_EEvlllT_PT11_llSA_llS8_PT12_llPT13_lli ; -- Begin function _ZN12_GLOBAL__N_135rocblas_gemm_batched_general_kernelI19rocblas_complex_numIfELi16ELi16ELi32ELi32ELi8ELi32ELi8ELi8ELi32ELc84ELc67EKPKS2_S5_KPS2_EEvlllT_PT11_llSA_llS8_PT12_llPT13_lli
	.p2align	8
	.type	_ZN12_GLOBAL__N_135rocblas_gemm_batched_general_kernelI19rocblas_complex_numIfELi16ELi16ELi32ELi32ELi8ELi32ELi8ELi8ELi32ELc84ELc67EKPKS2_S5_KPS2_EEvlllT_PT11_llSA_llS8_PT12_llPT13_lli,@function
_ZN12_GLOBAL__N_135rocblas_gemm_batched_general_kernelI19rocblas_complex_numIfELi16ELi16ELi32ELi32ELi8ELi32ELi8ELi8ELi32ELc84ELc67EKPKS2_S5_KPS2_EEvlllT_PT11_llSA_llS8_PT12_llPT13_lli: ; @_ZN12_GLOBAL__N_135rocblas_gemm_batched_general_kernelI19rocblas_complex_numIfELi16ELi16ELi32ELi32ELi8ELi32ELi8ELi8ELi32ELc84ELc67EKPKS2_S5_KPS2_EEvlllT_PT11_llSA_llS8_PT12_llPT13_lli
; %bb.0:
	s_clause 0x1
	s_load_dwordx8 s[36:43], s[4:5], 0x58
	s_load_dwordx16 s[12:27], s[4:5], 0x0
	s_mov_b32 s9, 0
	s_load_dwordx4 s[28:31], s[4:5], 0x78
	s_lshl_b64 s[44:45], s[8:9], 3
	s_load_dwordx2 s[8:9], s[4:5], 0x50
	s_mov_b32 s0, s7
	v_mov_b32_e32 v20, 0
	v_mov_b32_e32 v21, 0
	;; [unrolled: 1-line block ×8, first 2 shown]
	s_waitcnt lgkmcnt(0)
	s_add_u32 s2, s36, s44
	s_addc_u32 s3, s37, s45
	s_add_u32 s34, s42, s44
	s_addc_u32 s35, s43, s45
	s_load_dwordx2 s[10:11], s[2:3], 0x0
	s_load_dwordx2 s[2:3], s[34:35], 0x0
	v_cmp_lt_i64_e64 s33, s[16:17], 1
	s_ashr_i32 s7, s6, 31
	s_ashr_i32 s1, s0, 31
	s_lshl_b64 s[34:35], s[6:7], 5
	s_lshl_b64 s[36:37], s[0:1], 5
	s_and_b32 vcc_lo, exec_lo, s33
	s_cbranch_vccnz .LBB260_11
; %bb.1:
	s_load_dwordx4 s[4:7], s[4:5], 0x40
	v_and_b32_e32 v8, 7, v0
	v_lshl_add_u32 v3, v1, 4, v0
	s_add_u32 s26, s26, s44
	s_addc_u32 s27, s27, s45
	s_add_u32 s20, s20, s44
	s_addc_u32 s21, s21, s45
	v_lshrrev_b32_e32 v14, 3, v3
	v_and_b32_e32 v15, 31, v3
	s_lshl_b64 s[42:43], s[0:1], 8
	v_mov_b32_e32 v4, s35
	v_lshrrev_b32_e32 v13, 5, v3
	v_add_co_u32 v11, s0, v14, s36
	v_add_co_ci_u32_e64 v12, null, 0, s37, s0
	v_and_b32_e32 v17, 0x1ff8, v3
	v_or_b32_e32 v3, s34, v15
	s_load_dwordx2 s[26:27], s[26:27], 0x0
	s_load_dwordx2 s[20:21], s[20:21], 0x0
	s_waitcnt lgkmcnt(0)
	v_mad_u64_u32 v[5:6], null, s4, v8, 0
	v_cmp_gt_i64_e32 vcc_lo, s[12:13], v[3:4]
	s_lshl_b64 s[6:7], s[6:7], 3
	v_lshlrev_b32_e32 v16, 3, v8
	s_add_u32 s1, s6, s42
	s_addc_u32 s6, s7, s43
	v_mov_b32_e32 v2, 0
	v_mad_u64_u32 v[6:7], null, s5, v8, v[6:7]
	v_add_co_u32 v7, s0, s34, v15
	v_add_co_ci_u32_e64 v18, null, s35, 0, s0
	v_cmp_gt_i64_e64 s0, s[14:15], v[11:12]
	v_mul_lo_u32 v19, s23, v7
	v_mad_u64_u32 v[3:4], null, s22, v7, 0
	v_mul_lo_u32 v18, s22, v18
	v_lshlrev_b64 v[5:6], 3, v[5:6]
	v_lshlrev_b32_e32 v11, 3, v13
	v_lshlrev_b32_e32 v15, 3, v15
	v_lshl_or_b32 v14, v14, 6, v16
	v_lshlrev_b32_e32 v9, 3, v0
	v_lshl_add_u32 v10, v1, 6, 0x800
	v_add_co_u32 v5, s1, s1, v5
	v_add3_u32 v4, v4, v18, v19
	v_add_co_ci_u32_e64 v6, null, s6, v6, s1
	v_add_co_u32 v5, s1, v5, v17
	v_lshlrev_b64 v[3:4], 3, v[3:4]
	s_lshl_b64 s[6:7], s[24:25], 3
	v_add_co_ci_u32_e64 v6, null, 0, v6, s1
	v_lshl_or_b32 v15, v13, 8, v15
	v_add_nc_u32_e32 v16, 0x800, v14
	v_add_co_u32 v3, s1, v3, s6
	v_add_co_ci_u32_e64 v7, null, s7, v4, s1
	v_add_co_u32 v4, s1, s26, v5
	v_add_co_ci_u32_e64 v5, null, s27, v6, s1
	;; [unrolled: 2-line block ×3, first 2 shown]
	v_mov_b32_e32 v12, 0
	v_add_co_u32 v6, s1, s20, v3
	v_add_co_ci_u32_e64 v7, null, s21, v7, s1
	v_mov_b32_e32 v11, 0
	v_mov_b32_e32 v17, 0
	;; [unrolled: 1-line block ×7, first 2 shown]
	s_lshl_b64 s[4:5], s[4:5], 6
	s_mov_b64 s[6:7], 0
	s_xor_b32 s1, vcc_lo, -1
	s_xor_b32 s0, s0, -1
	s_branch .LBB260_3
.LBB260_2:                              ;   in Loop: Header=BB260_3 Depth=1
	s_or_b32 exec_lo, exec_lo, s20
	ds_write_b32 v16, v3 offset:4
	s_waitcnt lgkmcnt(0)
	s_barrier
	buffer_gl0_inv
	ds_read_b128 v[22:25], v10
	ds_read2_b64 v[26:29], v9 offset1:16
	ds_read_b128 v[30:33], v10 offset:1024
	ds_read_b128 v[34:37], v10 offset:16
	;; [unrolled: 1-line block ×4, first 2 shown]
	ds_read2_b64 v[46:49], v9 offset0:32 offset1:48
	ds_read_b128 v[50:53], v10 offset:1040
	s_add_u32 s6, s6, 8
	s_addc_u32 s7, s7, 0
	v_add_co_u32 v4, vcc_lo, v4, s4
	v_cmp_lt_i64_e64 s20, s[6:7], s[16:17]
	v_add_co_ci_u32_e64 v5, null, s5, v5, vcc_lo
	v_add_co_u32 v6, vcc_lo, v6, 64
	v_add_co_ci_u32_e64 v7, null, 0, v7, vcc_lo
	s_and_b32 vcc_lo, exec_lo, s20
	s_waitcnt lgkmcnt(6)
	v_mul_f32_e32 v3, v23, v27
	v_mul_f32_e32 v54, v22, v27
	;; [unrolled: 1-line block ×4, first 2 shown]
	s_waitcnt lgkmcnt(5)
	v_mul_f32_e32 v57, v31, v27
	v_mul_f32_e32 v27, v30, v27
	;; [unrolled: 1-line block ×3, first 2 shown]
	v_fma_f32 v3, v22, v26, -v3
	v_fmac_f32_e32 v54, v23, v26
	v_fma_f32 v22, v22, v28, -v55
	v_fmac_f32_e32 v56, v23, v28
	;; [unrolled: 2-line block ×3, first 2 shown]
	v_mul_f32_e32 v29, v30, v29
	v_fma_f32 v26, v30, v28, -v58
	v_add_f32_e32 v3, v20, v3
	v_add_f32_e32 v22, v18, v22
	;; [unrolled: 1-line block ×5, first 2 shown]
	s_waitcnt lgkmcnt(1)
	v_mul_f32_e32 v27, v25, v47
	ds_read2_b64 v[17:20], v9 offset0:64 offset1:80
	v_fmac_f32_e32 v29, v31, v28
	v_mul_f32_e32 v28, v25, v49
	v_add_f32_e32 v11, v11, v26
	v_fma_f32 v27, v24, v46, -v27
	v_mul_f32_e32 v26, v24, v47
	v_add_f32_e32 v12, v12, v29
	v_mul_f32_e32 v29, v24, v49
	v_fma_f32 v24, v24, v48, -v28
	v_add_f32_e32 v3, v3, v27
	v_mul_f32_e32 v27, v33, v47
	v_add_f32_e32 v21, v21, v54
	v_fmac_f32_e32 v26, v25, v46
	v_fmac_f32_e32 v29, v25, v48
	v_add_f32_e32 v25, v22, v24
	v_fma_f32 v22, v32, v46, -v27
	v_mul_f32_e32 v24, v33, v49
	v_add_f32_e32 v26, v21, v26
	v_mul_f32_e32 v21, v32, v47
	v_add_f32_e32 v27, v30, v29
	v_add_f32_e32 v14, v14, v22
	v_fma_f32 v22, v32, v48, -v24
	s_waitcnt lgkmcnt(0)
	v_mul_f32_e32 v24, v35, v18
	v_fmac_f32_e32 v21, v33, v46
	v_mul_f32_e32 v28, v32, v49
	v_mul_f32_e32 v30, v34, v18
	;; [unrolled: 1-line block ×3, first 2 shown]
	v_fma_f32 v31, v34, v17, -v24
	v_add_f32_e32 v29, v23, v21
	v_add_f32_e32 v11, v11, v22
	ds_read2_b64 v[21:24], v9 offset0:96 offset1:112
	v_fmac_f32_e32 v30, v35, v17
	v_add_f32_e32 v3, v3, v31
	v_fma_f32 v31, v34, v19, -v32
	v_fmac_f32_e32 v28, v33, v48
	v_mul_f32_e32 v32, v50, v20
	v_add_f32_e32 v26, v26, v30
	v_mul_f32_e32 v30, v51, v18
	v_mul_f32_e32 v18, v50, v18
	v_add_f32_e32 v25, v25, v31
	v_mul_f32_e32 v31, v51, v20
	v_add_f32_e32 v12, v12, v28
	v_mul_f32_e32 v28, v34, v20
	v_fma_f32 v30, v50, v17, -v30
	v_fmac_f32_e32 v18, v51, v17
	v_fma_f32 v17, v50, v19, -v31
	v_fmac_f32_e32 v32, v51, v19
	v_fmac_f32_e32 v28, v35, v19
	v_add_f32_e32 v14, v14, v30
	v_add_f32_e32 v29, v29, v18
	;; [unrolled: 1-line block ×3, first 2 shown]
	ds_read2_b64 v[17:20], v9 offset0:128 offset1:144
	v_add_f32_e32 v33, v27, v28
	s_waitcnt lgkmcnt(1)
	v_mul_f32_e32 v27, v37, v22
	v_mul_f32_e32 v28, v36, v22
	;; [unrolled: 1-line block ×4, first 2 shown]
	v_add_f32_e32 v12, v12, v32
	v_fma_f32 v27, v36, v21, -v27
	v_fmac_f32_e32 v28, v37, v21
	v_fma_f32 v30, v36, v23, -v30
	v_fmac_f32_e32 v31, v37, v23
	v_mul_f32_e32 v32, v53, v24
	v_add_f32_e32 v3, v3, v27
	v_mul_f32_e32 v27, v53, v22
	v_mul_f32_e32 v22, v52, v22
	v_add_f32_e32 v34, v26, v28
	v_add_f32_e32 v35, v25, v30
	;; [unrolled: 1-line block ×3, first 2 shown]
	v_fma_f32 v30, v52, v21, -v27
	ds_read_b128 v[25:28], v10 offset:1056
	v_fmac_f32_e32 v22, v53, v21
	v_mul_f32_e32 v31, v52, v24
	v_fma_f32 v21, v52, v23, -v32
	s_waitcnt lgkmcnt(1)
	v_mul_f32_e32 v24, v39, v18
	v_add_f32_e32 v14, v14, v30
	v_add_f32_e32 v36, v29, v22
	v_fmac_f32_e32 v31, v53, v23
	v_add_f32_e32 v11, v11, v21
	v_fma_f32 v29, v38, v17, -v24
	ds_read2_b64 v[21:24], v9 offset0:160 offset1:176
	v_mul_f32_e32 v37, v38, v18
	v_mul_f32_e32 v30, v39, v20
	v_add_f32_e32 v12, v12, v31
	v_add_f32_e32 v3, v3, v29
	v_mul_f32_e32 v46, v38, v20
	v_fmac_f32_e32 v37, v39, v17
	v_fma_f32 v38, v38, v19, -v30
	ds_read_b128 v[29:32], v10 offset:1072
	s_waitcnt lgkmcnt(2)
	v_mul_f32_e32 v47, v26, v18
	v_mul_f32_e32 v18, v25, v18
	v_add_f32_e32 v34, v34, v37
	v_fmac_f32_e32 v46, v39, v19
	v_add_f32_e32 v35, v35, v38
	v_fma_f32 v37, v25, v17, -v47
	v_mul_f32_e32 v38, v26, v20
	v_fmac_f32_e32 v18, v26, v17
	v_mul_f32_e32 v39, v25, v20
	v_add_f32_e32 v33, v33, v46
	s_waitcnt lgkmcnt(1)
	v_mul_f32_e32 v20, v41, v22
	v_add_f32_e32 v14, v14, v37
	v_fma_f32 v17, v25, v19, -v38
	v_add_f32_e32 v25, v36, v18
	v_fmac_f32_e32 v39, v26, v19
	v_mul_f32_e32 v26, v40, v22
	v_fma_f32 v36, v40, v21, -v20
	v_mul_f32_e32 v37, v41, v24
	v_add_f32_e32 v11, v11, v17
	ds_read2_b64 v[17:20], v9 offset0:192 offset1:208
	v_fmac_f32_e32 v26, v41, v21
	v_add_f32_e32 v3, v3, v36
	v_mul_f32_e32 v36, v40, v24
	v_fma_f32 v37, v40, v23, -v37
	v_add_f32_e32 v12, v12, v39
	v_add_f32_e32 v26, v34, v26
	v_mul_f32_e32 v34, v28, v22
	v_mul_f32_e32 v22, v27, v22
	v_fmac_f32_e32 v36, v41, v23
	v_add_f32_e32 v35, v35, v37
	v_mul_f32_e32 v37, v28, v24
	v_fma_f32 v34, v27, v21, -v34
	v_fmac_f32_e32 v22, v28, v21
	v_add_f32_e32 v21, v33, v36
	v_mul_f32_e32 v33, v27, v24
	v_fma_f32 v24, v27, v23, -v37
	v_add_f32_e32 v14, v14, v34
	v_add_f32_e32 v27, v25, v22
	v_fmac_f32_e32 v33, v28, v23
	v_add_f32_e32 v11, v11, v24
	ds_read2_b64 v[22:25], v9 offset0:224 offset1:240
	s_waitcnt lgkmcnt(1)
	v_mul_f32_e32 v34, v43, v18
	v_mul_f32_e32 v28, v42, v18
	v_add_f32_e32 v12, v12, v33
	v_mul_f32_e32 v33, v43, v20
	v_mul_f32_e32 v36, v42, v20
	v_fma_f32 v34, v42, v17, -v34
	v_fmac_f32_e32 v28, v43, v17
	s_waitcnt lgkmcnt(0)
	v_fma_f32 v33, v42, v19, -v33
	v_fmac_f32_e32 v36, v43, v19
	v_add_f32_e32 v3, v3, v34
	v_mul_f32_e32 v34, v30, v18
	v_mul_f32_e32 v18, v29, v18
	v_add_f32_e32 v26, v26, v28
	v_add_f32_e32 v33, v35, v33
	;; [unrolled: 1-line block ×3, first 2 shown]
	v_fma_f32 v28, v29, v17, -v34
	v_mul_f32_e32 v34, v30, v20
	v_fmac_f32_e32 v18, v30, v17
	v_mul_f32_e32 v17, v29, v20
	v_mul_f32_e32 v21, v45, v23
	v_add_f32_e32 v14, v14, v28
	v_fma_f32 v20, v29, v19, -v34
	v_add_f32_e32 v27, v27, v18
	v_fmac_f32_e32 v17, v30, v19
	v_fma_f32 v18, v44, v22, -v21
	v_mul_f32_e32 v19, v45, v25
	v_mul_f32_e32 v28, v44, v23
	v_add_f32_e32 v11, v11, v20
	v_mul_f32_e32 v29, v44, v25
	v_add_f32_e32 v12, v12, v17
	v_add_f32_e32 v20, v3, v18
	v_fma_f32 v3, v44, v24, -v19
	v_mul_f32_e32 v17, v32, v23
	v_mul_f32_e32 v23, v31, v23
	;; [unrolled: 1-line block ×4, first 2 shown]
	v_fmac_f32_e32 v28, v45, v22
	v_fmac_f32_e32 v29, v45, v24
	v_add_f32_e32 v18, v33, v3
	v_fma_f32 v3, v31, v22, -v17
	v_fmac_f32_e32 v23, v32, v22
	v_fma_f32 v22, v31, v24, -v19
	v_fmac_f32_e32 v25, v32, v24
	v_add_f32_e32 v21, v26, v28
	v_add_f32_e32 v19, v35, v29
	;; [unrolled: 1-line block ×6, first 2 shown]
	s_barrier
	buffer_gl0_inv
	s_cbranch_vccz .LBB260_11
.LBB260_3:                              ; =>This Inner Loop Header: Depth=1
	v_add_co_u32 v22, s20, v13, s6
	v_add_co_ci_u32_e64 v23, null, 0, s7, s20
	v_cmp_le_i64_e32 vcc_lo, s[16:17], v[22:23]
	s_or_b32 s20, s1, vcc_lo
	s_and_saveexec_b32 s21, s20
	s_xor_b32 s20, exec_lo, s21
; %bb.4:                                ;   in Loop: Header=BB260_3 Depth=1
	v_mov_b32_e32 v3, v2
	ds_write_b64 v15, v[2:3]
; %bb.5:                                ;   in Loop: Header=BB260_3 Depth=1
	s_andn2_saveexec_b32 s20, s20
	s_cbranch_execz .LBB260_7
; %bb.6:                                ;   in Loop: Header=BB260_3 Depth=1
	flat_load_dwordx2 v[22:23], v[6:7]
	s_waitcnt vmcnt(0) lgkmcnt(0)
	ds_write_b64 v15, v[22:23]
.LBB260_7:                              ;   in Loop: Header=BB260_3 Depth=1
	s_or_b32 exec_lo, exec_lo, s20
	v_add_co_u32 v22, s20, v8, s6
	v_add_co_ci_u32_e64 v23, null, 0, s7, s20
	v_cmp_le_i64_e32 vcc_lo, s[16:17], v[22:23]
	s_or_b32 s20, vcc_lo, s0
	s_and_saveexec_b32 s21, s20
	s_xor_b32 s20, exec_lo, s21
; %bb.8:                                ;   in Loop: Header=BB260_3 Depth=1
	ds_write_b32 v16, v2
; %bb.9:                                ;   in Loop: Header=BB260_3 Depth=1
	s_or_saveexec_b32 s20, s20
	v_mov_b32_e32 v3, 0
	s_xor_b32 exec_lo, exec_lo, s20
	s_cbranch_execz .LBB260_2
; %bb.10:                               ;   in Loop: Header=BB260_3 Depth=1
	flat_load_dwordx2 v[22:23], v[4:5]
	s_waitcnt vmcnt(0) lgkmcnt(0)
	v_xor_b32_e32 v3, 0x80000000, v23
	ds_write_b32 v16, v22
	s_branch .LBB260_2
.LBB260_11:
	v_add_co_u32 v1, s4, s36, v1
	v_add_co_ci_u32_e64 v2, null, s37, 0, s4
	s_lshl_b64 s[0:1], s[30:31], 3
	s_waitcnt lgkmcnt(0)
	s_add_u32 s4, s2, s0
	s_addc_u32 s3, s3, s1
	s_or_b32 s1, s8, s9
	v_cmp_gt_i64_e64 s0, s[14:15], v[1:2]
	s_bitset0_b32 s1, 31
	s_cmp_lg_u32 s1, 0
	s_mov_b32 s1, -1
	s_cbranch_scc1 .LBB260_23
; %bb.12:
	s_and_saveexec_b32 s5, s0
	s_cbranch_execz .LBB260_22
; %bb.13:
	v_mul_lo_u32 v5, v2, s28
	v_mul_lo_u32 v6, v1, s29
	v_mad_u64_u32 v[3:4], null, v1, s28, 0
	v_add3_u32 v4, v4, v6, v5
	v_add_co_u32 v5, s1, s34, v0
	v_add_co_ci_u32_e64 v6, null, s35, 0, s1
	v_lshlrev_b64 v[7:8], 3, v[3:4]
	v_cmp_gt_i64_e32 vcc_lo, s[12:13], v[5:6]
	v_lshlrev_b64 v[3:4], 3, v[5:6]
	v_add_co_u32 v7, s1, s4, v7
	v_add_co_ci_u32_e64 v8, null, s3, v8, s1
	s_and_saveexec_b32 s2, vcc_lo
	s_cbranch_execz .LBB260_15
; %bb.14:
	v_mul_f32_e32 v9, s19, v21
	v_mul_f32_e32 v10, s18, v21
	v_add_co_u32 v15, s1, v7, v3
	v_add_co_ci_u32_e64 v16, null, v8, v4, s1
	v_fma_f32 v9, v20, s18, -v9
	v_fmac_f32_e32 v10, s19, v20
	flat_store_dwordx2 v[15:16], v[9:10]
.LBB260_15:
	s_or_b32 exec_lo, exec_lo, s2
	v_add_co_u32 v5, s1, v5, 16
	v_add_co_ci_u32_e64 v6, null, 0, v6, s1
	v_cmp_gt_i64_e64 s1, s[12:13], v[5:6]
	s_and_saveexec_b32 s6, s1
	s_cbranch_execz .LBB260_17
; %bb.16:
	v_mul_f32_e32 v5, s19, v19
	v_mul_f32_e32 v6, s18, v19
	v_add_co_u32 v9, s2, v7, v3
	v_add_co_ci_u32_e64 v10, null, v8, v4, s2
	v_fma_f32 v5, v18, s18, -v5
	v_fmac_f32_e32 v6, s19, v18
	flat_store_dwordx2 v[9:10], v[5:6] offset:128
.LBB260_17:
	s_or_b32 exec_lo, exec_lo, s6
	v_add_co_u32 v5, s2, v1, 16
	v_add_co_ci_u32_e64 v6, null, 0, v2, s2
	v_cmp_gt_i64_e64 s2, s[14:15], v[5:6]
	s_and_b32 exec_lo, exec_lo, s2
	s_cbranch_execz .LBB260_22
; %bb.18:
	s_lshl_b64 s[6:7], s[28:29], 7
	v_add_co_u32 v5, s2, v7, s6
	v_add_co_ci_u32_e64 v6, null, s7, v8, s2
	v_add_co_u32 v3, s2, v5, v3
	v_add_co_ci_u32_e64 v4, null, v6, v4, s2
	s_and_saveexec_b32 s2, vcc_lo
	s_cbranch_execz .LBB260_20
; %bb.19:
	v_mul_f32_e32 v5, s19, v17
	v_mul_f32_e32 v6, s18, v17
	v_fma_f32 v5, v14, s18, -v5
	v_fmac_f32_e32 v6, s19, v14
	flat_store_dwordx2 v[3:4], v[5:6]
.LBB260_20:
	s_or_b32 exec_lo, exec_lo, s2
	s_and_b32 exec_lo, exec_lo, s1
	s_cbranch_execz .LBB260_22
; %bb.21:
	v_mul_f32_e32 v5, s19, v12
	v_mul_f32_e32 v6, s18, v12
	v_fma_f32 v5, v11, s18, -v5
	v_fmac_f32_e32 v6, s19, v11
	flat_store_dwordx2 v[3:4], v[5:6] offset:128
.LBB260_22:
	s_or_b32 exec_lo, exec_lo, s5
	s_mov_b32 s1, 0
.LBB260_23:
	s_andn2_b32 vcc_lo, exec_lo, s1
	s_cbranch_vccnz .LBB260_34
; %bb.24:
	s_and_saveexec_b32 s1, s0
	s_cbranch_execz .LBB260_34
; %bb.25:
	v_mul_lo_u32 v5, v2, s38
	v_mul_lo_u32 v6, v1, s39
	v_mad_u64_u32 v[3:4], null, v1, s38, 0
	v_mul_lo_u32 v9, v2, s28
	v_mul_lo_u32 v10, v1, s29
	v_mad_u64_u32 v[7:8], null, v1, s28, 0
	s_lshl_b64 s[0:1], s[40:41], 3
	v_add3_u32 v4, v4, v6, v5
	v_add_co_u32 v5, s2, s34, v0
	v_add_co_ci_u32_e64 v6, null, s35, 0, s2
	v_add3_u32 v8, v8, v10, v9
	v_lshlrev_b64 v[3:4], 3, v[3:4]
	s_add_u32 s0, s10, s0
	s_addc_u32 s1, s11, s1
	v_cmp_gt_i64_e32 vcc_lo, s[12:13], v[5:6]
	v_lshlrev_b64 v[8:9], 3, v[7:8]
	v_add_co_u32 v0, s0, s0, v3
	v_add_co_ci_u32_e64 v7, null, s1, v4, s0
	v_add_co_u32 v8, s0, s4, v8
	v_lshlrev_b64 v[3:4], 3, v[5:6]
	v_add_co_ci_u32_e64 v9, null, s3, v9, s0
	s_and_saveexec_b32 s1, vcc_lo
	s_cbranch_execz .LBB260_27
; %bb.26:
	v_add_co_u32 v15, s0, v0, v3
	v_add_co_ci_u32_e64 v16, null, v7, v4, s0
	v_mul_f32_e32 v10, s19, v21
	v_mul_f32_e32 v13, s18, v21
	flat_load_dwordx2 v[15:16], v[15:16]
	v_fma_f32 v10, v20, s18, -v10
	v_fmac_f32_e32 v13, s19, v20
	s_waitcnt vmcnt(0) lgkmcnt(0)
	v_mul_f32_e32 v21, s9, v16
	v_mul_f32_e32 v16, s8, v16
	v_fma_f32 v20, v15, s8, -v21
	v_fmac_f32_e32 v16, s9, v15
	v_add_f32_e32 v15, v10, v20
	v_add_co_u32 v20, s0, v8, v3
	v_add_f32_e32 v16, v13, v16
	v_add_co_ci_u32_e64 v21, null, v9, v4, s0
	flat_store_dwordx2 v[20:21], v[15:16]
.LBB260_27:
	s_or_b32 exec_lo, exec_lo, s1
	v_add_co_u32 v5, s0, v5, 16
	v_add_co_ci_u32_e64 v6, null, 0, v6, s0
	v_cmp_gt_i64_e64 s0, s[12:13], v[5:6]
	s_and_saveexec_b32 s2, s0
	s_cbranch_execz .LBB260_29
; %bb.28:
	v_add_co_u32 v5, s1, v0, v3
	v_add_co_ci_u32_e64 v6, null, v7, v4, s1
	v_mul_f32_e32 v10, s19, v19
	v_mul_f32_e32 v13, s18, v19
	flat_load_dwordx2 v[5:6], v[5:6] offset:128
	v_fma_f32 v10, v18, s18, -v10
	v_fmac_f32_e32 v13, s19, v18
	s_waitcnt vmcnt(0) lgkmcnt(0)
	v_mul_f32_e32 v15, s9, v6
	v_mul_f32_e32 v6, s8, v6
	v_fma_f32 v15, v5, s8, -v15
	v_fmac_f32_e32 v6, s9, v5
	v_add_f32_e32 v5, v10, v15
	v_add_co_u32 v15, s1, v8, v3
	v_add_f32_e32 v6, v13, v6
	v_add_co_ci_u32_e64 v16, null, v9, v4, s1
	flat_store_dwordx2 v[15:16], v[5:6] offset:128
.LBB260_29:
	s_or_b32 exec_lo, exec_lo, s2
	v_add_co_u32 v1, s1, v1, 16
	v_add_co_ci_u32_e64 v2, null, 0, v2, s1
	v_cmp_gt_i64_e64 s1, s[14:15], v[1:2]
	s_and_b32 exec_lo, exec_lo, s1
	s_cbranch_execz .LBB260_34
; %bb.30:
	s_lshl_b64 s[2:3], s[38:39], 7
	v_add_co_u32 v0, s1, v0, s2
	v_add_co_ci_u32_e64 v1, null, s3, v7, s1
	s_lshl_b64 s[2:3], s[28:29], 7
	v_add_co_u32 v2, s1, v8, s2
	v_add_co_ci_u32_e64 v7, null, s3, v9, s1
	v_add_co_u32 v5, s1, v0, v3
	v_add_co_ci_u32_e64 v6, null, v1, v4, s1
	;; [unrolled: 2-line block ×3, first 2 shown]
	s_and_saveexec_b32 s1, vcc_lo
	s_cbranch_execz .LBB260_32
; %bb.31:
	flat_load_dwordx2 v[2:3], v[5:6]
	v_mul_f32_e32 v4, s19, v17
	v_mul_f32_e32 v7, s18, v17
	v_fma_f32 v4, v14, s18, -v4
	v_fmac_f32_e32 v7, s19, v14
	s_waitcnt vmcnt(0) lgkmcnt(0)
	v_mul_f32_e32 v8, s9, v3
	v_mul_f32_e32 v3, s8, v3
	v_fma_f32 v8, v2, s8, -v8
	v_fmac_f32_e32 v3, s9, v2
	v_add_f32_e32 v2, v4, v8
	v_add_f32_e32 v3, v7, v3
	flat_store_dwordx2 v[0:1], v[2:3]
.LBB260_32:
	s_or_b32 exec_lo, exec_lo, s1
	s_and_b32 exec_lo, exec_lo, s0
	s_cbranch_execz .LBB260_34
; %bb.33:
	flat_load_dwordx2 v[2:3], v[5:6] offset:128
	v_mul_f32_e32 v4, s19, v12
	v_mul_f32_e32 v5, s18, v12
	v_fma_f32 v4, v11, s18, -v4
	v_fmac_f32_e32 v5, s19, v11
	s_waitcnt vmcnt(0) lgkmcnt(0)
	v_mul_f32_e32 v6, s9, v3
	v_mul_f32_e32 v3, s8, v3
	v_fma_f32 v6, v2, s8, -v6
	v_fmac_f32_e32 v3, s9, v2
	v_add_f32_e32 v2, v4, v6
	v_add_f32_e32 v3, v5, v3
	flat_store_dwordx2 v[0:1], v[2:3] offset:128
.LBB260_34:
	s_endpgm
	.section	.rodata,"a",@progbits
	.p2align	6, 0x0
	.amdhsa_kernel _ZN12_GLOBAL__N_135rocblas_gemm_batched_general_kernelI19rocblas_complex_numIfELi16ELi16ELi32ELi32ELi8ELi32ELi8ELi8ELi32ELc84ELc67EKPKS2_S5_KPS2_EEvlllT_PT11_llSA_llS8_PT12_llPT13_lli
		.amdhsa_group_segment_fixed_size 4096
		.amdhsa_private_segment_fixed_size 0
		.amdhsa_kernarg_size 140
		.amdhsa_user_sgpr_count 6
		.amdhsa_user_sgpr_private_segment_buffer 1
		.amdhsa_user_sgpr_dispatch_ptr 0
		.amdhsa_user_sgpr_queue_ptr 0
		.amdhsa_user_sgpr_kernarg_segment_ptr 1
		.amdhsa_user_sgpr_dispatch_id 0
		.amdhsa_user_sgpr_flat_scratch_init 0
		.amdhsa_user_sgpr_private_segment_size 0
		.amdhsa_wavefront_size32 1
		.amdhsa_uses_dynamic_stack 0
		.amdhsa_system_sgpr_private_segment_wavefront_offset 0
		.amdhsa_system_sgpr_workgroup_id_x 1
		.amdhsa_system_sgpr_workgroup_id_y 1
		.amdhsa_system_sgpr_workgroup_id_z 1
		.amdhsa_system_sgpr_workgroup_info 0
		.amdhsa_system_vgpr_workitem_id 1
		.amdhsa_next_free_vgpr 59
		.amdhsa_next_free_sgpr 46
		.amdhsa_reserve_vcc 1
		.amdhsa_reserve_flat_scratch 0
		.amdhsa_float_round_mode_32 0
		.amdhsa_float_round_mode_16_64 0
		.amdhsa_float_denorm_mode_32 3
		.amdhsa_float_denorm_mode_16_64 3
		.amdhsa_dx10_clamp 1
		.amdhsa_ieee_mode 1
		.amdhsa_fp16_overflow 0
		.amdhsa_workgroup_processor_mode 1
		.amdhsa_memory_ordered 1
		.amdhsa_forward_progress 1
		.amdhsa_shared_vgpr_count 0
		.amdhsa_exception_fp_ieee_invalid_op 0
		.amdhsa_exception_fp_denorm_src 0
		.amdhsa_exception_fp_ieee_div_zero 0
		.amdhsa_exception_fp_ieee_overflow 0
		.amdhsa_exception_fp_ieee_underflow 0
		.amdhsa_exception_fp_ieee_inexact 0
		.amdhsa_exception_int_div_zero 0
	.end_amdhsa_kernel
	.section	.text._ZN12_GLOBAL__N_135rocblas_gemm_batched_general_kernelI19rocblas_complex_numIfELi16ELi16ELi32ELi32ELi8ELi32ELi8ELi8ELi32ELc84ELc67EKPKS2_S5_KPS2_EEvlllT_PT11_llSA_llS8_PT12_llPT13_lli,"axG",@progbits,_ZN12_GLOBAL__N_135rocblas_gemm_batched_general_kernelI19rocblas_complex_numIfELi16ELi16ELi32ELi32ELi8ELi32ELi8ELi8ELi32ELc84ELc67EKPKS2_S5_KPS2_EEvlllT_PT11_llSA_llS8_PT12_llPT13_lli,comdat
.Lfunc_end260:
	.size	_ZN12_GLOBAL__N_135rocblas_gemm_batched_general_kernelI19rocblas_complex_numIfELi16ELi16ELi32ELi32ELi8ELi32ELi8ELi8ELi32ELc84ELc67EKPKS2_S5_KPS2_EEvlllT_PT11_llSA_llS8_PT12_llPT13_lli, .Lfunc_end260-_ZN12_GLOBAL__N_135rocblas_gemm_batched_general_kernelI19rocblas_complex_numIfELi16ELi16ELi32ELi32ELi8ELi32ELi8ELi8ELi32ELc84ELc67EKPKS2_S5_KPS2_EEvlllT_PT11_llSA_llS8_PT12_llPT13_lli
                                        ; -- End function
	.set _ZN12_GLOBAL__N_135rocblas_gemm_batched_general_kernelI19rocblas_complex_numIfELi16ELi16ELi32ELi32ELi8ELi32ELi8ELi8ELi32ELc84ELc67EKPKS2_S5_KPS2_EEvlllT_PT11_llSA_llS8_PT12_llPT13_lli.num_vgpr, 59
	.set _ZN12_GLOBAL__N_135rocblas_gemm_batched_general_kernelI19rocblas_complex_numIfELi16ELi16ELi32ELi32ELi8ELi32ELi8ELi8ELi32ELc84ELc67EKPKS2_S5_KPS2_EEvlllT_PT11_llSA_llS8_PT12_llPT13_lli.num_agpr, 0
	.set _ZN12_GLOBAL__N_135rocblas_gemm_batched_general_kernelI19rocblas_complex_numIfELi16ELi16ELi32ELi32ELi8ELi32ELi8ELi8ELi32ELc84ELc67EKPKS2_S5_KPS2_EEvlllT_PT11_llSA_llS8_PT12_llPT13_lli.numbered_sgpr, 46
	.set _ZN12_GLOBAL__N_135rocblas_gemm_batched_general_kernelI19rocblas_complex_numIfELi16ELi16ELi32ELi32ELi8ELi32ELi8ELi8ELi32ELc84ELc67EKPKS2_S5_KPS2_EEvlllT_PT11_llSA_llS8_PT12_llPT13_lli.num_named_barrier, 0
	.set _ZN12_GLOBAL__N_135rocblas_gemm_batched_general_kernelI19rocblas_complex_numIfELi16ELi16ELi32ELi32ELi8ELi32ELi8ELi8ELi32ELc84ELc67EKPKS2_S5_KPS2_EEvlllT_PT11_llSA_llS8_PT12_llPT13_lli.private_seg_size, 0
	.set _ZN12_GLOBAL__N_135rocblas_gemm_batched_general_kernelI19rocblas_complex_numIfELi16ELi16ELi32ELi32ELi8ELi32ELi8ELi8ELi32ELc84ELc67EKPKS2_S5_KPS2_EEvlllT_PT11_llSA_llS8_PT12_llPT13_lli.uses_vcc, 1
	.set _ZN12_GLOBAL__N_135rocblas_gemm_batched_general_kernelI19rocblas_complex_numIfELi16ELi16ELi32ELi32ELi8ELi32ELi8ELi8ELi32ELc84ELc67EKPKS2_S5_KPS2_EEvlllT_PT11_llSA_llS8_PT12_llPT13_lli.uses_flat_scratch, 0
	.set _ZN12_GLOBAL__N_135rocblas_gemm_batched_general_kernelI19rocblas_complex_numIfELi16ELi16ELi32ELi32ELi8ELi32ELi8ELi8ELi32ELc84ELc67EKPKS2_S5_KPS2_EEvlllT_PT11_llSA_llS8_PT12_llPT13_lli.has_dyn_sized_stack, 0
	.set _ZN12_GLOBAL__N_135rocblas_gemm_batched_general_kernelI19rocblas_complex_numIfELi16ELi16ELi32ELi32ELi8ELi32ELi8ELi8ELi32ELc84ELc67EKPKS2_S5_KPS2_EEvlllT_PT11_llSA_llS8_PT12_llPT13_lli.has_recursion, 0
	.set _ZN12_GLOBAL__N_135rocblas_gemm_batched_general_kernelI19rocblas_complex_numIfELi16ELi16ELi32ELi32ELi8ELi32ELi8ELi8ELi32ELc84ELc67EKPKS2_S5_KPS2_EEvlllT_PT11_llSA_llS8_PT12_llPT13_lli.has_indirect_call, 0
	.section	.AMDGPU.csdata,"",@progbits
; Kernel info:
; codeLenInByte = 3008
; TotalNumSgprs: 48
; NumVgprs: 59
; ScratchSize: 0
; MemoryBound: 1
; FloatMode: 240
; IeeeMode: 1
; LDSByteSize: 4096 bytes/workgroup (compile time only)
; SGPRBlocks: 0
; VGPRBlocks: 7
; NumSGPRsForWavesPerEU: 48
; NumVGPRsForWavesPerEU: 59
; Occupancy: 16
; WaveLimiterHint : 1
; COMPUTE_PGM_RSRC2:SCRATCH_EN: 0
; COMPUTE_PGM_RSRC2:USER_SGPR: 6
; COMPUTE_PGM_RSRC2:TRAP_HANDLER: 0
; COMPUTE_PGM_RSRC2:TGID_X_EN: 1
; COMPUTE_PGM_RSRC2:TGID_Y_EN: 1
; COMPUTE_PGM_RSRC2:TGID_Z_EN: 1
; COMPUTE_PGM_RSRC2:TIDIG_COMP_CNT: 1
	.section	.text._ZN12_GLOBAL__N_125rocblas_gemm_scale_kernelILi32ELi32E19rocblas_complex_numIdEPKPS2_EEviiT1_T2_llli,"axG",@progbits,_ZN12_GLOBAL__N_125rocblas_gemm_scale_kernelILi32ELi32E19rocblas_complex_numIdEPKPS2_EEviiT1_T2_llli,comdat
	.globl	_ZN12_GLOBAL__N_125rocblas_gemm_scale_kernelILi32ELi32E19rocblas_complex_numIdEPKPS2_EEviiT1_T2_llli ; -- Begin function _ZN12_GLOBAL__N_125rocblas_gemm_scale_kernelILi32ELi32E19rocblas_complex_numIdEPKPS2_EEviiT1_T2_llli
	.p2align	8
	.type	_ZN12_GLOBAL__N_125rocblas_gemm_scale_kernelILi32ELi32E19rocblas_complex_numIdEPKPS2_EEviiT1_T2_llli,@function
_ZN12_GLOBAL__N_125rocblas_gemm_scale_kernelILi32ELi32E19rocblas_complex_numIdEPKPS2_EEviiT1_T2_llli: ; @_ZN12_GLOBAL__N_125rocblas_gemm_scale_kernelILi32ELi32E19rocblas_complex_numIdEPKPS2_EEviiT1_T2_llli
; %bb.0:
	s_load_dwordx2 s[0:1], s[4:5], 0x0
	v_lshl_add_u32 v0, s6, 5, v0
	v_lshl_add_u32 v1, s7, 5, v1
	s_waitcnt lgkmcnt(0)
	v_cmp_gt_u32_e32 vcc_lo, s0, v0
	v_cmp_gt_u32_e64 s0, s1, v1
	s_and_b32 s0, vcc_lo, s0
	s_and_saveexec_b32 s1, s0
	s_cbranch_execz .LBB261_4
; %bb.1:
	s_clause 0x1
	s_load_dwordx8 s[12:19], s[4:5], 0x8
	s_load_dwordx2 s[0:1], s[4:5], 0x28
	s_mov_b32 s9, 0
	s_lshl_b64 s[2:3], s[8:9], 3
	s_waitcnt lgkmcnt(0)
	s_add_u32 s2, s16, s2
	v_mad_u64_u32 v[4:5], null, s0, v1, 0
	s_addc_u32 s3, s17, s3
	v_cmp_neq_f64_e64 s4, s[12:13], 0
	v_cmp_neq_f64_e64 s5, s[14:15], 0
	s_load_dwordx2 s[2:3], s[2:3], 0x0
	v_mov_b32_e32 v2, v5
	v_mad_u64_u32 v[1:2], null, s1, v1, v[2:3]
	s_lshl_b64 s[0:1], s[18:19], 4
	v_mov_b32_e32 v2, 0
	v_mov_b32_e32 v3, 0
	v_mov_b32_e32 v5, v1
	v_mov_b32_e32 v1, 0
	s_waitcnt lgkmcnt(0)
	s_add_u32 s0, s2, s0
	v_lshlrev_b64 v[6:7], 4, v[4:5]
	v_lshlrev_b64 v[4:5], 4, v[0:1]
	v_mov_b32_e32 v0, 0
	v_mov_b32_e32 v1, 0
	s_addc_u32 s1, s3, s1
	s_or_b32 s2, s4, s5
	s_andn2_b32 vcc_lo, exec_lo, s2
	s_cbranch_vccnz .LBB261_3
; %bb.2:
	v_add_co_u32 v0, vcc_lo, s0, v6
	v_add_co_ci_u32_e64 v1, null, s1, v7, vcc_lo
	v_add_co_u32 v0, vcc_lo, v0, v4
	v_add_co_ci_u32_e64 v1, null, v1, v5, vcc_lo
	flat_load_dwordx4 v[8:11], v[0:1]
	s_waitcnt vmcnt(0) lgkmcnt(0)
	v_mul_f64 v[0:1], s[14:15], v[10:11]
	v_mul_f64 v[2:3], s[12:13], v[10:11]
	v_fma_f64 v[0:1], s[12:13], v[8:9], -v[0:1]
	v_fma_f64 v[2:3], s[14:15], v[8:9], v[2:3]
.LBB261_3:
	v_add_co_u32 v6, vcc_lo, s0, v6
	v_add_co_ci_u32_e64 v7, null, s1, v7, vcc_lo
	v_add_co_u32 v4, vcc_lo, v6, v4
	v_add_co_ci_u32_e64 v5, null, v7, v5, vcc_lo
	flat_store_dwordx4 v[4:5], v[0:3]
.LBB261_4:
	s_endpgm
	.section	.rodata,"a",@progbits
	.p2align	6, 0x0
	.amdhsa_kernel _ZN12_GLOBAL__N_125rocblas_gemm_scale_kernelILi32ELi32E19rocblas_complex_numIdEPKPS2_EEviiT1_T2_llli
		.amdhsa_group_segment_fixed_size 0
		.amdhsa_private_segment_fixed_size 0
		.amdhsa_kernarg_size 60
		.amdhsa_user_sgpr_count 6
		.amdhsa_user_sgpr_private_segment_buffer 1
		.amdhsa_user_sgpr_dispatch_ptr 0
		.amdhsa_user_sgpr_queue_ptr 0
		.amdhsa_user_sgpr_kernarg_segment_ptr 1
		.amdhsa_user_sgpr_dispatch_id 0
		.amdhsa_user_sgpr_flat_scratch_init 0
		.amdhsa_user_sgpr_private_segment_size 0
		.amdhsa_wavefront_size32 1
		.amdhsa_uses_dynamic_stack 0
		.amdhsa_system_sgpr_private_segment_wavefront_offset 0
		.amdhsa_system_sgpr_workgroup_id_x 1
		.amdhsa_system_sgpr_workgroup_id_y 1
		.amdhsa_system_sgpr_workgroup_id_z 1
		.amdhsa_system_sgpr_workgroup_info 0
		.amdhsa_system_vgpr_workitem_id 1
		.amdhsa_next_free_vgpr 12
		.amdhsa_next_free_sgpr 20
		.amdhsa_reserve_vcc 1
		.amdhsa_reserve_flat_scratch 0
		.amdhsa_float_round_mode_32 0
		.amdhsa_float_round_mode_16_64 0
		.amdhsa_float_denorm_mode_32 3
		.amdhsa_float_denorm_mode_16_64 3
		.amdhsa_dx10_clamp 1
		.amdhsa_ieee_mode 1
		.amdhsa_fp16_overflow 0
		.amdhsa_workgroup_processor_mode 1
		.amdhsa_memory_ordered 1
		.amdhsa_forward_progress 1
		.amdhsa_shared_vgpr_count 0
		.amdhsa_exception_fp_ieee_invalid_op 0
		.amdhsa_exception_fp_denorm_src 0
		.amdhsa_exception_fp_ieee_div_zero 0
		.amdhsa_exception_fp_ieee_overflow 0
		.amdhsa_exception_fp_ieee_underflow 0
		.amdhsa_exception_fp_ieee_inexact 0
		.amdhsa_exception_int_div_zero 0
	.end_amdhsa_kernel
	.section	.text._ZN12_GLOBAL__N_125rocblas_gemm_scale_kernelILi32ELi32E19rocblas_complex_numIdEPKPS2_EEviiT1_T2_llli,"axG",@progbits,_ZN12_GLOBAL__N_125rocblas_gemm_scale_kernelILi32ELi32E19rocblas_complex_numIdEPKPS2_EEviiT1_T2_llli,comdat
.Lfunc_end261:
	.size	_ZN12_GLOBAL__N_125rocblas_gemm_scale_kernelILi32ELi32E19rocblas_complex_numIdEPKPS2_EEviiT1_T2_llli, .Lfunc_end261-_ZN12_GLOBAL__N_125rocblas_gemm_scale_kernelILi32ELi32E19rocblas_complex_numIdEPKPS2_EEviiT1_T2_llli
                                        ; -- End function
	.set _ZN12_GLOBAL__N_125rocblas_gemm_scale_kernelILi32ELi32E19rocblas_complex_numIdEPKPS2_EEviiT1_T2_llli.num_vgpr, 12
	.set _ZN12_GLOBAL__N_125rocblas_gemm_scale_kernelILi32ELi32E19rocblas_complex_numIdEPKPS2_EEviiT1_T2_llli.num_agpr, 0
	.set _ZN12_GLOBAL__N_125rocblas_gemm_scale_kernelILi32ELi32E19rocblas_complex_numIdEPKPS2_EEviiT1_T2_llli.numbered_sgpr, 20
	.set _ZN12_GLOBAL__N_125rocblas_gemm_scale_kernelILi32ELi32E19rocblas_complex_numIdEPKPS2_EEviiT1_T2_llli.num_named_barrier, 0
	.set _ZN12_GLOBAL__N_125rocblas_gemm_scale_kernelILi32ELi32E19rocblas_complex_numIdEPKPS2_EEviiT1_T2_llli.private_seg_size, 0
	.set _ZN12_GLOBAL__N_125rocblas_gemm_scale_kernelILi32ELi32E19rocblas_complex_numIdEPKPS2_EEviiT1_T2_llli.uses_vcc, 1
	.set _ZN12_GLOBAL__N_125rocblas_gemm_scale_kernelILi32ELi32E19rocblas_complex_numIdEPKPS2_EEviiT1_T2_llli.uses_flat_scratch, 0
	.set _ZN12_GLOBAL__N_125rocblas_gemm_scale_kernelILi32ELi32E19rocblas_complex_numIdEPKPS2_EEviiT1_T2_llli.has_dyn_sized_stack, 0
	.set _ZN12_GLOBAL__N_125rocblas_gemm_scale_kernelILi32ELi32E19rocblas_complex_numIdEPKPS2_EEviiT1_T2_llli.has_recursion, 0
	.set _ZN12_GLOBAL__N_125rocblas_gemm_scale_kernelILi32ELi32E19rocblas_complex_numIdEPKPS2_EEviiT1_T2_llli.has_indirect_call, 0
	.section	.AMDGPU.csdata,"",@progbits
; Kernel info:
; codeLenInByte = 324
; TotalNumSgprs: 22
; NumVgprs: 12
; ScratchSize: 0
; MemoryBound: 0
; FloatMode: 240
; IeeeMode: 1
; LDSByteSize: 0 bytes/workgroup (compile time only)
; SGPRBlocks: 0
; VGPRBlocks: 1
; NumSGPRsForWavesPerEU: 22
; NumVGPRsForWavesPerEU: 12
; Occupancy: 16
; WaveLimiterHint : 1
; COMPUTE_PGM_RSRC2:SCRATCH_EN: 0
; COMPUTE_PGM_RSRC2:USER_SGPR: 6
; COMPUTE_PGM_RSRC2:TRAP_HANDLER: 0
; COMPUTE_PGM_RSRC2:TGID_X_EN: 1
; COMPUTE_PGM_RSRC2:TGID_Y_EN: 1
; COMPUTE_PGM_RSRC2:TGID_Z_EN: 1
; COMPUTE_PGM_RSRC2:TIDIG_COMP_CNT: 1
	.section	.text._ZN12_GLOBAL__N_120gemm_ex_scale_kernelILi32ELi32E19rocblas_complex_numIdEPKPKS2_PKPS2_EEviiT1_T2_lllT3_llli,"axG",@progbits,_ZN12_GLOBAL__N_120gemm_ex_scale_kernelILi32ELi32E19rocblas_complex_numIdEPKPKS2_PKPS2_EEviiT1_T2_lllT3_llli,comdat
	.globl	_ZN12_GLOBAL__N_120gemm_ex_scale_kernelILi32ELi32E19rocblas_complex_numIdEPKPKS2_PKPS2_EEviiT1_T2_lllT3_llli ; -- Begin function _ZN12_GLOBAL__N_120gemm_ex_scale_kernelILi32ELi32E19rocblas_complex_numIdEPKPKS2_PKPS2_EEviiT1_T2_lllT3_llli
	.p2align	8
	.type	_ZN12_GLOBAL__N_120gemm_ex_scale_kernelILi32ELi32E19rocblas_complex_numIdEPKPKS2_PKPS2_EEviiT1_T2_lllT3_llli,@function
_ZN12_GLOBAL__N_120gemm_ex_scale_kernelILi32ELi32E19rocblas_complex_numIdEPKPKS2_PKPS2_EEviiT1_T2_lllT3_llli: ; @_ZN12_GLOBAL__N_120gemm_ex_scale_kernelILi32ELi32E19rocblas_complex_numIdEPKPKS2_PKPS2_EEviiT1_T2_lllT3_llli
; %bb.0:
	s_clause 0x1
	s_load_dwordx8 s[12:19], s[4:5], 0x8
	s_load_dwordx2 s[10:11], s[4:5], 0x28
	s_mov_b64 s[20:21], 0
	s_mov_b32 s9, 0
	s_waitcnt lgkmcnt(0)
	v_cmp_eq_f64_e64 s0, s[12:13], 0
	v_cmp_eq_f64_e64 s1, s[14:15], 0
	s_and_b32 s22, s0, s1
	s_and_b32 vcc_lo, exec_lo, s22
	s_cbranch_vccnz .LBB262_2
; %bb.1:
	s_lshl_b64 s[0:1], s[8:9], 3
	s_add_u32 s0, s16, s0
	s_addc_u32 s1, s17, s1
	s_lshl_b64 s[2:3], s[18:19], 4
	s_load_dwordx2 s[0:1], s[0:1], 0x0
	s_waitcnt lgkmcnt(0)
	s_add_u32 s20, s0, s2
	s_addc_u32 s21, s1, s3
.LBB262_2:
	s_load_dwordx2 s[0:1], s[4:5], 0x0
	v_lshl_add_u32 v4, s6, 5, v0
	v_lshl_add_u32 v6, s7, 5, v1
	s_waitcnt lgkmcnt(0)
	v_cmp_gt_u32_e32 vcc_lo, s0, v4
	v_cmp_gt_u32_e64 s0, s1, v6
	s_and_b32 s0, vcc_lo, s0
	s_and_saveexec_b32 s1, s0
	s_cbranch_execz .LBB262_9
; %bb.3:
	s_load_dwordx4 s[0:3], s[4:5], 0x38
	s_lshl_b64 s[6:7], s[8:9], 3
	s_load_dwordx2 s[4:5], s[4:5], 0x48
	v_mov_b32_e32 v5, 0
	s_waitcnt lgkmcnt(0)
	s_add_u32 s0, s0, s6
	s_addc_u32 s1, s1, s7
	s_andn2_b32 vcc_lo, exec_lo, s22
	s_load_dwordx2 s[0:1], s[0:1], 0x0
	s_cbranch_vccnz .LBB262_5
; %bb.4:
	s_mov_b32 s6, 0
	s_branch .LBB262_6
.LBB262_5:
	s_mov_b32 s6, -1
.LBB262_6:
	v_mov_b32_e32 v2, 0
	v_mov_b32_e32 v0, 0
	;; [unrolled: 1-line block ×4, first 2 shown]
	s_andn2_b32 vcc_lo, exec_lo, s6
	s_cbranch_vccnz .LBB262_8
; %bb.7:
	v_mad_u64_u32 v[0:1], null, s10, v6, 0
	v_mad_u64_u32 v[1:2], null, s11, v6, v[1:2]
	v_lshlrev_b64 v[2:3], 4, v[4:5]
	v_lshlrev_b64 v[0:1], 4, v[0:1]
	v_add_co_u32 v0, vcc_lo, s20, v0
	v_add_co_ci_u32_e64 v1, null, s21, v1, vcc_lo
	v_add_co_u32 v0, vcc_lo, v0, v2
	v_add_co_ci_u32_e64 v1, null, v1, v3, vcc_lo
	flat_load_dwordx4 v[7:10], v[0:1]
	s_waitcnt vmcnt(0) lgkmcnt(0)
	v_mul_f64 v[0:1], s[14:15], v[9:10]
	v_mul_f64 v[2:3], s[12:13], v[9:10]
	v_fma_f64 v[0:1], s[12:13], v[7:8], -v[0:1]
	v_fma_f64 v[2:3], s[14:15], v[7:8], v[2:3]
.LBB262_8:
	v_mad_u64_u32 v[7:8], null, s4, v6, 0
	s_lshl_b64 s[2:3], s[2:3], 4
	v_lshlrev_b64 v[4:5], 4, v[4:5]
	s_waitcnt lgkmcnt(0)
	s_add_u32 s0, s0, s2
	s_addc_u32 s1, s1, s3
	v_mad_u64_u32 v[8:9], null, s5, v6, v[8:9]
	v_lshlrev_b64 v[6:7], 4, v[7:8]
	v_add_co_u32 v6, vcc_lo, s0, v6
	v_add_co_ci_u32_e64 v7, null, s1, v7, vcc_lo
	v_add_co_u32 v4, vcc_lo, v6, v4
	v_add_co_ci_u32_e64 v5, null, v7, v5, vcc_lo
	flat_store_dwordx4 v[4:5], v[0:3]
.LBB262_9:
	s_endpgm
	.section	.rodata,"a",@progbits
	.p2align	6, 0x0
	.amdhsa_kernel _ZN12_GLOBAL__N_120gemm_ex_scale_kernelILi32ELi32E19rocblas_complex_numIdEPKPKS2_PKPS2_EEviiT1_T2_lllT3_llli
		.amdhsa_group_segment_fixed_size 0
		.amdhsa_private_segment_fixed_size 0
		.amdhsa_kernarg_size 92
		.amdhsa_user_sgpr_count 6
		.amdhsa_user_sgpr_private_segment_buffer 1
		.amdhsa_user_sgpr_dispatch_ptr 0
		.amdhsa_user_sgpr_queue_ptr 0
		.amdhsa_user_sgpr_kernarg_segment_ptr 1
		.amdhsa_user_sgpr_dispatch_id 0
		.amdhsa_user_sgpr_flat_scratch_init 0
		.amdhsa_user_sgpr_private_segment_size 0
		.amdhsa_wavefront_size32 1
		.amdhsa_uses_dynamic_stack 0
		.amdhsa_system_sgpr_private_segment_wavefront_offset 0
		.amdhsa_system_sgpr_workgroup_id_x 1
		.amdhsa_system_sgpr_workgroup_id_y 1
		.amdhsa_system_sgpr_workgroup_id_z 1
		.amdhsa_system_sgpr_workgroup_info 0
		.amdhsa_system_vgpr_workitem_id 1
		.amdhsa_next_free_vgpr 11
		.amdhsa_next_free_sgpr 23
		.amdhsa_reserve_vcc 1
		.amdhsa_reserve_flat_scratch 0
		.amdhsa_float_round_mode_32 0
		.amdhsa_float_round_mode_16_64 0
		.amdhsa_float_denorm_mode_32 3
		.amdhsa_float_denorm_mode_16_64 3
		.amdhsa_dx10_clamp 1
		.amdhsa_ieee_mode 1
		.amdhsa_fp16_overflow 0
		.amdhsa_workgroup_processor_mode 1
		.amdhsa_memory_ordered 1
		.amdhsa_forward_progress 1
		.amdhsa_shared_vgpr_count 0
		.amdhsa_exception_fp_ieee_invalid_op 0
		.amdhsa_exception_fp_denorm_src 0
		.amdhsa_exception_fp_ieee_div_zero 0
		.amdhsa_exception_fp_ieee_overflow 0
		.amdhsa_exception_fp_ieee_underflow 0
		.amdhsa_exception_fp_ieee_inexact 0
		.amdhsa_exception_int_div_zero 0
	.end_amdhsa_kernel
	.section	.text._ZN12_GLOBAL__N_120gemm_ex_scale_kernelILi32ELi32E19rocblas_complex_numIdEPKPKS2_PKPS2_EEviiT1_T2_lllT3_llli,"axG",@progbits,_ZN12_GLOBAL__N_120gemm_ex_scale_kernelILi32ELi32E19rocblas_complex_numIdEPKPKS2_PKPS2_EEviiT1_T2_lllT3_llli,comdat
.Lfunc_end262:
	.size	_ZN12_GLOBAL__N_120gemm_ex_scale_kernelILi32ELi32E19rocblas_complex_numIdEPKPKS2_PKPS2_EEviiT1_T2_lllT3_llli, .Lfunc_end262-_ZN12_GLOBAL__N_120gemm_ex_scale_kernelILi32ELi32E19rocblas_complex_numIdEPKPKS2_PKPS2_EEviiT1_T2_lllT3_llli
                                        ; -- End function
	.set _ZN12_GLOBAL__N_120gemm_ex_scale_kernelILi32ELi32E19rocblas_complex_numIdEPKPKS2_PKPS2_EEviiT1_T2_lllT3_llli.num_vgpr, 11
	.set _ZN12_GLOBAL__N_120gemm_ex_scale_kernelILi32ELi32E19rocblas_complex_numIdEPKPKS2_PKPS2_EEviiT1_T2_lllT3_llli.num_agpr, 0
	.set _ZN12_GLOBAL__N_120gemm_ex_scale_kernelILi32ELi32E19rocblas_complex_numIdEPKPKS2_PKPS2_EEviiT1_T2_lllT3_llli.numbered_sgpr, 23
	.set _ZN12_GLOBAL__N_120gemm_ex_scale_kernelILi32ELi32E19rocblas_complex_numIdEPKPKS2_PKPS2_EEviiT1_T2_lllT3_llli.num_named_barrier, 0
	.set _ZN12_GLOBAL__N_120gemm_ex_scale_kernelILi32ELi32E19rocblas_complex_numIdEPKPKS2_PKPS2_EEviiT1_T2_lllT3_llli.private_seg_size, 0
	.set _ZN12_GLOBAL__N_120gemm_ex_scale_kernelILi32ELi32E19rocblas_complex_numIdEPKPKS2_PKPS2_EEviiT1_T2_lllT3_llli.uses_vcc, 1
	.set _ZN12_GLOBAL__N_120gemm_ex_scale_kernelILi32ELi32E19rocblas_complex_numIdEPKPKS2_PKPS2_EEviiT1_T2_lllT3_llli.uses_flat_scratch, 0
	.set _ZN12_GLOBAL__N_120gemm_ex_scale_kernelILi32ELi32E19rocblas_complex_numIdEPKPKS2_PKPS2_EEviiT1_T2_lllT3_llli.has_dyn_sized_stack, 0
	.set _ZN12_GLOBAL__N_120gemm_ex_scale_kernelILi32ELi32E19rocblas_complex_numIdEPKPKS2_PKPS2_EEviiT1_T2_lllT3_llli.has_recursion, 0
	.set _ZN12_GLOBAL__N_120gemm_ex_scale_kernelILi32ELi32E19rocblas_complex_numIdEPKPKS2_PKPS2_EEviiT1_T2_lllT3_llli.has_indirect_call, 0
	.section	.AMDGPU.csdata,"",@progbits
; Kernel info:
; codeLenInByte = 436
; TotalNumSgprs: 25
; NumVgprs: 11
; ScratchSize: 0
; MemoryBound: 0
; FloatMode: 240
; IeeeMode: 1
; LDSByteSize: 0 bytes/workgroup (compile time only)
; SGPRBlocks: 0
; VGPRBlocks: 1
; NumSGPRsForWavesPerEU: 25
; NumVGPRsForWavesPerEU: 11
; Occupancy: 16
; WaveLimiterHint : 1
; COMPUTE_PGM_RSRC2:SCRATCH_EN: 0
; COMPUTE_PGM_RSRC2:USER_SGPR: 6
; COMPUTE_PGM_RSRC2:TRAP_HANDLER: 0
; COMPUTE_PGM_RSRC2:TGID_X_EN: 1
; COMPUTE_PGM_RSRC2:TGID_Y_EN: 1
; COMPUTE_PGM_RSRC2:TGID_Z_EN: 1
; COMPUTE_PGM_RSRC2:TIDIG_COMP_CNT: 1
	.section	.text._ZN12_GLOBAL__N_127rocblas_gemm_batched_kernelI19rocblas_complex_numIdELi16ELi16ELi64ELi64ELi4ELi64ELi4ELi4ELi64ELc78ELc78EKPKS2_S5_KPS2_EEvlllT_PT11_llSA_llS8_PT12_llPT13_lli,"axG",@progbits,_ZN12_GLOBAL__N_127rocblas_gemm_batched_kernelI19rocblas_complex_numIdELi16ELi16ELi64ELi64ELi4ELi64ELi4ELi4ELi64ELc78ELc78EKPKS2_S5_KPS2_EEvlllT_PT11_llSA_llS8_PT12_llPT13_lli,comdat
	.globl	_ZN12_GLOBAL__N_127rocblas_gemm_batched_kernelI19rocblas_complex_numIdELi16ELi16ELi64ELi64ELi4ELi64ELi4ELi4ELi64ELc78ELc78EKPKS2_S5_KPS2_EEvlllT_PT11_llSA_llS8_PT12_llPT13_lli ; -- Begin function _ZN12_GLOBAL__N_127rocblas_gemm_batched_kernelI19rocblas_complex_numIdELi16ELi16ELi64ELi64ELi4ELi64ELi4ELi4ELi64ELc78ELc78EKPKS2_S5_KPS2_EEvlllT_PT11_llSA_llS8_PT12_llPT13_lli
	.p2align	8
	.type	_ZN12_GLOBAL__N_127rocblas_gemm_batched_kernelI19rocblas_complex_numIdELi16ELi16ELi64ELi64ELi4ELi64ELi4ELi4ELi64ELc78ELc78EKPKS2_S5_KPS2_EEvlllT_PT11_llSA_llS8_PT12_llPT13_lli,@function
_ZN12_GLOBAL__N_127rocblas_gemm_batched_kernelI19rocblas_complex_numIdELi16ELi16ELi64ELi64ELi4ELi64ELi4ELi4ELi64ELc78ELc78EKPKS2_S5_KPS2_EEvlllT_PT11_llSA_llS8_PT12_llPT13_lli: ; @_ZN12_GLOBAL__N_127rocblas_gemm_batched_kernelI19rocblas_complex_numIdELi16ELi16ELi64ELi64ELi4ELi64ELi4ELi4ELi64ELc78ELc78EKPKS2_S5_KPS2_EEvlllT_PT11_llSA_llS8_PT12_llPT13_lli
; %bb.0:
	s_clause 0x1
	s_load_dwordx16 s[12:27], s[4:5], 0x50
	s_load_dwordx16 s[36:51], s[4:5], 0x10
	s_mov_b32 s9, 0
	s_mov_b32 s28, s7
	s_lshl_b64 s[10:11], s[8:9], 3
	s_waitcnt lgkmcnt(0)
	s_add_u32 s0, s18, s10
	s_addc_u32 s1, s19, s11
	s_add_u32 s2, s24, s10
	s_addc_u32 s3, s25, s11
	s_load_dwordx2 s[0:1], s[0:1], 0x0
	s_load_dwordx2 s[2:3], s[2:3], 0x0
	v_cmp_lt_i64_e64 s8, s[36:37], 1
	s_ashr_i32 s7, s6, 31
	s_ashr_i32 s29, s28, 31
	s_lshl_b64 s[6:7], s[6:7], 6
	s_and_b32 vcc_lo, exec_lo, s8
	s_lshl_b64 s[8:9], s[28:29], 6
	s_cbranch_vccnz .LBB263_3
; %bb.1:
	v_lshl_add_u32 v4, v1, 4, v0
	v_and_b32_e32 v5, 3, v0
	s_add_u32 s18, s42, s10
	s_addc_u32 s19, s43, s11
	s_add_u32 s10, s48, s10
	v_lshrrev_b32_e32 v6, 2, v4
	v_lshrrev_b32_e32 v8, 6, v4
	v_and_b32_e32 v10, 63, v4
	v_lshlrev_b32_e32 v11, 4, v5
	s_load_dwordx2 s[18:19], s[18:19], 0x0
	v_add_co_u32 v7, s24, v6, s8
	v_mad_u64_u32 v[2:3], null, s44, v8, s[6:7]
	v_add_co_ci_u32_e64 v9, null, 0, s9, s24
	v_mad_u64_u32 v[4:5], null, s50, v7, 0
	v_mul_lo_u32 v12, s51, v7
	v_mul_lo_u32 v9, s50, v9
	v_lshl_or_b32 v14, v6, 6, v11
	s_addc_u32 s11, s49, s11
	v_add_co_u32 v2, vcc_lo, v2, v10
	v_mad_u64_u32 v[6:7], null, s45, v8, v[3:4]
	s_load_dwordx2 s[10:11], s[10:11], 0x0
	v_add3_u32 v5, v5, v9, v12
	s_lshl_b64 s[24:25], s[46:47], 4
	v_lshlrev_b32_e32 v13, 4, v10
	s_waitcnt lgkmcnt(0)
	s_add_u32 s18, s18, s24
	s_addc_u32 s19, s19, s25
	v_add_co_ci_u32_e64 v3, null, 0, v6, vcc_lo
	v_lshlrev_b64 v[4:5], 4, v[4:5]
	s_lshl_b64 s[12:13], s[12:13], 4
	v_lshl_or_b32 v90, v8, 10, v13
	v_lshlrev_b64 v[2:3], 4, v[2:3]
	v_add_nc_u32_e32 v91, 0x1000, v14
	v_mov_b32_e32 v76, 0
	v_add_co_u32 v4, vcc_lo, v4, s12
	v_add_co_ci_u32_e64 v5, null, s13, v5, vcc_lo
	v_add_co_u32 v26, vcc_lo, s18, v2
	v_add_co_ci_u32_e64 v27, null, s19, v3, vcc_lo
	;; [unrolled: 2-line block ×3, first 2 shown]
	v_mov_b32_e32 v74, 0
	v_add_co_u32 v28, vcc_lo, s10, v2
	v_mov_b32_e32 v12, 0
	v_mov_b32_e32 v10, 0
	;; [unrolled: 1-line block ×30, first 2 shown]
	v_lshlrev_b32_e32 v92, 4, v0
	v_lshl_add_u32 v93, v1, 6, 0x1000
	v_mov_b32_e32 v77, 0
	v_mov_b32_e32 v75, 0
	;; [unrolled: 1-line block ×32, first 2 shown]
	v_add_co_ci_u32_e64 v29, null, s11, v3, vcc_lo
	s_lshl_b64 s[10:11], s[44:45], 6
	s_mov_b64 s[12:13], 0
.LBB263_2:                              ; =>This Inner Loop Header: Depth=1
	flat_load_dwordx4 v[2:5], v[26:27]
	s_add_u32 s12, s12, 4
	s_addc_u32 s13, s13, 0
	v_add_co_u32 v26, vcc_lo, v26, s10
	v_cmp_lt_i64_e64 s18, s[12:13], s[36:37]
	v_add_co_ci_u32_e64 v27, null, s11, v27, vcc_lo
	s_waitcnt vmcnt(0) lgkmcnt(0)
	ds_write2_b64 v90, v[2:3], v[4:5] offset1:1
	flat_load_dwordx4 v[2:5], v[28:29]
	v_add_co_u32 v28, vcc_lo, v28, 64
	v_add_co_ci_u32_e64 v29, null, 0, v29, vcc_lo
	s_and_b32 vcc_lo, exec_lo, s18
	s_waitcnt vmcnt(0) lgkmcnt(0)
	ds_write2_b64 v91, v[2:3], v[4:5] offset1:1
	s_waitcnt lgkmcnt(0)
	s_barrier
	buffer_gl0_inv
	ds_read_b128 v[78:81], v93
	ds_read_b128 v[82:85], v93 offset:16
	ds_read_b128 v[6:9], v93 offset:32
	;; [unrolled: 1-line block ×3, first 2 shown]
	ds_read_b128 v[86:89], v92
	s_waitcnt lgkmcnt(0)
	v_mul_f64 v[94:95], v[80:81], v[88:89]
	v_mul_f64 v[96:97], v[78:79], v[88:89]
	v_fma_f64 v[94:95], v[78:79], v[86:87], -v[94:95]
	v_fma_f64 v[96:97], v[80:81], v[86:87], v[96:97]
	v_add_f64 v[98:99], v[48:49], v[94:95]
	v_add_f64 v[100:101], v[96:97], v[52:53]
	ds_read_b128 v[94:97], v92 offset:256
	s_waitcnt lgkmcnt(0)
	v_mul_f64 v[48:49], v[80:81], v[96:97]
	v_mul_f64 v[52:53], v[78:79], v[96:97]
	v_fma_f64 v[48:49], v[78:79], v[94:95], -v[48:49]
	v_fma_f64 v[52:53], v[80:81], v[94:95], v[52:53]
	v_add_f64 v[102:103], v[34:35], v[48:49]
	v_add_f64 v[104:105], v[52:53], v[36:37]
	ds_read_b128 v[34:37], v92 offset:512
	s_waitcnt lgkmcnt(0)
	v_mul_f64 v[48:49], v[80:81], v[36:37]
	v_mul_f64 v[52:53], v[78:79], v[36:37]
	v_fma_f64 v[48:49], v[78:79], v[34:35], -v[48:49]
	v_fma_f64 v[52:53], v[80:81], v[34:35], v[52:53]
	v_add_f64 v[106:107], v[30:31], v[48:49]
	v_add_f64 v[108:109], v[52:53], v[32:33]
	ds_read_b128 v[30:33], v92 offset:768
	s_waitcnt lgkmcnt(0)
	v_mul_f64 v[48:49], v[80:81], v[32:33]
	v_mul_f64 v[52:53], v[78:79], v[32:33]
	v_fma_f64 v[48:49], v[78:79], v[30:31], -v[48:49]
	v_fma_f64 v[52:53], v[80:81], v[30:31], v[52:53]
	v_add_f64 v[78:79], v[22:23], v[48:49]
	v_add_f64 v[80:81], v[52:53], v[24:25]
	ds_read_b128 v[22:25], v93 offset:1024
	s_waitcnt lgkmcnt(0)
	v_mul_f64 v[48:49], v[24:25], v[88:89]
	v_mul_f64 v[52:53], v[22:23], v[88:89]
	v_fma_f64 v[48:49], v[22:23], v[86:87], -v[48:49]
	v_fma_f64 v[52:53], v[24:25], v[86:87], v[52:53]
	v_add_f64 v[70:71], v[70:71], v[48:49]
	v_mul_f64 v[48:49], v[24:25], v[96:97]
	v_add_f64 v[72:73], v[52:53], v[72:73]
	v_mul_f64 v[52:53], v[22:23], v[96:97]
	v_fma_f64 v[48:49], v[22:23], v[94:95], -v[48:49]
	v_fma_f64 v[52:53], v[24:25], v[94:95], v[52:53]
	v_add_f64 v[110:111], v[62:63], v[48:49]
	v_mul_f64 v[48:49], v[24:25], v[36:37]
	v_add_f64 v[112:113], v[52:53], v[64:65]
	;; [unrolled: 6-line block ×3, first 2 shown]
	v_fma_f64 v[48:49], v[22:23], v[30:31], -v[48:49]
	v_mul_f64 v[22:23], v[22:23], v[32:33]
	v_add_f64 v[118:119], v[42:43], v[48:49]
	v_fma_f64 v[22:23], v[24:25], v[30:31], v[22:23]
	v_add_f64 v[120:121], v[22:23], v[46:47]
	ds_read_b128 v[22:25], v93 offset:2048
	s_waitcnt lgkmcnt(0)
	v_mul_f64 v[42:43], v[24:25], v[88:89]
	v_mul_f64 v[46:47], v[22:23], v[88:89]
	v_fma_f64 v[42:43], v[22:23], v[86:87], -v[42:43]
	v_fma_f64 v[46:47], v[24:25], v[86:87], v[46:47]
	v_add_f64 v[122:123], v[66:67], v[42:43]
	v_mul_f64 v[42:43], v[24:25], v[96:97]
	v_add_f64 v[124:125], v[46:47], v[68:69]
	v_mul_f64 v[46:47], v[22:23], v[96:97]
	v_fma_f64 v[42:43], v[22:23], v[94:95], -v[42:43]
	v_fma_f64 v[46:47], v[24:25], v[94:95], v[46:47]
	v_add_f64 v[126:127], v[56:57], v[42:43]
	v_mul_f64 v[42:43], v[24:25], v[36:37]
	v_add_f64 v[128:129], v[46:47], v[60:61]
	;; [unrolled: 6-line block ×3, first 2 shown]
	v_fma_f64 v[42:43], v[22:23], v[30:31], -v[42:43]
	v_mul_f64 v[22:23], v[22:23], v[32:33]
	v_add_f64 v[134:135], v[38:39], v[42:43]
	v_fma_f64 v[22:23], v[24:25], v[30:31], v[22:23]
	v_add_f64 v[136:137], v[22:23], v[40:41]
	ds_read_b128 v[22:25], v93 offset:3072
	s_waitcnt lgkmcnt(0)
	v_mul_f64 v[38:39], v[24:25], v[88:89]
	v_mul_f64 v[40:41], v[22:23], v[88:89]
	v_fma_f64 v[38:39], v[22:23], v[86:87], -v[38:39]
	v_fma_f64 v[40:41], v[24:25], v[86:87], v[40:41]
	v_add_f64 v[58:59], v[18:19], v[38:39]
	v_add_f64 v[60:61], v[40:41], v[20:21]
	v_mul_f64 v[18:19], v[24:25], v[96:97]
	v_mul_f64 v[20:21], v[22:23], v[96:97]
	v_fma_f64 v[18:19], v[22:23], v[94:95], -v[18:19]
	v_fma_f64 v[20:21], v[24:25], v[94:95], v[20:21]
	v_add_f64 v[54:55], v[14:15], v[18:19]
	v_add_f64 v[56:57], v[20:21], v[16:17]
	v_mul_f64 v[14:15], v[24:25], v[36:37]
	v_mul_f64 v[16:17], v[22:23], v[36:37]
	ds_read_b128 v[18:21], v92 offset:1280
	v_fma_f64 v[14:15], v[22:23], v[34:35], -v[14:15]
	v_fma_f64 v[16:17], v[24:25], v[34:35], v[16:17]
	v_add_f64 v[50:51], v[10:11], v[14:15]
	v_add_f64 v[52:53], v[16:17], v[12:13]
	v_mul_f64 v[10:11], v[24:25], v[32:33]
	v_mul_f64 v[12:13], v[22:23], v[32:33]
	ds_read_b128 v[14:17], v92 offset:1536
	v_fma_f64 v[10:11], v[22:23], v[30:31], -v[10:11]
	v_fma_f64 v[12:13], v[24:25], v[30:31], v[12:13]
	ds_read_b128 v[22:25], v92 offset:1024
	v_add_f64 v[46:47], v[74:75], v[10:11]
	v_add_f64 v[48:49], v[12:13], v[76:77]
	s_waitcnt lgkmcnt(0)
	v_mul_f64 v[10:11], v[84:85], v[24:25]
	v_mul_f64 v[12:13], v[82:83], v[24:25]
	ds_read_b128 v[74:77], v93 offset:1040
	v_fma_f64 v[10:11], v[82:83], v[22:23], -v[10:11]
	v_fma_f64 v[12:13], v[84:85], v[22:23], v[12:13]
	s_waitcnt lgkmcnt(0)
	v_mul_f64 v[62:63], v[76:77], v[24:25]
	v_mul_f64 v[64:65], v[74:75], v[24:25]
	;; [unrolled: 1-line block ×4, first 2 shown]
	v_add_f64 v[42:43], v[98:99], v[10:11]
	v_add_f64 v[44:45], v[12:13], v[100:101]
	v_mul_f64 v[10:11], v[84:85], v[20:21]
	v_mul_f64 v[12:13], v[82:83], v[20:21]
	v_fma_f64 v[62:63], v[74:75], v[22:23], -v[62:63]
	v_fma_f64 v[64:65], v[76:77], v[22:23], v[64:65]
	v_fma_f64 v[66:67], v[74:75], v[18:19], -v[66:67]
	v_fma_f64 v[68:69], v[76:77], v[18:19], v[68:69]
	;; [unrolled: 2-line block ×3, first 2 shown]
	v_add_f64 v[62:63], v[70:71], v[62:63]
	v_mul_f64 v[70:71], v[76:77], v[16:17]
	v_add_f64 v[64:65], v[64:65], v[72:73]
	v_mul_f64 v[72:73], v[74:75], v[16:17]
	v_add_f64 v[66:67], v[110:111], v[66:67]
	v_add_f64 v[68:69], v[68:69], v[112:113]
	;; [unrolled: 1-line block ×4, first 2 shown]
	v_mul_f64 v[10:11], v[84:85], v[16:17]
	v_mul_f64 v[12:13], v[82:83], v[16:17]
	v_fma_f64 v[70:71], v[74:75], v[14:15], -v[70:71]
	v_fma_f64 v[72:73], v[76:77], v[14:15], v[72:73]
	v_fma_f64 v[10:11], v[82:83], v[14:15], -v[10:11]
	v_fma_f64 v[12:13], v[84:85], v[14:15], v[12:13]
	v_add_f64 v[70:71], v[114:115], v[70:71]
	v_add_f64 v[72:73], v[72:73], v[116:117]
	;; [unrolled: 1-line block ×4, first 2 shown]
	ds_read_b128 v[10:13], v92 offset:1792
	s_waitcnt lgkmcnt(0)
	v_mul_f64 v[30:31], v[84:85], v[12:13]
	v_mul_f64 v[32:33], v[82:83], v[12:13]
	v_fma_f64 v[30:31], v[82:83], v[10:11], -v[30:31]
	v_fma_f64 v[32:33], v[84:85], v[10:11], v[32:33]
	v_add_f64 v[30:31], v[78:79], v[30:31]
	v_mul_f64 v[78:79], v[76:77], v[12:13]
	v_add_f64 v[32:33], v[32:33], v[80:81]
	v_fma_f64 v[78:79], v[74:75], v[10:11], -v[78:79]
	v_mul_f64 v[74:75], v[74:75], v[12:13]
	v_fma_f64 v[76:77], v[76:77], v[10:11], v[74:75]
	v_add_f64 v[74:75], v[118:119], v[78:79]
	ds_read_b128 v[78:81], v93 offset:2064
	s_waitcnt lgkmcnt(0)
	v_mul_f64 v[82:83], v[80:81], v[24:25]
	v_mul_f64 v[86:87], v[80:81], v[20:21]
	;; [unrolled: 1-line block ×7, first 2 shown]
	v_add_f64 v[76:77], v[76:77], v[120:121]
	v_fma_f64 v[82:83], v[78:79], v[22:23], -v[82:83]
	v_fma_f64 v[86:87], v[78:79], v[18:19], -v[86:87]
	;; [unrolled: 1-line block ×4, first 2 shown]
	v_mul_f64 v[78:79], v[78:79], v[12:13]
	v_fma_f64 v[84:85], v[80:81], v[22:23], v[84:85]
	v_fma_f64 v[88:89], v[80:81], v[18:19], v[88:89]
	;; [unrolled: 1-line block ×3, first 2 shown]
	v_add_f64 v[82:83], v[122:123], v[82:83]
	v_add_f64 v[86:87], v[126:127], v[86:87]
	;; [unrolled: 1-line block ×4, first 2 shown]
	v_fma_f64 v[78:79], v[80:81], v[10:11], v[78:79]
	v_add_f64 v[84:85], v[84:85], v[124:125]
	v_add_f64 v[88:89], v[88:89], v[128:129]
	v_add_f64 v[96:97], v[96:97], v[132:133]
	v_add_f64 v[100:101], v[78:79], v[136:137]
	ds_read_b128 v[78:81], v93 offset:3088
	s_waitcnt lgkmcnt(0)
	v_mul_f64 v[102:103], v[80:81], v[24:25]
	v_mul_f64 v[24:25], v[78:79], v[24:25]
	v_fma_f64 v[102:103], v[78:79], v[22:23], -v[102:103]
	v_fma_f64 v[22:23], v[80:81], v[22:23], v[24:25]
	v_add_f64 v[58:59], v[58:59], v[102:103]
	v_add_f64 v[60:61], v[22:23], v[60:61]
	v_mul_f64 v[22:23], v[80:81], v[20:21]
	v_mul_f64 v[20:21], v[78:79], v[20:21]
	v_fma_f64 v[22:23], v[78:79], v[18:19], -v[22:23]
	v_fma_f64 v[18:19], v[80:81], v[18:19], v[20:21]
	v_add_f64 v[54:55], v[54:55], v[22:23]
	v_add_f64 v[56:57], v[18:19], v[56:57]
	;; [unrolled: 6-line block ×4, first 2 shown]
	ds_read_b128 v[10:13], v92 offset:2048
	s_waitcnt lgkmcnt(0)
	v_mul_f64 v[14:15], v[8:9], v[12:13]
	v_mul_f64 v[16:17], v[6:7], v[12:13]
	v_fma_f64 v[14:15], v[6:7], v[10:11], -v[14:15]
	v_fma_f64 v[16:17], v[8:9], v[10:11], v[16:17]
	v_add_f64 v[42:43], v[42:43], v[14:15]
	v_add_f64 v[44:45], v[16:17], v[44:45]
	ds_read_b128 v[14:17], v92 offset:2304
	s_waitcnt lgkmcnt(0)
	v_mul_f64 v[18:19], v[8:9], v[16:17]
	v_mul_f64 v[20:21], v[6:7], v[16:17]
	v_fma_f64 v[18:19], v[6:7], v[14:15], -v[18:19]
	v_fma_f64 v[20:21], v[8:9], v[14:15], v[20:21]
	v_add_f64 v[38:39], v[38:39], v[18:19]
	v_add_f64 v[40:41], v[20:21], v[40:41]
	;; [unrolled: 8-line block ×3, first 2 shown]
	ds_read_b128 v[22:25], v92 offset:2816
	s_waitcnt lgkmcnt(0)
	v_mul_f64 v[34:35], v[8:9], v[24:25]
	v_fma_f64 v[34:35], v[6:7], v[22:23], -v[34:35]
	v_mul_f64 v[6:7], v[6:7], v[24:25]
	v_add_f64 v[106:107], v[30:31], v[34:35]
	v_fma_f64 v[6:7], v[8:9], v[22:23], v[6:7]
	v_add_f64 v[108:109], v[6:7], v[32:33]
	ds_read_b128 v[6:9], v93 offset:1056
	s_waitcnt lgkmcnt(0)
	v_mul_f64 v[30:31], v[8:9], v[12:13]
	v_mul_f64 v[32:33], v[6:7], v[12:13]
	v_fma_f64 v[30:31], v[6:7], v[10:11], -v[30:31]
	v_fma_f64 v[32:33], v[8:9], v[10:11], v[32:33]
	v_add_f64 v[62:63], v[62:63], v[30:31]
	v_mul_f64 v[30:31], v[8:9], v[16:17]
	v_add_f64 v[64:65], v[32:33], v[64:65]
	v_mul_f64 v[32:33], v[6:7], v[16:17]
	v_fma_f64 v[30:31], v[6:7], v[14:15], -v[30:31]
	v_fma_f64 v[32:33], v[8:9], v[14:15], v[32:33]
	v_add_f64 v[66:67], v[66:67], v[30:31]
	v_mul_f64 v[30:31], v[8:9], v[20:21]
	v_add_f64 v[68:69], v[32:33], v[68:69]
	;; [unrolled: 6-line block ×3, first 2 shown]
	v_fma_f64 v[30:31], v[6:7], v[22:23], -v[30:31]
	v_mul_f64 v[6:7], v[6:7], v[24:25]
	v_add_f64 v[114:115], v[74:75], v[30:31]
	v_fma_f64 v[6:7], v[8:9], v[22:23], v[6:7]
	v_add_f64 v[116:117], v[6:7], v[76:77]
	ds_read_b128 v[6:9], v93 offset:2080
	s_waitcnt lgkmcnt(0)
	v_mul_f64 v[30:31], v[8:9], v[12:13]
	v_mul_f64 v[32:33], v[6:7], v[12:13]
	v_fma_f64 v[30:31], v[6:7], v[10:11], -v[30:31]
	v_fma_f64 v[32:33], v[8:9], v[10:11], v[32:33]
	v_add_f64 v[118:119], v[82:83], v[30:31]
	v_mul_f64 v[30:31], v[8:9], v[16:17]
	v_add_f64 v[120:121], v[32:33], v[84:85]
	v_mul_f64 v[32:33], v[6:7], v[16:17]
	v_fma_f64 v[30:31], v[6:7], v[14:15], -v[30:31]
	v_fma_f64 v[32:33], v[8:9], v[14:15], v[32:33]
	v_add_f64 v[122:123], v[86:87], v[30:31]
	v_mul_f64 v[30:31], v[8:9], v[20:21]
	v_add_f64 v[124:125], v[32:33], v[88:89]
	v_mul_f64 v[32:33], v[6:7], v[20:21]
	v_fma_f64 v[30:31], v[6:7], v[18:19], -v[30:31]
	v_fma_f64 v[32:33], v[8:9], v[18:19], v[32:33]
	v_add_f64 v[94:95], v[94:95], v[30:31]
	v_mul_f64 v[30:31], v[8:9], v[24:25]
	v_add_f64 v[96:97], v[32:33], v[96:97]
	v_fma_f64 v[30:31], v[6:7], v[22:23], -v[30:31]
	v_mul_f64 v[6:7], v[6:7], v[24:25]
	v_add_f64 v[98:99], v[98:99], v[30:31]
	v_fma_f64 v[6:7], v[8:9], v[22:23], v[6:7]
	v_add_f64 v[100:101], v[6:7], v[100:101]
	ds_read_b128 v[6:9], v93 offset:3104
	s_waitcnt lgkmcnt(0)
	v_mul_f64 v[30:31], v[8:9], v[12:13]
	v_mul_f64 v[12:13], v[6:7], v[12:13]
	v_fma_f64 v[30:31], v[6:7], v[10:11], -v[30:31]
	v_fma_f64 v[10:11], v[8:9], v[10:11], v[12:13]
	v_mul_f64 v[12:13], v[6:7], v[16:17]
	v_add_f64 v[86:87], v[58:59], v[30:31]
	v_add_f64 v[88:89], v[10:11], v[60:61]
	v_mul_f64 v[10:11], v[8:9], v[16:17]
	v_fma_f64 v[12:13], v[8:9], v[14:15], v[12:13]
	v_fma_f64 v[10:11], v[6:7], v[14:15], -v[10:11]
	v_add_f64 v[84:85], v[12:13], v[56:57]
	v_mul_f64 v[12:13], v[6:7], v[20:21]
	ds_read_b128 v[14:17], v92 offset:3328
	v_add_f64 v[82:83], v[54:55], v[10:11]
	v_mul_f64 v[10:11], v[8:9], v[20:21]
	v_fma_f64 v[12:13], v[8:9], v[18:19], v[12:13]
	v_fma_f64 v[10:11], v[6:7], v[18:19], -v[10:11]
	ds_read_b128 v[18:21], v92 offset:3072
	v_add_f64 v[80:81], v[12:13], v[52:53]
	v_add_f64 v[78:79], v[50:51], v[10:11]
	v_mul_f64 v[10:11], v[8:9], v[24:25]
	v_fma_f64 v[10:11], v[6:7], v[22:23], -v[10:11]
	v_mul_f64 v[6:7], v[6:7], v[24:25]
	v_add_f64 v[74:75], v[46:47], v[10:11]
	v_fma_f64 v[6:7], v[8:9], v[22:23], v[6:7]
	s_waitcnt lgkmcnt(0)
	v_mul_f64 v[8:9], v[2:3], v[20:21]
	ds_read_b128 v[10:13], v92 offset:3584
	v_add_f64 v[76:77], v[6:7], v[48:49]
	v_mul_f64 v[6:7], v[4:5], v[20:21]
	v_fma_f64 v[8:9], v[4:5], v[18:19], v[8:9]
	v_fma_f64 v[6:7], v[2:3], v[18:19], -v[6:7]
	v_add_f64 v[52:53], v[8:9], v[44:45]
	v_mul_f64 v[8:9], v[2:3], v[16:17]
	v_add_f64 v[48:49], v[42:43], v[6:7]
	v_mul_f64 v[6:7], v[4:5], v[16:17]
	v_fma_f64 v[8:9], v[4:5], v[14:15], v[8:9]
	v_fma_f64 v[6:7], v[2:3], v[14:15], -v[6:7]
	v_add_f64 v[36:37], v[8:9], v[40:41]
	s_waitcnt lgkmcnt(0)
	v_mul_f64 v[8:9], v[2:3], v[12:13]
	v_add_f64 v[34:35], v[38:39], v[6:7]
	v_mul_f64 v[6:7], v[4:5], v[12:13]
	v_fma_f64 v[8:9], v[4:5], v[10:11], v[8:9]
	v_fma_f64 v[6:7], v[2:3], v[10:11], -v[6:7]
	v_add_f64 v[32:33], v[8:9], v[104:105]
	v_add_f64 v[30:31], v[102:103], v[6:7]
	ds_read_b128 v[6:9], v92 offset:3840
	s_waitcnt lgkmcnt(0)
	v_mul_f64 v[22:23], v[4:5], v[8:9]
	v_fma_f64 v[22:23], v[2:3], v[6:7], -v[22:23]
	v_mul_f64 v[2:3], v[2:3], v[8:9]
	v_add_f64 v[22:23], v[106:107], v[22:23]
	v_fma_f64 v[2:3], v[4:5], v[6:7], v[2:3]
	v_add_f64 v[24:25], v[2:3], v[108:109]
	ds_read_b128 v[2:5], v93 offset:1072
	s_waitcnt lgkmcnt(0)
	v_mul_f64 v[38:39], v[4:5], v[20:21]
	v_mul_f64 v[40:41], v[2:3], v[20:21]
	v_fma_f64 v[38:39], v[2:3], v[18:19], -v[38:39]
	v_fma_f64 v[40:41], v[4:5], v[18:19], v[40:41]
	v_add_f64 v[70:71], v[62:63], v[38:39]
	v_mul_f64 v[38:39], v[4:5], v[16:17]
	v_add_f64 v[72:73], v[40:41], v[64:65]
	v_mul_f64 v[40:41], v[2:3], v[16:17]
	v_fma_f64 v[38:39], v[2:3], v[14:15], -v[38:39]
	v_fma_f64 v[40:41], v[4:5], v[14:15], v[40:41]
	v_add_f64 v[62:63], v[66:67], v[38:39]
	v_mul_f64 v[38:39], v[4:5], v[12:13]
	v_add_f64 v[64:65], v[40:41], v[68:69]
	;; [unrolled: 6-line block ×3, first 2 shown]
	v_fma_f64 v[38:39], v[2:3], v[6:7], -v[38:39]
	v_mul_f64 v[2:3], v[2:3], v[8:9]
	v_add_f64 v[42:43], v[114:115], v[38:39]
	v_fma_f64 v[2:3], v[4:5], v[6:7], v[2:3]
	v_add_f64 v[46:47], v[2:3], v[116:117]
	ds_read_b128 v[2:5], v93 offset:2096
	s_waitcnt lgkmcnt(0)
	v_mul_f64 v[38:39], v[4:5], v[20:21]
	v_mul_f64 v[40:41], v[2:3], v[20:21]
	v_fma_f64 v[38:39], v[2:3], v[18:19], -v[38:39]
	v_fma_f64 v[40:41], v[4:5], v[18:19], v[40:41]
	v_add_f64 v[66:67], v[118:119], v[38:39]
	v_mul_f64 v[38:39], v[4:5], v[16:17]
	v_add_f64 v[68:69], v[40:41], v[120:121]
	v_mul_f64 v[40:41], v[2:3], v[16:17]
	v_fma_f64 v[38:39], v[2:3], v[14:15], -v[38:39]
	v_fma_f64 v[40:41], v[4:5], v[14:15], v[40:41]
	v_add_f64 v[56:57], v[122:123], v[38:39]
	v_mul_f64 v[38:39], v[4:5], v[12:13]
	v_add_f64 v[60:61], v[40:41], v[124:125]
	;; [unrolled: 6-line block ×3, first 2 shown]
	v_fma_f64 v[38:39], v[2:3], v[6:7], -v[38:39]
	v_mul_f64 v[2:3], v[2:3], v[8:9]
	v_add_f64 v[38:39], v[98:99], v[38:39]
	v_fma_f64 v[2:3], v[4:5], v[6:7], v[2:3]
	v_add_f64 v[40:41], v[2:3], v[100:101]
	ds_read_b128 v[2:5], v93 offset:3120
	s_waitcnt lgkmcnt(0)
	s_barrier
	buffer_gl0_inv
	v_mul_f64 v[94:95], v[4:5], v[20:21]
	v_mul_f64 v[20:21], v[2:3], v[20:21]
	v_fma_f64 v[94:95], v[2:3], v[18:19], -v[94:95]
	v_fma_f64 v[20:21], v[4:5], v[18:19], v[20:21]
	v_add_f64 v[18:19], v[86:87], v[94:95]
	v_mul_f64 v[86:87], v[4:5], v[16:17]
	v_mul_f64 v[16:17], v[2:3], v[16:17]
	v_add_f64 v[20:21], v[20:21], v[88:89]
	v_fma_f64 v[86:87], v[2:3], v[14:15], -v[86:87]
	v_fma_f64 v[16:17], v[4:5], v[14:15], v[16:17]
	v_add_f64 v[14:15], v[82:83], v[86:87]
	v_mul_f64 v[82:83], v[4:5], v[12:13]
	v_mul_f64 v[12:13], v[2:3], v[12:13]
	v_add_f64 v[16:17], v[16:17], v[84:85]
	v_fma_f64 v[82:83], v[2:3], v[10:11], -v[82:83]
	v_fma_f64 v[12:13], v[4:5], v[10:11], v[12:13]
	v_add_f64 v[10:11], v[78:79], v[82:83]
	v_mul_f64 v[78:79], v[4:5], v[8:9]
	v_add_f64 v[12:13], v[12:13], v[80:81]
	v_fma_f64 v[78:79], v[2:3], v[6:7], -v[78:79]
	v_mul_f64 v[2:3], v[2:3], v[8:9]
	v_add_f64 v[74:75], v[74:75], v[78:79]
	v_fma_f64 v[2:3], v[4:5], v[6:7], v[2:3]
	v_add_f64 v[76:77], v[2:3], v[76:77]
	s_cbranch_vccnz .LBB263_2
	s_branch .LBB263_4
.LBB263_3:
	v_mov_b32_e32 v48, 0
	v_mov_b32_e32 v52, 0
	;; [unrolled: 1-line block ×64, first 2 shown]
.LBB263_4:
	s_load_dwordx2 s[4:5], s[4:5], 0x90
	v_cmp_neq_f64_e64 s10, s[14:15], 0
	v_cmp_neq_f64_e64 s11, s[16:17], 0
	v_add_co_u32 v6, s8, s8, v1
	v_add_co_ci_u32_e64 v7, null, s9, 0, s8
	s_waitcnt lgkmcnt(0)
	s_lshl_b64 s[4:5], s[4:5], 4
	s_add_u32 s4, s2, s4
	s_addc_u32 s5, s3, s5
	v_add_co_u32 v0, s3, s6, v0
	v_add_co_ci_u32_e64 v1, null, s7, 0, s3
	s_or_b32 s2, s10, s11
	s_and_b32 vcc_lo, exec_lo, s2
	s_cbranch_vccnz .LBB263_6
; %bb.5:
	v_mul_f64 v[4:5], s[40:41], v[52:53]
	v_mul_f64 v[8:9], s[38:39], v[52:53]
	v_mul_lo_u32 v78, v7, s26
	v_mul_lo_u32 v79, v6, s27
	v_mad_u64_u32 v[2:3], null, v6, s26, 0
	v_mul_f64 v[26:27], s[40:41], v[36:37]
	v_mul_f64 v[28:29], s[38:39], v[36:37]
	;; [unrolled: 1-line block ×6, first 2 shown]
	v_add3_u32 v3, v3, v79, v78
	v_mul_f64 v[78:79], s[40:41], v[32:33]
	v_mul_f64 v[88:89], s[38:39], v[72:73]
	;; [unrolled: 1-line block ×4, first 2 shown]
	v_lshlrev_b64 v[2:3], 4, v[2:3]
	v_mul_f64 v[94:95], s[40:41], v[58:59]
	v_mul_f64 v[96:97], s[38:39], v[58:59]
	;; [unrolled: 1-line block ×4, first 2 shown]
	s_lshl_b64 s[2:3], s[26:27], 8
	v_add_co_u32 v104, vcc_lo, s4, v2
	v_add_co_ci_u32_e64 v105, null, s5, v3, vcc_lo
	v_fma_f64 v[2:3], s[38:39], v[48:49], -v[4:5]
	v_fma_f64 v[4:5], s[40:41], v[48:49], v[8:9]
	v_lshlrev_b64 v[8:9], 4, v[0:1]
	v_fma_f64 v[26:27], s[38:39], v[34:35], -v[26:27]
	v_fma_f64 v[28:29], s[40:41], v[34:35], v[28:29]
	v_fma_f64 v[80:81], s[40:41], v[30:31], v[80:81]
	v_fma_f64 v[82:83], s[38:39], v[22:23], -v[82:83]
	v_fma_f64 v[84:85], s[40:41], v[22:23], v[84:85]
	v_add_co_u32 v102, vcc_lo, v104, v8
	v_fma_f64 v[78:79], s[38:39], v[30:31], -v[78:79]
	v_add_co_ci_u32_e64 v103, null, v105, v9, vcc_lo
	v_fma_f64 v[86:87], s[38:39], v[70:71], -v[86:87]
	v_fma_f64 v[88:89], s[40:41], v[70:71], v[88:89]
	v_fma_f64 v[90:91], s[38:39], v[62:63], -v[90:91]
	v_fma_f64 v[92:93], s[40:41], v[62:63], v[92:93]
	;; [unrolled: 2-line block ×3, first 2 shown]
	v_add_co_u32 v106, vcc_lo, v104, s2
	v_add_co_ci_u32_e64 v107, null, s3, v105, vcc_lo
	flat_store_dwordx4 v[102:103], v[2:5]
	v_fma_f64 v[2:3], s[38:39], v[42:43], -v[98:99]
	v_fma_f64 v[4:5], s[40:41], v[42:43], v[100:101]
	v_add_co_u32 v104, vcc_lo, v106, v8
	v_add_co_ci_u32_e64 v105, null, v107, v9, vcc_lo
	flat_store_dwordx4 v[102:103], v[26:29] offset:256
	flat_store_dwordx4 v[102:103], v[78:81] offset:512
	;; [unrolled: 1-line block ×3, first 2 shown]
	flat_store_dwordx4 v[104:105], v[86:89]
	flat_store_dwordx4 v[104:105], v[90:93] offset:256
	flat_store_dwordx4 v[104:105], v[94:97] offset:512
	v_mul_f64 v[26:27], s[40:41], v[68:69]
	v_mul_f64 v[28:29], s[38:39], v[68:69]
	;; [unrolled: 1-line block ×12, first 2 shown]
	flat_store_dwordx4 v[104:105], v[2:5] offset:768
	v_mul_f64 v[2:3], s[40:41], v[76:77]
	v_mul_f64 v[4:5], s[38:39], v[76:77]
	;; [unrolled: 1-line block ×4, first 2 shown]
	v_add_co_u32 v104, vcc_lo, v106, s2
	v_add_co_ci_u32_e64 v105, null, s3, v107, vcc_lo
	v_fma_f64 v[26:27], s[38:39], v[66:67], -v[26:27]
	v_fma_f64 v[28:29], s[40:41], v[66:67], v[28:29]
	v_fma_f64 v[78:79], s[38:39], v[56:57], -v[78:79]
	v_fma_f64 v[80:81], s[40:41], v[56:57], v[80:81]
	;; [unrolled: 2-line block ×6, first 2 shown]
	v_add_co_u32 v106, vcc_lo, v104, s2
	v_fma_f64 v[102:103], s[38:39], v[74:75], -v[2:3]
	v_fma_f64 v[2:3], s[40:41], v[74:75], v[4:5]
	v_fma_f64 v[98:99], s[38:39], v[10:11], -v[98:99]
	v_fma_f64 v[100:101], s[40:41], v[10:11], v[100:101]
	v_add_co_ci_u32_e64 v107, null, s3, v105, vcc_lo
	v_add_co_u32 v4, vcc_lo, v104, v8
	v_add_co_ci_u32_e64 v5, null, v105, v9, vcc_lo
	v_add_co_u32 v8, vcc_lo, v106, v8
	v_add_co_ci_u32_e64 v9, null, v107, v9, vcc_lo
	flat_store_dwordx4 v[4:5], v[26:29]
	flat_store_dwordx4 v[4:5], v[78:81] offset:256
	flat_store_dwordx4 v[4:5], v[82:85] offset:512
	;; [unrolled: 1-line block ×3, first 2 shown]
	flat_store_dwordx4 v[8:9], v[90:93]
	v_add_co_u32 v4, vcc_lo, 0x300, v8
	v_add_co_ci_u32_e64 v5, null, 0, v9, vcc_lo
	flat_store_dwordx4 v[8:9], v[94:97] offset:256
	flat_store_dwordx4 v[8:9], v[98:101] offset:512
	flat_store_dwordx2 v[8:9], v[102:103] offset:768
	s_cbranch_execz .LBB263_7
	s_branch .LBB263_8
.LBB263_6:
                                        ; implicit-def: $vgpr2_vgpr3
                                        ; implicit-def: $vgpr4_vgpr5
.LBB263_7:
	v_mul_lo_u32 v4, v7, s20
	v_mul_lo_u32 v5, v6, s21
	v_mad_u64_u32 v[2:3], null, v6, s20, 0
	s_lshl_b64 s[2:3], s[22:23], 4
	v_mul_f64 v[26:27], s[40:41], v[52:53]
	s_add_u32 s0, s0, s2
	s_addc_u32 s1, s1, s3
	v_mul_f64 v[28:29], s[38:39], v[52:53]
	s_lshl_b64 s[2:3], s[26:27], 8
	v_add3_u32 v3, v3, v5, v4
	v_lshlrev_b64 v[4:5], 4, v[0:1]
	v_lshlrev_b64 v[2:3], 4, v[2:3]
	v_add_co_u32 v78, vcc_lo, s0, v2
	v_add_co_ci_u32_e64 v79, null, s1, v3, vcc_lo
	s_lshl_b64 s[0:1], s[20:21], 8
	v_add_co_u32 v8, vcc_lo, v78, v4
	v_add_co_ci_u32_e64 v9, null, v79, v5, vcc_lo
	v_fma_f64 v[26:27], s[38:39], v[48:49], -v[26:27]
	v_fma_f64 v[28:29], s[40:41], v[48:49], v[28:29]
	flat_load_dwordx4 v[0:3], v[8:9]
	s_waitcnt vmcnt(0) lgkmcnt(0)
	v_mul_f64 v[52:53], s[16:17], v[2:3]
	v_mul_f64 v[2:3], s[14:15], v[2:3]
	v_fma_f64 v[48:49], s[14:15], v[0:1], -v[52:53]
	v_fma_f64 v[2:3], s[16:17], v[0:1], v[2:3]
	v_mul_lo_u32 v0, v7, s26
	v_mul_lo_u32 v1, v6, s27
	v_mad_u64_u32 v[6:7], null, v6, s26, 0
	v_add3_u32 v7, v7, v1, v0
	v_lshlrev_b64 v[6:7], 4, v[6:7]
	v_add_f64 v[0:1], v[26:27], v[48:49]
	v_add_f64 v[2:3], v[28:29], v[2:3]
	v_add_co_u32 v48, vcc_lo, s4, v6
	v_add_co_ci_u32_e64 v49, null, s5, v7, vcc_lo
	v_mul_f64 v[26:27], s[40:41], v[36:37]
	v_add_co_u32 v6, vcc_lo, v48, v4
	v_add_co_ci_u32_e64 v7, null, v49, v5, vcc_lo
	v_mul_f64 v[28:29], s[38:39], v[36:37]
	flat_store_dwordx4 v[6:7], v[0:3]
	flat_load_dwordx4 v[0:3], v[8:9] offset:256
	v_fma_f64 v[26:27], s[38:39], v[34:35], -v[26:27]
	v_fma_f64 v[28:29], s[40:41], v[34:35], v[28:29]
	s_waitcnt vmcnt(0) lgkmcnt(0)
	v_mul_f64 v[36:37], s[16:17], v[2:3]
	v_mul_f64 v[2:3], s[14:15], v[2:3]
	v_fma_f64 v[34:35], s[14:15], v[0:1], -v[36:37]
	v_fma_f64 v[2:3], s[16:17], v[0:1], v[2:3]
	v_add_f64 v[0:1], v[26:27], v[34:35]
	v_add_f64 v[2:3], v[28:29], v[2:3]
	v_mul_f64 v[26:27], s[40:41], v[32:33]
	v_mul_f64 v[28:29], s[38:39], v[32:33]
	flat_store_dwordx4 v[6:7], v[0:3] offset:256
	flat_load_dwordx4 v[0:3], v[8:9] offset:512
	v_fma_f64 v[26:27], s[38:39], v[30:31], -v[26:27]
	v_fma_f64 v[28:29], s[40:41], v[30:31], v[28:29]
	s_waitcnt vmcnt(0) lgkmcnt(0)
	v_mul_f64 v[32:33], s[16:17], v[2:3]
	v_mul_f64 v[2:3], s[14:15], v[2:3]
	v_fma_f64 v[30:31], s[14:15], v[0:1], -v[32:33]
	v_fma_f64 v[2:3], s[16:17], v[0:1], v[2:3]
	v_add_f64 v[0:1], v[26:27], v[30:31]
	v_add_f64 v[2:3], v[28:29], v[2:3]
	v_add_co_u32 v28, vcc_lo, v78, s0
	v_add_co_ci_u32_e64 v29, null, s1, v79, vcc_lo
	flat_store_dwordx4 v[6:7], v[0:3] offset:512
	flat_load_dwordx4 v[0:3], v[8:9] offset:768
	v_mul_f64 v[8:9], s[40:41], v[24:25]
	v_mul_f64 v[24:25], s[38:39], v[24:25]
	v_fma_f64 v[8:9], s[38:39], v[22:23], -v[8:9]
	v_fma_f64 v[22:23], s[40:41], v[22:23], v[24:25]
	s_waitcnt vmcnt(0) lgkmcnt(0)
	v_mul_f64 v[26:27], s[16:17], v[2:3]
	v_mul_f64 v[2:3], s[14:15], v[2:3]
	v_fma_f64 v[24:25], s[14:15], v[0:1], -v[26:27]
	v_fma_f64 v[2:3], s[16:17], v[0:1], v[2:3]
	v_add_f64 v[0:1], v[8:9], v[24:25]
	v_add_f64 v[2:3], v[22:23], v[2:3]
	v_add_co_u32 v8, vcc_lo, v28, v4
	v_add_co_ci_u32_e64 v9, null, v29, v5, vcc_lo
	v_mul_f64 v[22:23], s[38:39], v[72:73]
	v_add_co_u32 v30, vcc_lo, v48, s2
	v_add_co_ci_u32_e64 v31, null, s3, v49, vcc_lo
	flat_store_dwordx4 v[6:7], v[0:3] offset:768
	flat_load_dwordx4 v[0:3], v[8:9]
	v_mul_f64 v[6:7], s[40:41], v[72:73]
	v_fma_f64 v[22:23], s[40:41], v[70:71], v[22:23]
	v_fma_f64 v[6:7], s[38:39], v[70:71], -v[6:7]
	s_waitcnt vmcnt(0) lgkmcnt(0)
	v_mul_f64 v[24:25], s[16:17], v[2:3]
	v_mul_f64 v[2:3], s[14:15], v[2:3]
	v_fma_f64 v[24:25], s[14:15], v[0:1], -v[24:25]
	v_fma_f64 v[2:3], s[16:17], v[0:1], v[2:3]
	v_add_f64 v[0:1], v[6:7], v[24:25]
	v_add_f64 v[2:3], v[22:23], v[2:3]
	v_add_co_u32 v6, vcc_lo, v30, v4
	v_add_co_ci_u32_e64 v7, null, v31, v5, vcc_lo
	v_mul_f64 v[22:23], s[40:41], v[64:65]
	v_mul_f64 v[24:25], s[38:39], v[64:65]
	v_add_co_u32 v28, vcc_lo, v28, s0
	v_add_co_ci_u32_e64 v29, null, s1, v29, vcc_lo
	flat_store_dwordx4 v[6:7], v[0:3]
	flat_load_dwordx4 v[0:3], v[8:9] offset:256
	v_fma_f64 v[22:23], s[38:39], v[62:63], -v[22:23]
	v_fma_f64 v[24:25], s[40:41], v[62:63], v[24:25]
	s_waitcnt vmcnt(0) lgkmcnt(0)
	v_mul_f64 v[26:27], s[16:17], v[2:3]
	v_mul_f64 v[2:3], s[14:15], v[2:3]
	v_fma_f64 v[26:27], s[14:15], v[0:1], -v[26:27]
	v_fma_f64 v[2:3], s[16:17], v[0:1], v[2:3]
	v_add_f64 v[0:1], v[22:23], v[26:27]
	v_add_f64 v[2:3], v[24:25], v[2:3]
	v_mul_f64 v[22:23], s[40:41], v[58:59]
	v_mul_f64 v[24:25], s[38:39], v[58:59]
	flat_store_dwordx4 v[6:7], v[0:3] offset:256
	flat_load_dwordx4 v[0:3], v[8:9] offset:512
	v_fma_f64 v[22:23], s[38:39], v[54:55], -v[22:23]
	v_fma_f64 v[24:25], s[40:41], v[54:55], v[24:25]
	s_waitcnt vmcnt(0) lgkmcnt(0)
	v_mul_f64 v[26:27], s[16:17], v[2:3]
	v_mul_f64 v[2:3], s[14:15], v[2:3]
	v_fma_f64 v[26:27], s[14:15], v[0:1], -v[26:27]
	v_fma_f64 v[2:3], s[16:17], v[0:1], v[2:3]
	v_add_f64 v[0:1], v[22:23], v[26:27]
	v_add_f64 v[2:3], v[24:25], v[2:3]
	v_mul_f64 v[22:23], s[38:39], v[46:47]
	flat_store_dwordx4 v[6:7], v[0:3] offset:512
	flat_load_dwordx4 v[0:3], v[8:9] offset:768
	v_mul_f64 v[8:9], s[40:41], v[46:47]
	v_fma_f64 v[22:23], s[40:41], v[42:43], v[22:23]
	v_fma_f64 v[8:9], s[38:39], v[42:43], -v[8:9]
	s_waitcnt vmcnt(0) lgkmcnt(0)
	v_mul_f64 v[24:25], s[16:17], v[2:3]
	v_mul_f64 v[2:3], s[14:15], v[2:3]
	v_fma_f64 v[24:25], s[14:15], v[0:1], -v[24:25]
	v_fma_f64 v[2:3], s[16:17], v[0:1], v[2:3]
	v_add_f64 v[0:1], v[8:9], v[24:25]
	v_add_f64 v[2:3], v[22:23], v[2:3]
	v_add_co_u32 v8, vcc_lo, v28, v4
	v_add_co_ci_u32_e64 v9, null, v29, v5, vcc_lo
	v_mul_f64 v[22:23], s[38:39], v[68:69]
	v_add_co_u32 v30, vcc_lo, v30, s2
	v_add_co_ci_u32_e64 v31, null, s3, v31, vcc_lo
	flat_store_dwordx4 v[6:7], v[0:3] offset:768
	flat_load_dwordx4 v[0:3], v[8:9]
	v_mul_f64 v[6:7], s[40:41], v[68:69]
	v_fma_f64 v[22:23], s[40:41], v[66:67], v[22:23]
	v_fma_f64 v[6:7], s[38:39], v[66:67], -v[6:7]
	s_waitcnt vmcnt(0) lgkmcnt(0)
	v_mul_f64 v[24:25], s[16:17], v[2:3]
	v_mul_f64 v[2:3], s[14:15], v[2:3]
	v_fma_f64 v[24:25], s[14:15], v[0:1], -v[24:25]
	v_fma_f64 v[2:3], s[16:17], v[0:1], v[2:3]
	v_add_f64 v[0:1], v[6:7], v[24:25]
	v_add_f64 v[2:3], v[22:23], v[2:3]
	v_add_co_u32 v6, vcc_lo, v30, v4
	v_add_co_ci_u32_e64 v7, null, v31, v5, vcc_lo
	v_mul_f64 v[22:23], s[40:41], v[60:61]
	v_mul_f64 v[24:25], s[38:39], v[60:61]
	flat_store_dwordx4 v[6:7], v[0:3]
	flat_load_dwordx4 v[0:3], v[8:9] offset:256
	v_fma_f64 v[22:23], s[38:39], v[56:57], -v[22:23]
	v_fma_f64 v[24:25], s[40:41], v[56:57], v[24:25]
	s_waitcnt vmcnt(0) lgkmcnt(0)
	v_mul_f64 v[26:27], s[16:17], v[2:3]
	v_mul_f64 v[2:3], s[14:15], v[2:3]
	v_fma_f64 v[26:27], s[14:15], v[0:1], -v[26:27]
	v_fma_f64 v[2:3], s[16:17], v[0:1], v[2:3]
	v_add_f64 v[0:1], v[22:23], v[26:27]
	v_add_f64 v[2:3], v[24:25], v[2:3]
	v_mul_f64 v[22:23], s[40:41], v[50:51]
	v_mul_f64 v[24:25], s[38:39], v[50:51]
	flat_store_dwordx4 v[6:7], v[0:3] offset:256
	flat_load_dwordx4 v[0:3], v[8:9] offset:512
	v_fma_f64 v[22:23], s[38:39], v[44:45], -v[22:23]
	v_fma_f64 v[24:25], s[40:41], v[44:45], v[24:25]
	s_waitcnt vmcnt(0) lgkmcnt(0)
	v_mul_f64 v[26:27], s[16:17], v[2:3]
	v_mul_f64 v[2:3], s[14:15], v[2:3]
	v_fma_f64 v[26:27], s[14:15], v[0:1], -v[26:27]
	v_fma_f64 v[2:3], s[16:17], v[0:1], v[2:3]
	v_add_f64 v[0:1], v[22:23], v[26:27]
	v_add_f64 v[2:3], v[24:25], v[2:3]
	v_mul_f64 v[22:23], s[38:39], v[40:41]
	flat_store_dwordx4 v[6:7], v[0:3] offset:512
	flat_load_dwordx4 v[0:3], v[8:9] offset:768
	v_mul_f64 v[8:9], s[40:41], v[40:41]
	v_fma_f64 v[22:23], s[40:41], v[38:39], v[22:23]
	v_fma_f64 v[8:9], s[38:39], v[38:39], -v[8:9]
	s_waitcnt vmcnt(0) lgkmcnt(0)
	v_mul_f64 v[24:25], s[16:17], v[2:3]
	v_mul_f64 v[2:3], s[14:15], v[2:3]
	v_fma_f64 v[24:25], s[14:15], v[0:1], -v[24:25]
	v_fma_f64 v[2:3], s[16:17], v[0:1], v[2:3]
	v_add_f64 v[0:1], v[8:9], v[24:25]
	v_add_f64 v[2:3], v[22:23], v[2:3]
	v_add_co_u32 v8, vcc_lo, v28, s0
	v_add_co_ci_u32_e64 v9, null, s1, v29, vcc_lo
	v_add_co_u32 v8, vcc_lo, v8, v4
	v_add_co_ci_u32_e64 v9, null, v9, v5, vcc_lo
	flat_store_dwordx4 v[6:7], v[0:3] offset:768
	flat_load_dwordx4 v[0:3], v[8:9]
	v_mul_f64 v[6:7], s[40:41], v[20:21]
	v_mul_f64 v[20:21], s[38:39], v[20:21]
	v_fma_f64 v[6:7], s[38:39], v[18:19], -v[6:7]
	v_fma_f64 v[18:19], s[40:41], v[18:19], v[20:21]
	s_waitcnt vmcnt(0) lgkmcnt(0)
	v_mul_f64 v[22:23], s[16:17], v[2:3]
	v_mul_f64 v[2:3], s[14:15], v[2:3]
	v_fma_f64 v[20:21], s[14:15], v[0:1], -v[22:23]
	v_fma_f64 v[2:3], s[16:17], v[0:1], v[2:3]
	v_add_f64 v[0:1], v[6:7], v[20:21]
	v_add_f64 v[2:3], v[18:19], v[2:3]
	v_add_co_u32 v6, vcc_lo, v30, s2
	v_add_co_ci_u32_e64 v7, null, s3, v31, vcc_lo
	v_add_co_u32 v6, vcc_lo, v6, v4
	v_add_co_ci_u32_e64 v7, null, v7, v5, vcc_lo
	v_mul_f64 v[4:5], s[40:41], v[16:17]
	v_mul_f64 v[16:17], s[38:39], v[16:17]
	flat_store_dwordx4 v[6:7], v[0:3]
	flat_load_dwordx4 v[0:3], v[8:9] offset:256
	v_fma_f64 v[4:5], s[38:39], v[14:15], -v[4:5]
	v_fma_f64 v[14:15], s[40:41], v[14:15], v[16:17]
	s_waitcnt vmcnt(0) lgkmcnt(0)
	v_mul_f64 v[18:19], s[16:17], v[2:3]
	v_mul_f64 v[2:3], s[14:15], v[2:3]
	v_fma_f64 v[16:17], s[14:15], v[0:1], -v[18:19]
	v_fma_f64 v[2:3], s[16:17], v[0:1], v[2:3]
	v_add_f64 v[0:1], v[4:5], v[16:17]
	v_add_f64 v[2:3], v[14:15], v[2:3]
	v_mul_f64 v[4:5], s[40:41], v[12:13]
	v_mul_f64 v[12:13], s[38:39], v[12:13]
	flat_store_dwordx4 v[6:7], v[0:3] offset:256
	flat_load_dwordx4 v[0:3], v[8:9] offset:512
	v_fma_f64 v[4:5], s[38:39], v[10:11], -v[4:5]
	v_fma_f64 v[10:11], s[40:41], v[10:11], v[12:13]
	s_waitcnt vmcnt(0) lgkmcnt(0)
	v_mul_f64 v[14:15], s[16:17], v[2:3]
	v_mul_f64 v[2:3], s[14:15], v[2:3]
	v_fma_f64 v[12:13], s[14:15], v[0:1], -v[14:15]
	v_fma_f64 v[2:3], s[16:17], v[0:1], v[2:3]
	v_add_f64 v[0:1], v[4:5], v[12:13]
	v_add_f64 v[2:3], v[10:11], v[2:3]
	v_mul_f64 v[4:5], s[40:41], v[76:77]
	flat_store_dwordx4 v[6:7], v[0:3] offset:512
	flat_load_dwordx4 v[0:3], v[8:9] offset:768
	v_mul_f64 v[8:9], s[38:39], v[76:77]
	v_fma_f64 v[4:5], s[38:39], v[74:75], -v[4:5]
	v_fma_f64 v[8:9], s[40:41], v[74:75], v[8:9]
	s_waitcnt vmcnt(0) lgkmcnt(0)
	v_mul_f64 v[10:11], s[16:17], v[2:3]
	v_mul_f64 v[2:3], s[14:15], v[2:3]
	v_fma_f64 v[10:11], s[14:15], v[0:1], -v[10:11]
	v_fma_f64 v[0:1], s[16:17], v[0:1], v[2:3]
	v_add_f64 v[10:11], v[4:5], v[10:11]
	v_add_f64 v[2:3], v[8:9], v[0:1]
	v_add_co_u32 v4, vcc_lo, 0x300, v6
	v_add_co_ci_u32_e64 v5, null, 0, v7, vcc_lo
	flat_store_dwordx2 v[6:7], v[10:11] offset:768
.LBB263_8:
	flat_store_dwordx2 v[4:5], v[2:3] offset:8
	s_endpgm
	.section	.rodata,"a",@progbits
	.p2align	6, 0x0
	.amdhsa_kernel _ZN12_GLOBAL__N_127rocblas_gemm_batched_kernelI19rocblas_complex_numIdELi16ELi16ELi64ELi64ELi4ELi64ELi4ELi4ELi64ELc78ELc78EKPKS2_S5_KPS2_EEvlllT_PT11_llSA_llS8_PT12_llPT13_lli
		.amdhsa_group_segment_fixed_size 8192
		.amdhsa_private_segment_fixed_size 0
		.amdhsa_kernarg_size 156
		.amdhsa_user_sgpr_count 6
		.amdhsa_user_sgpr_private_segment_buffer 1
		.amdhsa_user_sgpr_dispatch_ptr 0
		.amdhsa_user_sgpr_queue_ptr 0
		.amdhsa_user_sgpr_kernarg_segment_ptr 1
		.amdhsa_user_sgpr_dispatch_id 0
		.amdhsa_user_sgpr_flat_scratch_init 0
		.amdhsa_user_sgpr_private_segment_size 0
		.amdhsa_wavefront_size32 1
		.amdhsa_uses_dynamic_stack 0
		.amdhsa_system_sgpr_private_segment_wavefront_offset 0
		.amdhsa_system_sgpr_workgroup_id_x 1
		.amdhsa_system_sgpr_workgroup_id_y 1
		.amdhsa_system_sgpr_workgroup_id_z 1
		.amdhsa_system_sgpr_workgroup_info 0
		.amdhsa_system_vgpr_workitem_id 1
		.amdhsa_next_free_vgpr 138
		.amdhsa_next_free_sgpr 52
		.amdhsa_reserve_vcc 1
		.amdhsa_reserve_flat_scratch 0
		.amdhsa_float_round_mode_32 0
		.amdhsa_float_round_mode_16_64 0
		.amdhsa_float_denorm_mode_32 3
		.amdhsa_float_denorm_mode_16_64 3
		.amdhsa_dx10_clamp 1
		.amdhsa_ieee_mode 1
		.amdhsa_fp16_overflow 0
		.amdhsa_workgroup_processor_mode 1
		.amdhsa_memory_ordered 1
		.amdhsa_forward_progress 1
		.amdhsa_shared_vgpr_count 0
		.amdhsa_exception_fp_ieee_invalid_op 0
		.amdhsa_exception_fp_denorm_src 0
		.amdhsa_exception_fp_ieee_div_zero 0
		.amdhsa_exception_fp_ieee_overflow 0
		.amdhsa_exception_fp_ieee_underflow 0
		.amdhsa_exception_fp_ieee_inexact 0
		.amdhsa_exception_int_div_zero 0
	.end_amdhsa_kernel
	.section	.text._ZN12_GLOBAL__N_127rocblas_gemm_batched_kernelI19rocblas_complex_numIdELi16ELi16ELi64ELi64ELi4ELi64ELi4ELi4ELi64ELc78ELc78EKPKS2_S5_KPS2_EEvlllT_PT11_llSA_llS8_PT12_llPT13_lli,"axG",@progbits,_ZN12_GLOBAL__N_127rocblas_gemm_batched_kernelI19rocblas_complex_numIdELi16ELi16ELi64ELi64ELi4ELi64ELi4ELi4ELi64ELc78ELc78EKPKS2_S5_KPS2_EEvlllT_PT11_llSA_llS8_PT12_llPT13_lli,comdat
.Lfunc_end263:
	.size	_ZN12_GLOBAL__N_127rocblas_gemm_batched_kernelI19rocblas_complex_numIdELi16ELi16ELi64ELi64ELi4ELi64ELi4ELi4ELi64ELc78ELc78EKPKS2_S5_KPS2_EEvlllT_PT11_llSA_llS8_PT12_llPT13_lli, .Lfunc_end263-_ZN12_GLOBAL__N_127rocblas_gemm_batched_kernelI19rocblas_complex_numIdELi16ELi16ELi64ELi64ELi4ELi64ELi4ELi4ELi64ELc78ELc78EKPKS2_S5_KPS2_EEvlllT_PT11_llSA_llS8_PT12_llPT13_lli
                                        ; -- End function
	.set _ZN12_GLOBAL__N_127rocblas_gemm_batched_kernelI19rocblas_complex_numIdELi16ELi16ELi64ELi64ELi4ELi64ELi4ELi4ELi64ELc78ELc78EKPKS2_S5_KPS2_EEvlllT_PT11_llSA_llS8_PT12_llPT13_lli.num_vgpr, 138
	.set _ZN12_GLOBAL__N_127rocblas_gemm_batched_kernelI19rocblas_complex_numIdELi16ELi16ELi64ELi64ELi4ELi64ELi4ELi4ELi64ELc78ELc78EKPKS2_S5_KPS2_EEvlllT_PT11_llSA_llS8_PT12_llPT13_lli.num_agpr, 0
	.set _ZN12_GLOBAL__N_127rocblas_gemm_batched_kernelI19rocblas_complex_numIdELi16ELi16ELi64ELi64ELi4ELi64ELi4ELi4ELi64ELc78ELc78EKPKS2_S5_KPS2_EEvlllT_PT11_llSA_llS8_PT12_llPT13_lli.numbered_sgpr, 52
	.set _ZN12_GLOBAL__N_127rocblas_gemm_batched_kernelI19rocblas_complex_numIdELi16ELi16ELi64ELi64ELi4ELi64ELi4ELi4ELi64ELc78ELc78EKPKS2_S5_KPS2_EEvlllT_PT11_llSA_llS8_PT12_llPT13_lli.num_named_barrier, 0
	.set _ZN12_GLOBAL__N_127rocblas_gemm_batched_kernelI19rocblas_complex_numIdELi16ELi16ELi64ELi64ELi4ELi64ELi4ELi4ELi64ELc78ELc78EKPKS2_S5_KPS2_EEvlllT_PT11_llSA_llS8_PT12_llPT13_lli.private_seg_size, 0
	.set _ZN12_GLOBAL__N_127rocblas_gemm_batched_kernelI19rocblas_complex_numIdELi16ELi16ELi64ELi64ELi4ELi64ELi4ELi4ELi64ELc78ELc78EKPKS2_S5_KPS2_EEvlllT_PT11_llSA_llS8_PT12_llPT13_lli.uses_vcc, 1
	.set _ZN12_GLOBAL__N_127rocblas_gemm_batched_kernelI19rocblas_complex_numIdELi16ELi16ELi64ELi64ELi4ELi64ELi4ELi4ELi64ELc78ELc78EKPKS2_S5_KPS2_EEvlllT_PT11_llSA_llS8_PT12_llPT13_lli.uses_flat_scratch, 0
	.set _ZN12_GLOBAL__N_127rocblas_gemm_batched_kernelI19rocblas_complex_numIdELi16ELi16ELi64ELi64ELi4ELi64ELi4ELi4ELi64ELc78ELc78EKPKS2_S5_KPS2_EEvlllT_PT11_llSA_llS8_PT12_llPT13_lli.has_dyn_sized_stack, 0
	.set _ZN12_GLOBAL__N_127rocblas_gemm_batched_kernelI19rocblas_complex_numIdELi16ELi16ELi64ELi64ELi4ELi64ELi4ELi4ELi64ELc78ELc78EKPKS2_S5_KPS2_EEvlllT_PT11_llSA_llS8_PT12_llPT13_lli.has_recursion, 0
	.set _ZN12_GLOBAL__N_127rocblas_gemm_batched_kernelI19rocblas_complex_numIdELi16ELi16ELi64ELi64ELi4ELi64ELi4ELi4ELi64ELc78ELc78EKPKS2_S5_KPS2_EEvlllT_PT11_llSA_llS8_PT12_llPT13_lli.has_indirect_call, 0
	.section	.AMDGPU.csdata,"",@progbits
; Kernel info:
; codeLenInByte = 7388
; TotalNumSgprs: 54
; NumVgprs: 138
; ScratchSize: 0
; MemoryBound: 0
; FloatMode: 240
; IeeeMode: 1
; LDSByteSize: 8192 bytes/workgroup (compile time only)
; SGPRBlocks: 0
; VGPRBlocks: 17
; NumSGPRsForWavesPerEU: 54
; NumVGPRsForWavesPerEU: 138
; Occupancy: 7
; WaveLimiterHint : 1
; COMPUTE_PGM_RSRC2:SCRATCH_EN: 0
; COMPUTE_PGM_RSRC2:USER_SGPR: 6
; COMPUTE_PGM_RSRC2:TRAP_HANDLER: 0
; COMPUTE_PGM_RSRC2:TGID_X_EN: 1
; COMPUTE_PGM_RSRC2:TGID_Y_EN: 1
; COMPUTE_PGM_RSRC2:TGID_Z_EN: 1
; COMPUTE_PGM_RSRC2:TIDIG_COMP_CNT: 1
	.section	.text._ZN12_GLOBAL__N_127rocblas_gemm_batched_kernelI19rocblas_complex_numIdELi16ELi16ELi64ELi64ELi4ELi64ELi4ELi4ELi64ELc84ELc78EKPKS2_S5_KPS2_EEvlllT_PT11_llSA_llS8_PT12_llPT13_lli,"axG",@progbits,_ZN12_GLOBAL__N_127rocblas_gemm_batched_kernelI19rocblas_complex_numIdELi16ELi16ELi64ELi64ELi4ELi64ELi4ELi4ELi64ELc84ELc78EKPKS2_S5_KPS2_EEvlllT_PT11_llSA_llS8_PT12_llPT13_lli,comdat
	.globl	_ZN12_GLOBAL__N_127rocblas_gemm_batched_kernelI19rocblas_complex_numIdELi16ELi16ELi64ELi64ELi4ELi64ELi4ELi4ELi64ELc84ELc78EKPKS2_S5_KPS2_EEvlllT_PT11_llSA_llS8_PT12_llPT13_lli ; -- Begin function _ZN12_GLOBAL__N_127rocblas_gemm_batched_kernelI19rocblas_complex_numIdELi16ELi16ELi64ELi64ELi4ELi64ELi4ELi4ELi64ELc84ELc78EKPKS2_S5_KPS2_EEvlllT_PT11_llSA_llS8_PT12_llPT13_lli
	.p2align	8
	.type	_ZN12_GLOBAL__N_127rocblas_gemm_batched_kernelI19rocblas_complex_numIdELi16ELi16ELi64ELi64ELi4ELi64ELi4ELi4ELi64ELc84ELc78EKPKS2_S5_KPS2_EEvlllT_PT11_llSA_llS8_PT12_llPT13_lli,@function
_ZN12_GLOBAL__N_127rocblas_gemm_batched_kernelI19rocblas_complex_numIdELi16ELi16ELi64ELi64ELi4ELi64ELi4ELi4ELi64ELc84ELc78EKPKS2_S5_KPS2_EEvlllT_PT11_llSA_llS8_PT12_llPT13_lli: ; @_ZN12_GLOBAL__N_127rocblas_gemm_batched_kernelI19rocblas_complex_numIdELi16ELi16ELi64ELi64ELi4ELi64ELi4ELi4ELi64ELc84ELc78EKPKS2_S5_KPS2_EEvlllT_PT11_llSA_llS8_PT12_llPT13_lli
; %bb.0:
	s_clause 0x1
	s_load_dwordx16 s[12:27], s[4:5], 0x50
	s_load_dwordx16 s[36:51], s[4:5], 0x10
	s_mov_b32 s9, 0
	s_mov_b32 s28, s7
	s_lshl_b64 s[10:11], s[8:9], 3
	s_waitcnt lgkmcnt(0)
	s_add_u32 s0, s18, s10
	s_addc_u32 s1, s19, s11
	s_add_u32 s2, s24, s10
	s_addc_u32 s3, s25, s11
	s_load_dwordx2 s[0:1], s[0:1], 0x0
	s_load_dwordx2 s[2:3], s[2:3], 0x0
	v_cmp_lt_i64_e64 s8, s[36:37], 1
	s_ashr_i32 s7, s6, 31
	s_ashr_i32 s29, s28, 31
	s_lshl_b64 s[6:7], s[6:7], 6
	s_and_b32 vcc_lo, exec_lo, s8
	s_lshl_b64 s[8:9], s[28:29], 6
	s_cbranch_vccnz .LBB264_3
; %bb.1:
	v_lshl_add_u32 v4, v1, 4, v0
	v_and_b32_e32 v2, 3, v0
	s_add_u32 s18, s42, s10
	s_addc_u32 s19, s43, s11
	s_add_u32 s10, s48, s10
	v_and_b32_e32 v5, 63, v4
	v_lshrrev_b32_e32 v7, 2, v4
	v_lshlrev_b32_e32 v8, 4, v2
	v_lshrrev_b32_e32 v12, 6, v4
	s_load_dwordx2 s[18:19], s[18:19], 0x0
	v_add_co_u32 v3, s24, s6, v5
	v_add_co_ci_u32_e64 v6, null, s7, 0, s24
	v_add_co_u32 v10, s24, v7, s8
	v_mul_lo_u32 v9, s45, v3
	v_mul_lo_u32 v6, s44, v6
	v_mad_u64_u32 v[2:3], null, s44, v3, 0
	v_add_co_ci_u32_e64 v11, null, 0, s9, s24
	v_lshlrev_b32_e32 v13, 4, v5
	v_mad_u64_u32 v[4:5], null, s50, v10, 0
	s_addc_u32 s11, s49, s11
	v_add3_u32 v3, v3, v6, v9
	v_mul_lo_u32 v6, s51, v10
	v_mul_lo_u32 v9, s50, v11
	v_lshl_or_b32 v7, v7, 6, v8
	s_load_dwordx2 s[10:11], s[10:11], 0x0
	v_lshlrev_b64 v[2:3], 4, v[2:3]
	s_lshl_b64 s[24:25], s[46:47], 4
	s_lshl_b64 s[12:13], s[12:13], 4
	v_add_nc_u32_e32 v91, 0x1000, v7
	v_lshlrev_b32_e32 v7, 4, v12
	v_add3_u32 v5, v5, v9, v6
	v_add_co_u32 v6, vcc_lo, v2, s24
	v_add_co_ci_u32_e64 v9, null, s25, v3, vcc_lo
	v_lshlrev_b64 v[2:3], 4, v[4:5]
	v_add_co_u32 v4, vcc_lo, v6, v7
	v_add_co_ci_u32_e64 v5, null, 0, v9, vcc_lo
	v_lshl_or_b32 v90, v12, 10, v13
	v_add_co_u32 v2, vcc_lo, v2, s12
	v_add_co_ci_u32_e64 v3, null, s13, v3, vcc_lo
	s_waitcnt lgkmcnt(0)
	v_add_co_u32 v26, vcc_lo, s18, v4
	v_add_co_ci_u32_e64 v27, null, s19, v5, vcc_lo
	v_add_co_u32 v2, vcc_lo, v2, v8
	v_add_co_ci_u32_e64 v3, null, 0, v3, vcc_lo
	v_mov_b32_e32 v76, 0
	v_add_co_u32 v28, vcc_lo, s10, v2
	v_mov_b32_e32 v74, 0
	v_mov_b32_e32 v12, 0
	;; [unrolled: 1-line block ×31, first 2 shown]
	v_lshlrev_b32_e32 v92, 4, v0
	v_lshl_add_u32 v93, v1, 6, 0x1000
	v_mov_b32_e32 v77, 0
	v_mov_b32_e32 v75, 0
	;; [unrolled: 1-line block ×32, first 2 shown]
	v_add_co_ci_u32_e64 v29, null, s11, v3, vcc_lo
	s_mov_b64 s[10:11], 0
.LBB264_2:                              ; =>This Inner Loop Header: Depth=1
	flat_load_dwordx4 v[2:5], v[26:27]
	s_add_u32 s10, s10, 4
	s_addc_u32 s11, s11, 0
	v_add_co_u32 v26, vcc_lo, v26, 64
	v_cmp_lt_i64_e64 s12, s[10:11], s[36:37]
	v_add_co_ci_u32_e64 v27, null, 0, v27, vcc_lo
	s_waitcnt vmcnt(0) lgkmcnt(0)
	ds_write2_b64 v90, v[2:3], v[4:5] offset1:1
	flat_load_dwordx4 v[2:5], v[28:29]
	v_add_co_u32 v28, vcc_lo, v28, 64
	v_add_co_ci_u32_e64 v29, null, 0, v29, vcc_lo
	s_and_b32 vcc_lo, exec_lo, s12
	s_waitcnt vmcnt(0) lgkmcnt(0)
	ds_write2_b64 v91, v[2:3], v[4:5] offset1:1
	s_waitcnt lgkmcnt(0)
	s_barrier
	buffer_gl0_inv
	ds_read_b128 v[78:81], v93
	ds_read_b128 v[82:85], v93 offset:16
	ds_read_b128 v[6:9], v93 offset:32
	;; [unrolled: 1-line block ×3, first 2 shown]
	ds_read_b128 v[86:89], v92
	s_waitcnt lgkmcnt(0)
	v_mul_f64 v[94:95], v[80:81], v[88:89]
	v_mul_f64 v[96:97], v[78:79], v[88:89]
	v_fma_f64 v[94:95], v[78:79], v[86:87], -v[94:95]
	v_fma_f64 v[96:97], v[80:81], v[86:87], v[96:97]
	v_add_f64 v[98:99], v[48:49], v[94:95]
	v_add_f64 v[100:101], v[96:97], v[52:53]
	ds_read_b128 v[94:97], v92 offset:256
	s_waitcnt lgkmcnt(0)
	v_mul_f64 v[48:49], v[80:81], v[96:97]
	v_mul_f64 v[52:53], v[78:79], v[96:97]
	v_fma_f64 v[48:49], v[78:79], v[94:95], -v[48:49]
	v_fma_f64 v[52:53], v[80:81], v[94:95], v[52:53]
	v_add_f64 v[102:103], v[34:35], v[48:49]
	v_add_f64 v[104:105], v[52:53], v[36:37]
	ds_read_b128 v[34:37], v92 offset:512
	;; [unrolled: 8-line block ×4, first 2 shown]
	s_waitcnt lgkmcnt(0)
	v_mul_f64 v[48:49], v[24:25], v[88:89]
	v_mul_f64 v[52:53], v[22:23], v[88:89]
	v_fma_f64 v[48:49], v[22:23], v[86:87], -v[48:49]
	v_fma_f64 v[52:53], v[24:25], v[86:87], v[52:53]
	v_add_f64 v[70:71], v[70:71], v[48:49]
	v_mul_f64 v[48:49], v[24:25], v[96:97]
	v_add_f64 v[72:73], v[52:53], v[72:73]
	v_mul_f64 v[52:53], v[22:23], v[96:97]
	v_fma_f64 v[48:49], v[22:23], v[94:95], -v[48:49]
	v_fma_f64 v[52:53], v[24:25], v[94:95], v[52:53]
	v_add_f64 v[110:111], v[62:63], v[48:49]
	v_mul_f64 v[48:49], v[24:25], v[36:37]
	v_add_f64 v[112:113], v[52:53], v[64:65]
	;; [unrolled: 6-line block ×3, first 2 shown]
	v_fma_f64 v[48:49], v[22:23], v[30:31], -v[48:49]
	v_mul_f64 v[22:23], v[22:23], v[32:33]
	v_add_f64 v[118:119], v[42:43], v[48:49]
	v_fma_f64 v[22:23], v[24:25], v[30:31], v[22:23]
	v_add_f64 v[120:121], v[22:23], v[46:47]
	ds_read_b128 v[22:25], v93 offset:2048
	s_waitcnt lgkmcnt(0)
	v_mul_f64 v[42:43], v[24:25], v[88:89]
	v_mul_f64 v[46:47], v[22:23], v[88:89]
	v_fma_f64 v[42:43], v[22:23], v[86:87], -v[42:43]
	v_fma_f64 v[46:47], v[24:25], v[86:87], v[46:47]
	v_add_f64 v[122:123], v[66:67], v[42:43]
	v_mul_f64 v[42:43], v[24:25], v[96:97]
	v_add_f64 v[124:125], v[46:47], v[68:69]
	v_mul_f64 v[46:47], v[22:23], v[96:97]
	v_fma_f64 v[42:43], v[22:23], v[94:95], -v[42:43]
	v_fma_f64 v[46:47], v[24:25], v[94:95], v[46:47]
	v_add_f64 v[126:127], v[56:57], v[42:43]
	v_mul_f64 v[42:43], v[24:25], v[36:37]
	v_add_f64 v[128:129], v[46:47], v[60:61]
	;; [unrolled: 6-line block ×3, first 2 shown]
	v_fma_f64 v[42:43], v[22:23], v[30:31], -v[42:43]
	v_mul_f64 v[22:23], v[22:23], v[32:33]
	v_add_f64 v[134:135], v[38:39], v[42:43]
	v_fma_f64 v[22:23], v[24:25], v[30:31], v[22:23]
	v_add_f64 v[136:137], v[22:23], v[40:41]
	ds_read_b128 v[22:25], v93 offset:3072
	s_waitcnt lgkmcnt(0)
	v_mul_f64 v[38:39], v[24:25], v[88:89]
	v_mul_f64 v[40:41], v[22:23], v[88:89]
	v_fma_f64 v[38:39], v[22:23], v[86:87], -v[38:39]
	v_fma_f64 v[40:41], v[24:25], v[86:87], v[40:41]
	v_add_f64 v[58:59], v[18:19], v[38:39]
	v_add_f64 v[60:61], v[40:41], v[20:21]
	v_mul_f64 v[18:19], v[24:25], v[96:97]
	v_mul_f64 v[20:21], v[22:23], v[96:97]
	v_fma_f64 v[18:19], v[22:23], v[94:95], -v[18:19]
	v_fma_f64 v[20:21], v[24:25], v[94:95], v[20:21]
	v_add_f64 v[54:55], v[14:15], v[18:19]
	v_add_f64 v[56:57], v[20:21], v[16:17]
	v_mul_f64 v[14:15], v[24:25], v[36:37]
	v_mul_f64 v[16:17], v[22:23], v[36:37]
	ds_read_b128 v[18:21], v92 offset:1280
	v_fma_f64 v[14:15], v[22:23], v[34:35], -v[14:15]
	v_fma_f64 v[16:17], v[24:25], v[34:35], v[16:17]
	v_add_f64 v[50:51], v[10:11], v[14:15]
	v_add_f64 v[52:53], v[16:17], v[12:13]
	v_mul_f64 v[10:11], v[24:25], v[32:33]
	v_mul_f64 v[12:13], v[22:23], v[32:33]
	ds_read_b128 v[14:17], v92 offset:1536
	v_fma_f64 v[10:11], v[22:23], v[30:31], -v[10:11]
	v_fma_f64 v[12:13], v[24:25], v[30:31], v[12:13]
	ds_read_b128 v[22:25], v92 offset:1024
	v_add_f64 v[46:47], v[74:75], v[10:11]
	v_add_f64 v[48:49], v[12:13], v[76:77]
	s_waitcnt lgkmcnt(0)
	v_mul_f64 v[10:11], v[84:85], v[24:25]
	v_mul_f64 v[12:13], v[82:83], v[24:25]
	ds_read_b128 v[74:77], v93 offset:1040
	v_fma_f64 v[10:11], v[82:83], v[22:23], -v[10:11]
	v_fma_f64 v[12:13], v[84:85], v[22:23], v[12:13]
	s_waitcnt lgkmcnt(0)
	v_mul_f64 v[62:63], v[76:77], v[24:25]
	v_mul_f64 v[64:65], v[74:75], v[24:25]
	;; [unrolled: 1-line block ×4, first 2 shown]
	v_add_f64 v[42:43], v[98:99], v[10:11]
	v_add_f64 v[44:45], v[12:13], v[100:101]
	v_mul_f64 v[10:11], v[84:85], v[20:21]
	v_mul_f64 v[12:13], v[82:83], v[20:21]
	v_fma_f64 v[62:63], v[74:75], v[22:23], -v[62:63]
	v_fma_f64 v[64:65], v[76:77], v[22:23], v[64:65]
	v_fma_f64 v[66:67], v[74:75], v[18:19], -v[66:67]
	v_fma_f64 v[68:69], v[76:77], v[18:19], v[68:69]
	;; [unrolled: 2-line block ×3, first 2 shown]
	v_add_f64 v[62:63], v[70:71], v[62:63]
	v_mul_f64 v[70:71], v[76:77], v[16:17]
	v_add_f64 v[64:65], v[64:65], v[72:73]
	v_mul_f64 v[72:73], v[74:75], v[16:17]
	v_add_f64 v[66:67], v[110:111], v[66:67]
	v_add_f64 v[68:69], v[68:69], v[112:113]
	;; [unrolled: 1-line block ×4, first 2 shown]
	v_mul_f64 v[10:11], v[84:85], v[16:17]
	v_mul_f64 v[12:13], v[82:83], v[16:17]
	v_fma_f64 v[70:71], v[74:75], v[14:15], -v[70:71]
	v_fma_f64 v[72:73], v[76:77], v[14:15], v[72:73]
	v_fma_f64 v[10:11], v[82:83], v[14:15], -v[10:11]
	v_fma_f64 v[12:13], v[84:85], v[14:15], v[12:13]
	v_add_f64 v[70:71], v[114:115], v[70:71]
	v_add_f64 v[72:73], v[72:73], v[116:117]
	;; [unrolled: 1-line block ×4, first 2 shown]
	ds_read_b128 v[10:13], v92 offset:1792
	s_waitcnt lgkmcnt(0)
	v_mul_f64 v[30:31], v[84:85], v[12:13]
	v_mul_f64 v[32:33], v[82:83], v[12:13]
	v_fma_f64 v[30:31], v[82:83], v[10:11], -v[30:31]
	v_fma_f64 v[32:33], v[84:85], v[10:11], v[32:33]
	v_add_f64 v[30:31], v[78:79], v[30:31]
	v_mul_f64 v[78:79], v[76:77], v[12:13]
	v_add_f64 v[32:33], v[32:33], v[80:81]
	v_fma_f64 v[78:79], v[74:75], v[10:11], -v[78:79]
	v_mul_f64 v[74:75], v[74:75], v[12:13]
	v_fma_f64 v[76:77], v[76:77], v[10:11], v[74:75]
	v_add_f64 v[74:75], v[118:119], v[78:79]
	ds_read_b128 v[78:81], v93 offset:2064
	s_waitcnt lgkmcnt(0)
	v_mul_f64 v[82:83], v[80:81], v[24:25]
	v_mul_f64 v[86:87], v[80:81], v[20:21]
	;; [unrolled: 1-line block ×7, first 2 shown]
	v_add_f64 v[76:77], v[76:77], v[120:121]
	v_fma_f64 v[82:83], v[78:79], v[22:23], -v[82:83]
	v_fma_f64 v[86:87], v[78:79], v[18:19], -v[86:87]
	;; [unrolled: 1-line block ×4, first 2 shown]
	v_mul_f64 v[78:79], v[78:79], v[12:13]
	v_fma_f64 v[84:85], v[80:81], v[22:23], v[84:85]
	v_fma_f64 v[88:89], v[80:81], v[18:19], v[88:89]
	;; [unrolled: 1-line block ×3, first 2 shown]
	v_add_f64 v[82:83], v[122:123], v[82:83]
	v_add_f64 v[86:87], v[126:127], v[86:87]
	v_add_f64 v[94:95], v[130:131], v[94:95]
	v_add_f64 v[98:99], v[134:135], v[98:99]
	v_fma_f64 v[78:79], v[80:81], v[10:11], v[78:79]
	v_add_f64 v[84:85], v[84:85], v[124:125]
	v_add_f64 v[88:89], v[88:89], v[128:129]
	v_add_f64 v[96:97], v[96:97], v[132:133]
	v_add_f64 v[100:101], v[78:79], v[136:137]
	ds_read_b128 v[78:81], v93 offset:3088
	s_waitcnt lgkmcnt(0)
	v_mul_f64 v[102:103], v[80:81], v[24:25]
	v_mul_f64 v[24:25], v[78:79], v[24:25]
	v_fma_f64 v[102:103], v[78:79], v[22:23], -v[102:103]
	v_fma_f64 v[22:23], v[80:81], v[22:23], v[24:25]
	v_add_f64 v[58:59], v[58:59], v[102:103]
	v_add_f64 v[60:61], v[22:23], v[60:61]
	v_mul_f64 v[22:23], v[80:81], v[20:21]
	v_mul_f64 v[20:21], v[78:79], v[20:21]
	v_fma_f64 v[22:23], v[78:79], v[18:19], -v[22:23]
	v_fma_f64 v[18:19], v[80:81], v[18:19], v[20:21]
	v_add_f64 v[54:55], v[54:55], v[22:23]
	v_add_f64 v[56:57], v[18:19], v[56:57]
	;; [unrolled: 6-line block ×4, first 2 shown]
	ds_read_b128 v[10:13], v92 offset:2048
	s_waitcnt lgkmcnt(0)
	v_mul_f64 v[14:15], v[8:9], v[12:13]
	v_mul_f64 v[16:17], v[6:7], v[12:13]
	v_fma_f64 v[14:15], v[6:7], v[10:11], -v[14:15]
	v_fma_f64 v[16:17], v[8:9], v[10:11], v[16:17]
	v_add_f64 v[42:43], v[42:43], v[14:15]
	v_add_f64 v[44:45], v[16:17], v[44:45]
	ds_read_b128 v[14:17], v92 offset:2304
	s_waitcnt lgkmcnt(0)
	v_mul_f64 v[18:19], v[8:9], v[16:17]
	v_mul_f64 v[20:21], v[6:7], v[16:17]
	v_fma_f64 v[18:19], v[6:7], v[14:15], -v[18:19]
	v_fma_f64 v[20:21], v[8:9], v[14:15], v[20:21]
	v_add_f64 v[38:39], v[38:39], v[18:19]
	v_add_f64 v[40:41], v[20:21], v[40:41]
	;; [unrolled: 8-line block ×3, first 2 shown]
	ds_read_b128 v[22:25], v92 offset:2816
	s_waitcnt lgkmcnt(0)
	v_mul_f64 v[34:35], v[8:9], v[24:25]
	v_fma_f64 v[34:35], v[6:7], v[22:23], -v[34:35]
	v_mul_f64 v[6:7], v[6:7], v[24:25]
	v_add_f64 v[106:107], v[30:31], v[34:35]
	v_fma_f64 v[6:7], v[8:9], v[22:23], v[6:7]
	v_add_f64 v[108:109], v[6:7], v[32:33]
	ds_read_b128 v[6:9], v93 offset:1056
	s_waitcnt lgkmcnt(0)
	v_mul_f64 v[30:31], v[8:9], v[12:13]
	v_mul_f64 v[32:33], v[6:7], v[12:13]
	v_fma_f64 v[30:31], v[6:7], v[10:11], -v[30:31]
	v_fma_f64 v[32:33], v[8:9], v[10:11], v[32:33]
	v_add_f64 v[62:63], v[62:63], v[30:31]
	v_mul_f64 v[30:31], v[8:9], v[16:17]
	v_add_f64 v[64:65], v[32:33], v[64:65]
	v_mul_f64 v[32:33], v[6:7], v[16:17]
	v_fma_f64 v[30:31], v[6:7], v[14:15], -v[30:31]
	v_fma_f64 v[32:33], v[8:9], v[14:15], v[32:33]
	v_add_f64 v[66:67], v[66:67], v[30:31]
	v_mul_f64 v[30:31], v[8:9], v[20:21]
	v_add_f64 v[68:69], v[32:33], v[68:69]
	;; [unrolled: 6-line block ×3, first 2 shown]
	v_fma_f64 v[30:31], v[6:7], v[22:23], -v[30:31]
	v_mul_f64 v[6:7], v[6:7], v[24:25]
	v_add_f64 v[114:115], v[74:75], v[30:31]
	v_fma_f64 v[6:7], v[8:9], v[22:23], v[6:7]
	v_add_f64 v[116:117], v[6:7], v[76:77]
	ds_read_b128 v[6:9], v93 offset:2080
	s_waitcnt lgkmcnt(0)
	v_mul_f64 v[30:31], v[8:9], v[12:13]
	v_mul_f64 v[32:33], v[6:7], v[12:13]
	v_fma_f64 v[30:31], v[6:7], v[10:11], -v[30:31]
	v_fma_f64 v[32:33], v[8:9], v[10:11], v[32:33]
	v_add_f64 v[118:119], v[82:83], v[30:31]
	v_mul_f64 v[30:31], v[8:9], v[16:17]
	v_add_f64 v[120:121], v[32:33], v[84:85]
	v_mul_f64 v[32:33], v[6:7], v[16:17]
	v_fma_f64 v[30:31], v[6:7], v[14:15], -v[30:31]
	v_fma_f64 v[32:33], v[8:9], v[14:15], v[32:33]
	v_add_f64 v[122:123], v[86:87], v[30:31]
	v_mul_f64 v[30:31], v[8:9], v[20:21]
	v_add_f64 v[124:125], v[32:33], v[88:89]
	;; [unrolled: 6-line block ×3, first 2 shown]
	v_fma_f64 v[30:31], v[6:7], v[22:23], -v[30:31]
	v_mul_f64 v[6:7], v[6:7], v[24:25]
	v_add_f64 v[98:99], v[98:99], v[30:31]
	v_fma_f64 v[6:7], v[8:9], v[22:23], v[6:7]
	v_add_f64 v[100:101], v[6:7], v[100:101]
	ds_read_b128 v[6:9], v93 offset:3104
	s_waitcnt lgkmcnt(0)
	v_mul_f64 v[30:31], v[8:9], v[12:13]
	v_mul_f64 v[12:13], v[6:7], v[12:13]
	v_fma_f64 v[30:31], v[6:7], v[10:11], -v[30:31]
	v_fma_f64 v[10:11], v[8:9], v[10:11], v[12:13]
	v_mul_f64 v[12:13], v[6:7], v[16:17]
	v_add_f64 v[86:87], v[58:59], v[30:31]
	v_add_f64 v[88:89], v[10:11], v[60:61]
	v_mul_f64 v[10:11], v[8:9], v[16:17]
	v_fma_f64 v[12:13], v[8:9], v[14:15], v[12:13]
	v_fma_f64 v[10:11], v[6:7], v[14:15], -v[10:11]
	v_add_f64 v[84:85], v[12:13], v[56:57]
	v_mul_f64 v[12:13], v[6:7], v[20:21]
	ds_read_b128 v[14:17], v92 offset:3328
	v_add_f64 v[82:83], v[54:55], v[10:11]
	v_mul_f64 v[10:11], v[8:9], v[20:21]
	v_fma_f64 v[12:13], v[8:9], v[18:19], v[12:13]
	v_fma_f64 v[10:11], v[6:7], v[18:19], -v[10:11]
	ds_read_b128 v[18:21], v92 offset:3072
	v_add_f64 v[80:81], v[12:13], v[52:53]
	v_add_f64 v[78:79], v[50:51], v[10:11]
	v_mul_f64 v[10:11], v[8:9], v[24:25]
	v_fma_f64 v[10:11], v[6:7], v[22:23], -v[10:11]
	v_mul_f64 v[6:7], v[6:7], v[24:25]
	v_add_f64 v[74:75], v[46:47], v[10:11]
	v_fma_f64 v[6:7], v[8:9], v[22:23], v[6:7]
	s_waitcnt lgkmcnt(0)
	v_mul_f64 v[8:9], v[2:3], v[20:21]
	ds_read_b128 v[10:13], v92 offset:3584
	v_add_f64 v[76:77], v[6:7], v[48:49]
	v_mul_f64 v[6:7], v[4:5], v[20:21]
	v_fma_f64 v[8:9], v[4:5], v[18:19], v[8:9]
	v_fma_f64 v[6:7], v[2:3], v[18:19], -v[6:7]
	v_add_f64 v[52:53], v[8:9], v[44:45]
	v_mul_f64 v[8:9], v[2:3], v[16:17]
	v_add_f64 v[48:49], v[42:43], v[6:7]
	v_mul_f64 v[6:7], v[4:5], v[16:17]
	v_fma_f64 v[8:9], v[4:5], v[14:15], v[8:9]
	v_fma_f64 v[6:7], v[2:3], v[14:15], -v[6:7]
	v_add_f64 v[36:37], v[8:9], v[40:41]
	s_waitcnt lgkmcnt(0)
	v_mul_f64 v[8:9], v[2:3], v[12:13]
	v_add_f64 v[34:35], v[38:39], v[6:7]
	v_mul_f64 v[6:7], v[4:5], v[12:13]
	v_fma_f64 v[8:9], v[4:5], v[10:11], v[8:9]
	v_fma_f64 v[6:7], v[2:3], v[10:11], -v[6:7]
	v_add_f64 v[32:33], v[8:9], v[104:105]
	v_add_f64 v[30:31], v[102:103], v[6:7]
	ds_read_b128 v[6:9], v92 offset:3840
	s_waitcnt lgkmcnt(0)
	v_mul_f64 v[22:23], v[4:5], v[8:9]
	v_fma_f64 v[22:23], v[2:3], v[6:7], -v[22:23]
	v_mul_f64 v[2:3], v[2:3], v[8:9]
	v_add_f64 v[22:23], v[106:107], v[22:23]
	v_fma_f64 v[2:3], v[4:5], v[6:7], v[2:3]
	v_add_f64 v[24:25], v[2:3], v[108:109]
	ds_read_b128 v[2:5], v93 offset:1072
	s_waitcnt lgkmcnt(0)
	v_mul_f64 v[38:39], v[4:5], v[20:21]
	v_mul_f64 v[40:41], v[2:3], v[20:21]
	v_fma_f64 v[38:39], v[2:3], v[18:19], -v[38:39]
	v_fma_f64 v[40:41], v[4:5], v[18:19], v[40:41]
	v_add_f64 v[70:71], v[62:63], v[38:39]
	v_mul_f64 v[38:39], v[4:5], v[16:17]
	v_add_f64 v[72:73], v[40:41], v[64:65]
	v_mul_f64 v[40:41], v[2:3], v[16:17]
	v_fma_f64 v[38:39], v[2:3], v[14:15], -v[38:39]
	v_fma_f64 v[40:41], v[4:5], v[14:15], v[40:41]
	v_add_f64 v[62:63], v[66:67], v[38:39]
	v_mul_f64 v[38:39], v[4:5], v[12:13]
	v_add_f64 v[64:65], v[40:41], v[68:69]
	;; [unrolled: 6-line block ×3, first 2 shown]
	v_fma_f64 v[38:39], v[2:3], v[6:7], -v[38:39]
	v_mul_f64 v[2:3], v[2:3], v[8:9]
	v_add_f64 v[42:43], v[114:115], v[38:39]
	v_fma_f64 v[2:3], v[4:5], v[6:7], v[2:3]
	v_add_f64 v[46:47], v[2:3], v[116:117]
	ds_read_b128 v[2:5], v93 offset:2096
	s_waitcnt lgkmcnt(0)
	v_mul_f64 v[38:39], v[4:5], v[20:21]
	v_mul_f64 v[40:41], v[2:3], v[20:21]
	v_fma_f64 v[38:39], v[2:3], v[18:19], -v[38:39]
	v_fma_f64 v[40:41], v[4:5], v[18:19], v[40:41]
	v_add_f64 v[66:67], v[118:119], v[38:39]
	v_mul_f64 v[38:39], v[4:5], v[16:17]
	v_add_f64 v[68:69], v[40:41], v[120:121]
	v_mul_f64 v[40:41], v[2:3], v[16:17]
	v_fma_f64 v[38:39], v[2:3], v[14:15], -v[38:39]
	v_fma_f64 v[40:41], v[4:5], v[14:15], v[40:41]
	v_add_f64 v[56:57], v[122:123], v[38:39]
	v_mul_f64 v[38:39], v[4:5], v[12:13]
	v_add_f64 v[60:61], v[40:41], v[124:125]
	;; [unrolled: 6-line block ×3, first 2 shown]
	v_fma_f64 v[38:39], v[2:3], v[6:7], -v[38:39]
	v_mul_f64 v[2:3], v[2:3], v[8:9]
	v_add_f64 v[38:39], v[98:99], v[38:39]
	v_fma_f64 v[2:3], v[4:5], v[6:7], v[2:3]
	v_add_f64 v[40:41], v[2:3], v[100:101]
	ds_read_b128 v[2:5], v93 offset:3120
	s_waitcnt lgkmcnt(0)
	s_barrier
	buffer_gl0_inv
	v_mul_f64 v[94:95], v[4:5], v[20:21]
	v_mul_f64 v[20:21], v[2:3], v[20:21]
	v_fma_f64 v[94:95], v[2:3], v[18:19], -v[94:95]
	v_fma_f64 v[20:21], v[4:5], v[18:19], v[20:21]
	v_add_f64 v[18:19], v[86:87], v[94:95]
	v_mul_f64 v[86:87], v[4:5], v[16:17]
	v_mul_f64 v[16:17], v[2:3], v[16:17]
	v_add_f64 v[20:21], v[20:21], v[88:89]
	v_fma_f64 v[86:87], v[2:3], v[14:15], -v[86:87]
	v_fma_f64 v[16:17], v[4:5], v[14:15], v[16:17]
	v_add_f64 v[14:15], v[82:83], v[86:87]
	v_mul_f64 v[82:83], v[4:5], v[12:13]
	v_mul_f64 v[12:13], v[2:3], v[12:13]
	v_add_f64 v[16:17], v[16:17], v[84:85]
	v_fma_f64 v[82:83], v[2:3], v[10:11], -v[82:83]
	v_fma_f64 v[12:13], v[4:5], v[10:11], v[12:13]
	v_add_f64 v[10:11], v[78:79], v[82:83]
	v_mul_f64 v[78:79], v[4:5], v[8:9]
	v_add_f64 v[12:13], v[12:13], v[80:81]
	v_fma_f64 v[78:79], v[2:3], v[6:7], -v[78:79]
	v_mul_f64 v[2:3], v[2:3], v[8:9]
	v_add_f64 v[74:75], v[74:75], v[78:79]
	v_fma_f64 v[2:3], v[4:5], v[6:7], v[2:3]
	v_add_f64 v[76:77], v[2:3], v[76:77]
	s_cbranch_vccnz .LBB264_2
	s_branch .LBB264_4
.LBB264_3:
	v_mov_b32_e32 v48, 0
	v_mov_b32_e32 v52, 0
	;; [unrolled: 1-line block ×64, first 2 shown]
.LBB264_4:
	s_load_dwordx2 s[4:5], s[4:5], 0x90
	v_cmp_neq_f64_e64 s10, s[14:15], 0
	v_cmp_neq_f64_e64 s11, s[16:17], 0
	v_add_co_u32 v6, s8, s8, v1
	v_add_co_ci_u32_e64 v7, null, s9, 0, s8
	s_waitcnt lgkmcnt(0)
	s_lshl_b64 s[4:5], s[4:5], 4
	s_add_u32 s4, s2, s4
	s_addc_u32 s5, s3, s5
	v_add_co_u32 v0, s3, s6, v0
	v_add_co_ci_u32_e64 v1, null, s7, 0, s3
	s_or_b32 s2, s10, s11
	s_and_b32 vcc_lo, exec_lo, s2
	s_cbranch_vccnz .LBB264_6
; %bb.5:
	v_mul_f64 v[4:5], s[40:41], v[52:53]
	v_mul_f64 v[8:9], s[38:39], v[52:53]
	v_mul_lo_u32 v78, v7, s26
	v_mul_lo_u32 v79, v6, s27
	v_mad_u64_u32 v[2:3], null, v6, s26, 0
	v_mul_f64 v[26:27], s[40:41], v[36:37]
	v_mul_f64 v[28:29], s[38:39], v[36:37]
	;; [unrolled: 1-line block ×6, first 2 shown]
	v_add3_u32 v3, v3, v79, v78
	v_mul_f64 v[78:79], s[40:41], v[32:33]
	v_mul_f64 v[88:89], s[38:39], v[72:73]
	;; [unrolled: 1-line block ×4, first 2 shown]
	v_lshlrev_b64 v[2:3], 4, v[2:3]
	v_mul_f64 v[94:95], s[40:41], v[58:59]
	v_mul_f64 v[96:97], s[38:39], v[58:59]
	;; [unrolled: 1-line block ×4, first 2 shown]
	s_lshl_b64 s[2:3], s[26:27], 8
	v_add_co_u32 v104, vcc_lo, s4, v2
	v_add_co_ci_u32_e64 v105, null, s5, v3, vcc_lo
	v_fma_f64 v[2:3], s[38:39], v[48:49], -v[4:5]
	v_fma_f64 v[4:5], s[40:41], v[48:49], v[8:9]
	v_lshlrev_b64 v[8:9], 4, v[0:1]
	v_fma_f64 v[26:27], s[38:39], v[34:35], -v[26:27]
	v_fma_f64 v[28:29], s[40:41], v[34:35], v[28:29]
	v_fma_f64 v[80:81], s[40:41], v[30:31], v[80:81]
	v_fma_f64 v[82:83], s[38:39], v[22:23], -v[82:83]
	v_fma_f64 v[84:85], s[40:41], v[22:23], v[84:85]
	v_add_co_u32 v102, vcc_lo, v104, v8
	v_fma_f64 v[78:79], s[38:39], v[30:31], -v[78:79]
	v_add_co_ci_u32_e64 v103, null, v105, v9, vcc_lo
	v_fma_f64 v[86:87], s[38:39], v[70:71], -v[86:87]
	v_fma_f64 v[88:89], s[40:41], v[70:71], v[88:89]
	v_fma_f64 v[90:91], s[38:39], v[62:63], -v[90:91]
	v_fma_f64 v[92:93], s[40:41], v[62:63], v[92:93]
	;; [unrolled: 2-line block ×3, first 2 shown]
	v_add_co_u32 v106, vcc_lo, v104, s2
	v_add_co_ci_u32_e64 v107, null, s3, v105, vcc_lo
	flat_store_dwordx4 v[102:103], v[2:5]
	v_fma_f64 v[2:3], s[38:39], v[42:43], -v[98:99]
	v_fma_f64 v[4:5], s[40:41], v[42:43], v[100:101]
	v_add_co_u32 v104, vcc_lo, v106, v8
	v_add_co_ci_u32_e64 v105, null, v107, v9, vcc_lo
	flat_store_dwordx4 v[102:103], v[26:29] offset:256
	flat_store_dwordx4 v[102:103], v[78:81] offset:512
	flat_store_dwordx4 v[102:103], v[82:85] offset:768
	flat_store_dwordx4 v[104:105], v[86:89]
	flat_store_dwordx4 v[104:105], v[90:93] offset:256
	flat_store_dwordx4 v[104:105], v[94:97] offset:512
	v_mul_f64 v[26:27], s[40:41], v[68:69]
	v_mul_f64 v[28:29], s[38:39], v[68:69]
	;; [unrolled: 1-line block ×12, first 2 shown]
	flat_store_dwordx4 v[104:105], v[2:5] offset:768
	v_mul_f64 v[2:3], s[40:41], v[76:77]
	v_mul_f64 v[4:5], s[38:39], v[76:77]
	;; [unrolled: 1-line block ×4, first 2 shown]
	v_add_co_u32 v104, vcc_lo, v106, s2
	v_add_co_ci_u32_e64 v105, null, s3, v107, vcc_lo
	v_fma_f64 v[26:27], s[38:39], v[66:67], -v[26:27]
	v_fma_f64 v[28:29], s[40:41], v[66:67], v[28:29]
	v_fma_f64 v[78:79], s[38:39], v[56:57], -v[78:79]
	v_fma_f64 v[80:81], s[40:41], v[56:57], v[80:81]
	;; [unrolled: 2-line block ×6, first 2 shown]
	v_add_co_u32 v106, vcc_lo, v104, s2
	v_fma_f64 v[102:103], s[38:39], v[74:75], -v[2:3]
	v_fma_f64 v[2:3], s[40:41], v[74:75], v[4:5]
	v_fma_f64 v[98:99], s[38:39], v[10:11], -v[98:99]
	v_fma_f64 v[100:101], s[40:41], v[10:11], v[100:101]
	v_add_co_ci_u32_e64 v107, null, s3, v105, vcc_lo
	v_add_co_u32 v4, vcc_lo, v104, v8
	v_add_co_ci_u32_e64 v5, null, v105, v9, vcc_lo
	v_add_co_u32 v8, vcc_lo, v106, v8
	v_add_co_ci_u32_e64 v9, null, v107, v9, vcc_lo
	flat_store_dwordx4 v[4:5], v[26:29]
	flat_store_dwordx4 v[4:5], v[78:81] offset:256
	flat_store_dwordx4 v[4:5], v[82:85] offset:512
	;; [unrolled: 1-line block ×3, first 2 shown]
	flat_store_dwordx4 v[8:9], v[90:93]
	v_add_co_u32 v4, vcc_lo, 0x300, v8
	v_add_co_ci_u32_e64 v5, null, 0, v9, vcc_lo
	flat_store_dwordx4 v[8:9], v[94:97] offset:256
	flat_store_dwordx4 v[8:9], v[98:101] offset:512
	flat_store_dwordx2 v[8:9], v[102:103] offset:768
	s_cbranch_execz .LBB264_7
	s_branch .LBB264_8
.LBB264_6:
                                        ; implicit-def: $vgpr2_vgpr3
                                        ; implicit-def: $vgpr4_vgpr5
.LBB264_7:
	v_mul_lo_u32 v4, v7, s20
	v_mul_lo_u32 v5, v6, s21
	v_mad_u64_u32 v[2:3], null, v6, s20, 0
	s_lshl_b64 s[2:3], s[22:23], 4
	v_mul_f64 v[26:27], s[40:41], v[52:53]
	s_add_u32 s0, s0, s2
	s_addc_u32 s1, s1, s3
	v_mul_f64 v[28:29], s[38:39], v[52:53]
	s_lshl_b64 s[2:3], s[26:27], 8
	v_add3_u32 v3, v3, v5, v4
	v_lshlrev_b64 v[4:5], 4, v[0:1]
	v_lshlrev_b64 v[2:3], 4, v[2:3]
	v_add_co_u32 v78, vcc_lo, s0, v2
	v_add_co_ci_u32_e64 v79, null, s1, v3, vcc_lo
	s_lshl_b64 s[0:1], s[20:21], 8
	v_add_co_u32 v8, vcc_lo, v78, v4
	v_add_co_ci_u32_e64 v9, null, v79, v5, vcc_lo
	v_fma_f64 v[26:27], s[38:39], v[48:49], -v[26:27]
	v_fma_f64 v[28:29], s[40:41], v[48:49], v[28:29]
	flat_load_dwordx4 v[0:3], v[8:9]
	s_waitcnt vmcnt(0) lgkmcnt(0)
	v_mul_f64 v[52:53], s[16:17], v[2:3]
	v_mul_f64 v[2:3], s[14:15], v[2:3]
	v_fma_f64 v[48:49], s[14:15], v[0:1], -v[52:53]
	v_fma_f64 v[2:3], s[16:17], v[0:1], v[2:3]
	v_mul_lo_u32 v0, v7, s26
	v_mul_lo_u32 v1, v6, s27
	v_mad_u64_u32 v[6:7], null, v6, s26, 0
	v_add3_u32 v7, v7, v1, v0
	v_lshlrev_b64 v[6:7], 4, v[6:7]
	v_add_f64 v[0:1], v[26:27], v[48:49]
	v_add_f64 v[2:3], v[28:29], v[2:3]
	v_add_co_u32 v48, vcc_lo, s4, v6
	v_add_co_ci_u32_e64 v49, null, s5, v7, vcc_lo
	v_mul_f64 v[26:27], s[40:41], v[36:37]
	v_add_co_u32 v6, vcc_lo, v48, v4
	v_add_co_ci_u32_e64 v7, null, v49, v5, vcc_lo
	v_mul_f64 v[28:29], s[38:39], v[36:37]
	flat_store_dwordx4 v[6:7], v[0:3]
	flat_load_dwordx4 v[0:3], v[8:9] offset:256
	v_fma_f64 v[26:27], s[38:39], v[34:35], -v[26:27]
	v_fma_f64 v[28:29], s[40:41], v[34:35], v[28:29]
	s_waitcnt vmcnt(0) lgkmcnt(0)
	v_mul_f64 v[36:37], s[16:17], v[2:3]
	v_mul_f64 v[2:3], s[14:15], v[2:3]
	v_fma_f64 v[34:35], s[14:15], v[0:1], -v[36:37]
	v_fma_f64 v[2:3], s[16:17], v[0:1], v[2:3]
	v_add_f64 v[0:1], v[26:27], v[34:35]
	v_add_f64 v[2:3], v[28:29], v[2:3]
	v_mul_f64 v[26:27], s[40:41], v[32:33]
	v_mul_f64 v[28:29], s[38:39], v[32:33]
	flat_store_dwordx4 v[6:7], v[0:3] offset:256
	flat_load_dwordx4 v[0:3], v[8:9] offset:512
	v_fma_f64 v[26:27], s[38:39], v[30:31], -v[26:27]
	v_fma_f64 v[28:29], s[40:41], v[30:31], v[28:29]
	s_waitcnt vmcnt(0) lgkmcnt(0)
	v_mul_f64 v[32:33], s[16:17], v[2:3]
	v_mul_f64 v[2:3], s[14:15], v[2:3]
	v_fma_f64 v[30:31], s[14:15], v[0:1], -v[32:33]
	v_fma_f64 v[2:3], s[16:17], v[0:1], v[2:3]
	v_add_f64 v[0:1], v[26:27], v[30:31]
	v_add_f64 v[2:3], v[28:29], v[2:3]
	v_add_co_u32 v28, vcc_lo, v78, s0
	v_add_co_ci_u32_e64 v29, null, s1, v79, vcc_lo
	flat_store_dwordx4 v[6:7], v[0:3] offset:512
	flat_load_dwordx4 v[0:3], v[8:9] offset:768
	v_mul_f64 v[8:9], s[40:41], v[24:25]
	v_mul_f64 v[24:25], s[38:39], v[24:25]
	v_fma_f64 v[8:9], s[38:39], v[22:23], -v[8:9]
	v_fma_f64 v[22:23], s[40:41], v[22:23], v[24:25]
	s_waitcnt vmcnt(0) lgkmcnt(0)
	v_mul_f64 v[26:27], s[16:17], v[2:3]
	v_mul_f64 v[2:3], s[14:15], v[2:3]
	v_fma_f64 v[24:25], s[14:15], v[0:1], -v[26:27]
	v_fma_f64 v[2:3], s[16:17], v[0:1], v[2:3]
	v_add_f64 v[0:1], v[8:9], v[24:25]
	v_add_f64 v[2:3], v[22:23], v[2:3]
	v_add_co_u32 v8, vcc_lo, v28, v4
	v_add_co_ci_u32_e64 v9, null, v29, v5, vcc_lo
	v_mul_f64 v[22:23], s[38:39], v[72:73]
	v_add_co_u32 v30, vcc_lo, v48, s2
	v_add_co_ci_u32_e64 v31, null, s3, v49, vcc_lo
	flat_store_dwordx4 v[6:7], v[0:3] offset:768
	flat_load_dwordx4 v[0:3], v[8:9]
	v_mul_f64 v[6:7], s[40:41], v[72:73]
	v_fma_f64 v[22:23], s[40:41], v[70:71], v[22:23]
	v_fma_f64 v[6:7], s[38:39], v[70:71], -v[6:7]
	s_waitcnt vmcnt(0) lgkmcnt(0)
	v_mul_f64 v[24:25], s[16:17], v[2:3]
	v_mul_f64 v[2:3], s[14:15], v[2:3]
	v_fma_f64 v[24:25], s[14:15], v[0:1], -v[24:25]
	v_fma_f64 v[2:3], s[16:17], v[0:1], v[2:3]
	v_add_f64 v[0:1], v[6:7], v[24:25]
	v_add_f64 v[2:3], v[22:23], v[2:3]
	v_add_co_u32 v6, vcc_lo, v30, v4
	v_add_co_ci_u32_e64 v7, null, v31, v5, vcc_lo
	v_mul_f64 v[22:23], s[40:41], v[64:65]
	v_mul_f64 v[24:25], s[38:39], v[64:65]
	v_add_co_u32 v28, vcc_lo, v28, s0
	v_add_co_ci_u32_e64 v29, null, s1, v29, vcc_lo
	flat_store_dwordx4 v[6:7], v[0:3]
	flat_load_dwordx4 v[0:3], v[8:9] offset:256
	v_fma_f64 v[22:23], s[38:39], v[62:63], -v[22:23]
	v_fma_f64 v[24:25], s[40:41], v[62:63], v[24:25]
	s_waitcnt vmcnt(0) lgkmcnt(0)
	v_mul_f64 v[26:27], s[16:17], v[2:3]
	v_mul_f64 v[2:3], s[14:15], v[2:3]
	v_fma_f64 v[26:27], s[14:15], v[0:1], -v[26:27]
	v_fma_f64 v[2:3], s[16:17], v[0:1], v[2:3]
	v_add_f64 v[0:1], v[22:23], v[26:27]
	v_add_f64 v[2:3], v[24:25], v[2:3]
	v_mul_f64 v[22:23], s[40:41], v[58:59]
	v_mul_f64 v[24:25], s[38:39], v[58:59]
	flat_store_dwordx4 v[6:7], v[0:3] offset:256
	flat_load_dwordx4 v[0:3], v[8:9] offset:512
	v_fma_f64 v[22:23], s[38:39], v[54:55], -v[22:23]
	v_fma_f64 v[24:25], s[40:41], v[54:55], v[24:25]
	s_waitcnt vmcnt(0) lgkmcnt(0)
	v_mul_f64 v[26:27], s[16:17], v[2:3]
	v_mul_f64 v[2:3], s[14:15], v[2:3]
	v_fma_f64 v[26:27], s[14:15], v[0:1], -v[26:27]
	v_fma_f64 v[2:3], s[16:17], v[0:1], v[2:3]
	v_add_f64 v[0:1], v[22:23], v[26:27]
	v_add_f64 v[2:3], v[24:25], v[2:3]
	v_mul_f64 v[22:23], s[38:39], v[46:47]
	flat_store_dwordx4 v[6:7], v[0:3] offset:512
	flat_load_dwordx4 v[0:3], v[8:9] offset:768
	v_mul_f64 v[8:9], s[40:41], v[46:47]
	v_fma_f64 v[22:23], s[40:41], v[42:43], v[22:23]
	v_fma_f64 v[8:9], s[38:39], v[42:43], -v[8:9]
	s_waitcnt vmcnt(0) lgkmcnt(0)
	v_mul_f64 v[24:25], s[16:17], v[2:3]
	v_mul_f64 v[2:3], s[14:15], v[2:3]
	v_fma_f64 v[24:25], s[14:15], v[0:1], -v[24:25]
	v_fma_f64 v[2:3], s[16:17], v[0:1], v[2:3]
	v_add_f64 v[0:1], v[8:9], v[24:25]
	v_add_f64 v[2:3], v[22:23], v[2:3]
	v_add_co_u32 v8, vcc_lo, v28, v4
	v_add_co_ci_u32_e64 v9, null, v29, v5, vcc_lo
	v_mul_f64 v[22:23], s[38:39], v[68:69]
	v_add_co_u32 v30, vcc_lo, v30, s2
	v_add_co_ci_u32_e64 v31, null, s3, v31, vcc_lo
	flat_store_dwordx4 v[6:7], v[0:3] offset:768
	flat_load_dwordx4 v[0:3], v[8:9]
	v_mul_f64 v[6:7], s[40:41], v[68:69]
	v_fma_f64 v[22:23], s[40:41], v[66:67], v[22:23]
	v_fma_f64 v[6:7], s[38:39], v[66:67], -v[6:7]
	s_waitcnt vmcnt(0) lgkmcnt(0)
	v_mul_f64 v[24:25], s[16:17], v[2:3]
	v_mul_f64 v[2:3], s[14:15], v[2:3]
	v_fma_f64 v[24:25], s[14:15], v[0:1], -v[24:25]
	v_fma_f64 v[2:3], s[16:17], v[0:1], v[2:3]
	v_add_f64 v[0:1], v[6:7], v[24:25]
	v_add_f64 v[2:3], v[22:23], v[2:3]
	v_add_co_u32 v6, vcc_lo, v30, v4
	v_add_co_ci_u32_e64 v7, null, v31, v5, vcc_lo
	v_mul_f64 v[22:23], s[40:41], v[60:61]
	v_mul_f64 v[24:25], s[38:39], v[60:61]
	flat_store_dwordx4 v[6:7], v[0:3]
	flat_load_dwordx4 v[0:3], v[8:9] offset:256
	v_fma_f64 v[22:23], s[38:39], v[56:57], -v[22:23]
	v_fma_f64 v[24:25], s[40:41], v[56:57], v[24:25]
	s_waitcnt vmcnt(0) lgkmcnt(0)
	v_mul_f64 v[26:27], s[16:17], v[2:3]
	v_mul_f64 v[2:3], s[14:15], v[2:3]
	v_fma_f64 v[26:27], s[14:15], v[0:1], -v[26:27]
	v_fma_f64 v[2:3], s[16:17], v[0:1], v[2:3]
	v_add_f64 v[0:1], v[22:23], v[26:27]
	v_add_f64 v[2:3], v[24:25], v[2:3]
	v_mul_f64 v[22:23], s[40:41], v[50:51]
	v_mul_f64 v[24:25], s[38:39], v[50:51]
	flat_store_dwordx4 v[6:7], v[0:3] offset:256
	flat_load_dwordx4 v[0:3], v[8:9] offset:512
	v_fma_f64 v[22:23], s[38:39], v[44:45], -v[22:23]
	v_fma_f64 v[24:25], s[40:41], v[44:45], v[24:25]
	s_waitcnt vmcnt(0) lgkmcnt(0)
	v_mul_f64 v[26:27], s[16:17], v[2:3]
	v_mul_f64 v[2:3], s[14:15], v[2:3]
	v_fma_f64 v[26:27], s[14:15], v[0:1], -v[26:27]
	v_fma_f64 v[2:3], s[16:17], v[0:1], v[2:3]
	v_add_f64 v[0:1], v[22:23], v[26:27]
	v_add_f64 v[2:3], v[24:25], v[2:3]
	v_mul_f64 v[22:23], s[38:39], v[40:41]
	flat_store_dwordx4 v[6:7], v[0:3] offset:512
	flat_load_dwordx4 v[0:3], v[8:9] offset:768
	v_mul_f64 v[8:9], s[40:41], v[40:41]
	v_fma_f64 v[22:23], s[40:41], v[38:39], v[22:23]
	v_fma_f64 v[8:9], s[38:39], v[38:39], -v[8:9]
	s_waitcnt vmcnt(0) lgkmcnt(0)
	v_mul_f64 v[24:25], s[16:17], v[2:3]
	v_mul_f64 v[2:3], s[14:15], v[2:3]
	v_fma_f64 v[24:25], s[14:15], v[0:1], -v[24:25]
	v_fma_f64 v[2:3], s[16:17], v[0:1], v[2:3]
	v_add_f64 v[0:1], v[8:9], v[24:25]
	v_add_f64 v[2:3], v[22:23], v[2:3]
	v_add_co_u32 v8, vcc_lo, v28, s0
	v_add_co_ci_u32_e64 v9, null, s1, v29, vcc_lo
	v_add_co_u32 v8, vcc_lo, v8, v4
	v_add_co_ci_u32_e64 v9, null, v9, v5, vcc_lo
	flat_store_dwordx4 v[6:7], v[0:3] offset:768
	flat_load_dwordx4 v[0:3], v[8:9]
	v_mul_f64 v[6:7], s[40:41], v[20:21]
	v_mul_f64 v[20:21], s[38:39], v[20:21]
	v_fma_f64 v[6:7], s[38:39], v[18:19], -v[6:7]
	v_fma_f64 v[18:19], s[40:41], v[18:19], v[20:21]
	s_waitcnt vmcnt(0) lgkmcnt(0)
	v_mul_f64 v[22:23], s[16:17], v[2:3]
	v_mul_f64 v[2:3], s[14:15], v[2:3]
	v_fma_f64 v[20:21], s[14:15], v[0:1], -v[22:23]
	v_fma_f64 v[2:3], s[16:17], v[0:1], v[2:3]
	v_add_f64 v[0:1], v[6:7], v[20:21]
	v_add_f64 v[2:3], v[18:19], v[2:3]
	v_add_co_u32 v6, vcc_lo, v30, s2
	v_add_co_ci_u32_e64 v7, null, s3, v31, vcc_lo
	v_add_co_u32 v6, vcc_lo, v6, v4
	v_add_co_ci_u32_e64 v7, null, v7, v5, vcc_lo
	v_mul_f64 v[4:5], s[40:41], v[16:17]
	v_mul_f64 v[16:17], s[38:39], v[16:17]
	flat_store_dwordx4 v[6:7], v[0:3]
	flat_load_dwordx4 v[0:3], v[8:9] offset:256
	v_fma_f64 v[4:5], s[38:39], v[14:15], -v[4:5]
	v_fma_f64 v[14:15], s[40:41], v[14:15], v[16:17]
	s_waitcnt vmcnt(0) lgkmcnt(0)
	v_mul_f64 v[18:19], s[16:17], v[2:3]
	v_mul_f64 v[2:3], s[14:15], v[2:3]
	v_fma_f64 v[16:17], s[14:15], v[0:1], -v[18:19]
	v_fma_f64 v[2:3], s[16:17], v[0:1], v[2:3]
	v_add_f64 v[0:1], v[4:5], v[16:17]
	v_add_f64 v[2:3], v[14:15], v[2:3]
	v_mul_f64 v[4:5], s[40:41], v[12:13]
	v_mul_f64 v[12:13], s[38:39], v[12:13]
	flat_store_dwordx4 v[6:7], v[0:3] offset:256
	flat_load_dwordx4 v[0:3], v[8:9] offset:512
	v_fma_f64 v[4:5], s[38:39], v[10:11], -v[4:5]
	v_fma_f64 v[10:11], s[40:41], v[10:11], v[12:13]
	s_waitcnt vmcnt(0) lgkmcnt(0)
	v_mul_f64 v[14:15], s[16:17], v[2:3]
	v_mul_f64 v[2:3], s[14:15], v[2:3]
	v_fma_f64 v[12:13], s[14:15], v[0:1], -v[14:15]
	v_fma_f64 v[2:3], s[16:17], v[0:1], v[2:3]
	v_add_f64 v[0:1], v[4:5], v[12:13]
	v_add_f64 v[2:3], v[10:11], v[2:3]
	v_mul_f64 v[4:5], s[40:41], v[76:77]
	flat_store_dwordx4 v[6:7], v[0:3] offset:512
	flat_load_dwordx4 v[0:3], v[8:9] offset:768
	v_mul_f64 v[8:9], s[38:39], v[76:77]
	v_fma_f64 v[4:5], s[38:39], v[74:75], -v[4:5]
	v_fma_f64 v[8:9], s[40:41], v[74:75], v[8:9]
	s_waitcnt vmcnt(0) lgkmcnt(0)
	v_mul_f64 v[10:11], s[16:17], v[2:3]
	v_mul_f64 v[2:3], s[14:15], v[2:3]
	v_fma_f64 v[10:11], s[14:15], v[0:1], -v[10:11]
	v_fma_f64 v[0:1], s[16:17], v[0:1], v[2:3]
	v_add_f64 v[10:11], v[4:5], v[10:11]
	v_add_f64 v[2:3], v[8:9], v[0:1]
	v_add_co_u32 v4, vcc_lo, 0x300, v6
	v_add_co_ci_u32_e64 v5, null, 0, v7, vcc_lo
	flat_store_dwordx2 v[6:7], v[10:11] offset:768
.LBB264_8:
	flat_store_dwordx2 v[4:5], v[2:3] offset:8
	s_endpgm
	.section	.rodata,"a",@progbits
	.p2align	6, 0x0
	.amdhsa_kernel _ZN12_GLOBAL__N_127rocblas_gemm_batched_kernelI19rocblas_complex_numIdELi16ELi16ELi64ELi64ELi4ELi64ELi4ELi4ELi64ELc84ELc78EKPKS2_S5_KPS2_EEvlllT_PT11_llSA_llS8_PT12_llPT13_lli
		.amdhsa_group_segment_fixed_size 8192
		.amdhsa_private_segment_fixed_size 0
		.amdhsa_kernarg_size 156
		.amdhsa_user_sgpr_count 6
		.amdhsa_user_sgpr_private_segment_buffer 1
		.amdhsa_user_sgpr_dispatch_ptr 0
		.amdhsa_user_sgpr_queue_ptr 0
		.amdhsa_user_sgpr_kernarg_segment_ptr 1
		.amdhsa_user_sgpr_dispatch_id 0
		.amdhsa_user_sgpr_flat_scratch_init 0
		.amdhsa_user_sgpr_private_segment_size 0
		.amdhsa_wavefront_size32 1
		.amdhsa_uses_dynamic_stack 0
		.amdhsa_system_sgpr_private_segment_wavefront_offset 0
		.amdhsa_system_sgpr_workgroup_id_x 1
		.amdhsa_system_sgpr_workgroup_id_y 1
		.amdhsa_system_sgpr_workgroup_id_z 1
		.amdhsa_system_sgpr_workgroup_info 0
		.amdhsa_system_vgpr_workitem_id 1
		.amdhsa_next_free_vgpr 138
		.amdhsa_next_free_sgpr 52
		.amdhsa_reserve_vcc 1
		.amdhsa_reserve_flat_scratch 0
		.amdhsa_float_round_mode_32 0
		.amdhsa_float_round_mode_16_64 0
		.amdhsa_float_denorm_mode_32 3
		.amdhsa_float_denorm_mode_16_64 3
		.amdhsa_dx10_clamp 1
		.amdhsa_ieee_mode 1
		.amdhsa_fp16_overflow 0
		.amdhsa_workgroup_processor_mode 1
		.amdhsa_memory_ordered 1
		.amdhsa_forward_progress 1
		.amdhsa_shared_vgpr_count 0
		.amdhsa_exception_fp_ieee_invalid_op 0
		.amdhsa_exception_fp_denorm_src 0
		.amdhsa_exception_fp_ieee_div_zero 0
		.amdhsa_exception_fp_ieee_overflow 0
		.amdhsa_exception_fp_ieee_underflow 0
		.amdhsa_exception_fp_ieee_inexact 0
		.amdhsa_exception_int_div_zero 0
	.end_amdhsa_kernel
	.section	.text._ZN12_GLOBAL__N_127rocblas_gemm_batched_kernelI19rocblas_complex_numIdELi16ELi16ELi64ELi64ELi4ELi64ELi4ELi4ELi64ELc84ELc78EKPKS2_S5_KPS2_EEvlllT_PT11_llSA_llS8_PT12_llPT13_lli,"axG",@progbits,_ZN12_GLOBAL__N_127rocblas_gemm_batched_kernelI19rocblas_complex_numIdELi16ELi16ELi64ELi64ELi4ELi64ELi4ELi4ELi64ELc84ELc78EKPKS2_S5_KPS2_EEvlllT_PT11_llSA_llS8_PT12_llPT13_lli,comdat
.Lfunc_end264:
	.size	_ZN12_GLOBAL__N_127rocblas_gemm_batched_kernelI19rocblas_complex_numIdELi16ELi16ELi64ELi64ELi4ELi64ELi4ELi4ELi64ELc84ELc78EKPKS2_S5_KPS2_EEvlllT_PT11_llSA_llS8_PT12_llPT13_lli, .Lfunc_end264-_ZN12_GLOBAL__N_127rocblas_gemm_batched_kernelI19rocblas_complex_numIdELi16ELi16ELi64ELi64ELi4ELi64ELi4ELi4ELi64ELc84ELc78EKPKS2_S5_KPS2_EEvlllT_PT11_llSA_llS8_PT12_llPT13_lli
                                        ; -- End function
	.set _ZN12_GLOBAL__N_127rocblas_gemm_batched_kernelI19rocblas_complex_numIdELi16ELi16ELi64ELi64ELi4ELi64ELi4ELi4ELi64ELc84ELc78EKPKS2_S5_KPS2_EEvlllT_PT11_llSA_llS8_PT12_llPT13_lli.num_vgpr, 138
	.set _ZN12_GLOBAL__N_127rocblas_gemm_batched_kernelI19rocblas_complex_numIdELi16ELi16ELi64ELi64ELi4ELi64ELi4ELi4ELi64ELc84ELc78EKPKS2_S5_KPS2_EEvlllT_PT11_llSA_llS8_PT12_llPT13_lli.num_agpr, 0
	.set _ZN12_GLOBAL__N_127rocblas_gemm_batched_kernelI19rocblas_complex_numIdELi16ELi16ELi64ELi64ELi4ELi64ELi4ELi4ELi64ELc84ELc78EKPKS2_S5_KPS2_EEvlllT_PT11_llSA_llS8_PT12_llPT13_lli.numbered_sgpr, 52
	.set _ZN12_GLOBAL__N_127rocblas_gemm_batched_kernelI19rocblas_complex_numIdELi16ELi16ELi64ELi64ELi4ELi64ELi4ELi4ELi64ELc84ELc78EKPKS2_S5_KPS2_EEvlllT_PT11_llSA_llS8_PT12_llPT13_lli.num_named_barrier, 0
	.set _ZN12_GLOBAL__N_127rocblas_gemm_batched_kernelI19rocblas_complex_numIdELi16ELi16ELi64ELi64ELi4ELi64ELi4ELi4ELi64ELc84ELc78EKPKS2_S5_KPS2_EEvlllT_PT11_llSA_llS8_PT12_llPT13_lli.private_seg_size, 0
	.set _ZN12_GLOBAL__N_127rocblas_gemm_batched_kernelI19rocblas_complex_numIdELi16ELi16ELi64ELi64ELi4ELi64ELi4ELi4ELi64ELc84ELc78EKPKS2_S5_KPS2_EEvlllT_PT11_llSA_llS8_PT12_llPT13_lli.uses_vcc, 1
	.set _ZN12_GLOBAL__N_127rocblas_gemm_batched_kernelI19rocblas_complex_numIdELi16ELi16ELi64ELi64ELi4ELi64ELi4ELi4ELi64ELc84ELc78EKPKS2_S5_KPS2_EEvlllT_PT11_llSA_llS8_PT12_llPT13_lli.uses_flat_scratch, 0
	.set _ZN12_GLOBAL__N_127rocblas_gemm_batched_kernelI19rocblas_complex_numIdELi16ELi16ELi64ELi64ELi4ELi64ELi4ELi4ELi64ELc84ELc78EKPKS2_S5_KPS2_EEvlllT_PT11_llSA_llS8_PT12_llPT13_lli.has_dyn_sized_stack, 0
	.set _ZN12_GLOBAL__N_127rocblas_gemm_batched_kernelI19rocblas_complex_numIdELi16ELi16ELi64ELi64ELi4ELi64ELi4ELi4ELi64ELc84ELc78EKPKS2_S5_KPS2_EEvlllT_PT11_llSA_llS8_PT12_llPT13_lli.has_recursion, 0
	.set _ZN12_GLOBAL__N_127rocblas_gemm_batched_kernelI19rocblas_complex_numIdELi16ELi16ELi64ELi64ELi4ELi64ELi4ELi4ELi64ELc84ELc78EKPKS2_S5_KPS2_EEvlllT_PT11_llSA_llS8_PT12_llPT13_lli.has_indirect_call, 0
	.section	.AMDGPU.csdata,"",@progbits
; Kernel info:
; codeLenInByte = 7428
; TotalNumSgprs: 54
; NumVgprs: 138
; ScratchSize: 0
; MemoryBound: 0
; FloatMode: 240
; IeeeMode: 1
; LDSByteSize: 8192 bytes/workgroup (compile time only)
; SGPRBlocks: 0
; VGPRBlocks: 17
; NumSGPRsForWavesPerEU: 54
; NumVGPRsForWavesPerEU: 138
; Occupancy: 7
; WaveLimiterHint : 1
; COMPUTE_PGM_RSRC2:SCRATCH_EN: 0
; COMPUTE_PGM_RSRC2:USER_SGPR: 6
; COMPUTE_PGM_RSRC2:TRAP_HANDLER: 0
; COMPUTE_PGM_RSRC2:TGID_X_EN: 1
; COMPUTE_PGM_RSRC2:TGID_Y_EN: 1
; COMPUTE_PGM_RSRC2:TGID_Z_EN: 1
; COMPUTE_PGM_RSRC2:TIDIG_COMP_CNT: 1
	.section	.text._ZN12_GLOBAL__N_127rocblas_gemm_batched_kernelI19rocblas_complex_numIdELi16ELi16ELi64ELi64ELi4ELi64ELi4ELi4ELi64ELc78ELc84EKPKS2_S5_KPS2_EEvlllT_PT11_llSA_llS8_PT12_llPT13_lli,"axG",@progbits,_ZN12_GLOBAL__N_127rocblas_gemm_batched_kernelI19rocblas_complex_numIdELi16ELi16ELi64ELi64ELi4ELi64ELi4ELi4ELi64ELc78ELc84EKPKS2_S5_KPS2_EEvlllT_PT11_llSA_llS8_PT12_llPT13_lli,comdat
	.globl	_ZN12_GLOBAL__N_127rocblas_gemm_batched_kernelI19rocblas_complex_numIdELi16ELi16ELi64ELi64ELi4ELi64ELi4ELi4ELi64ELc78ELc84EKPKS2_S5_KPS2_EEvlllT_PT11_llSA_llS8_PT12_llPT13_lli ; -- Begin function _ZN12_GLOBAL__N_127rocblas_gemm_batched_kernelI19rocblas_complex_numIdELi16ELi16ELi64ELi64ELi4ELi64ELi4ELi4ELi64ELc78ELc84EKPKS2_S5_KPS2_EEvlllT_PT11_llSA_llS8_PT12_llPT13_lli
	.p2align	8
	.type	_ZN12_GLOBAL__N_127rocblas_gemm_batched_kernelI19rocblas_complex_numIdELi16ELi16ELi64ELi64ELi4ELi64ELi4ELi4ELi64ELc78ELc84EKPKS2_S5_KPS2_EEvlllT_PT11_llSA_llS8_PT12_llPT13_lli,@function
_ZN12_GLOBAL__N_127rocblas_gemm_batched_kernelI19rocblas_complex_numIdELi16ELi16ELi64ELi64ELi4ELi64ELi4ELi4ELi64ELc78ELc84EKPKS2_S5_KPS2_EEvlllT_PT11_llSA_llS8_PT12_llPT13_lli: ; @_ZN12_GLOBAL__N_127rocblas_gemm_batched_kernelI19rocblas_complex_numIdELi16ELi16ELi64ELi64ELi4ELi64ELi4ELi4ELi64ELc78ELc84EKPKS2_S5_KPS2_EEvlllT_PT11_llSA_llS8_PT12_llPT13_lli
; %bb.0:
	s_clause 0x1
	s_load_dwordx16 s[12:27], s[4:5], 0x50
	s_load_dwordx16 s[36:51], s[4:5], 0x10
	s_mov_b32 s9, 0
	s_mov_b32 s28, s7
	s_lshl_b64 s[10:11], s[8:9], 3
	s_waitcnt lgkmcnt(0)
	s_add_u32 s0, s18, s10
	s_addc_u32 s1, s19, s11
	s_add_u32 s2, s24, s10
	s_addc_u32 s3, s25, s11
	s_load_dwordx2 s[0:1], s[0:1], 0x0
	s_load_dwordx2 s[2:3], s[2:3], 0x0
	v_cmp_lt_i64_e64 s8, s[36:37], 1
	s_ashr_i32 s7, s6, 31
	s_ashr_i32 s29, s28, 31
	s_lshl_b64 s[6:7], s[6:7], 6
	s_and_b32 vcc_lo, exec_lo, s8
	s_lshl_b64 s[8:9], s[28:29], 6
	s_cbranch_vccnz .LBB265_3
; %bb.1:
	v_lshl_add_u32 v6, v1, 4, v0
	v_and_b32_e32 v8, 3, v0
	s_add_u32 s18, s42, s10
	s_addc_u32 s19, s43, s11
	s_add_u32 s10, s48, s10
	v_lshrrev_b32_e32 v10, 2, v6
	v_lshrrev_b32_e32 v9, 6, v6
	s_load_dwordx2 s[18:19], s[18:19], 0x0
	s_addc_u32 s11, s49, s11
	v_and_b32_e32 v11, 63, v6
	v_add_co_u32 v4, s24, v10, s8
	v_add_co_ci_u32_e64 v5, null, 0, s9, s24
	v_mad_u64_u32 v[2:3], null, s44, v9, s[6:7]
	s_load_dwordx2 s[24:25], s[10:11], 0x0
	v_mad_u64_u32 v[4:5], null, s50, v8, v[4:5]
	v_lshlrev_b32_e32 v12, 4, v8
	s_lshl_b64 s[10:11], s[46:47], 4
	v_mov_b32_e32 v76, 0
	v_mov_b32_e32 v74, 0
	;; [unrolled: 1-line block ×3, first 2 shown]
	v_lshl_or_b32 v10, v10, 6, v12
	v_mad_u64_u32 v[6:7], null, s45, v9, v[3:4]
	v_mov_b32_e32 v3, v5
	v_add_co_u32 v5, vcc_lo, v2, v11
	v_lshlrev_b32_e32 v7, 4, v11
	s_waitcnt lgkmcnt(0)
	s_add_u32 s10, s18, s10
	v_mad_u64_u32 v[2:3], null, s51, v8, v[3:4]
	v_add_co_ci_u32_e64 v6, null, 0, v6, vcc_lo
	v_lshl_or_b32 v92, v9, 10, v7
	s_addc_u32 s11, s19, s11
	s_lshl_b64 s[12:13], s[12:13], 4
	v_lshlrev_b64 v[6:7], 4, v[5:6]
	v_mov_b32_e32 v5, v2
	v_add_nc_u32_e32 v93, 0x1000, v10
	v_mov_b32_e32 v12, 0
	v_mov_b32_e32 v10, 0
	;; [unrolled: 1-line block ×3, first 2 shown]
	v_lshlrev_b64 v[2:3], 4, v[4:5]
	v_add_co_u32 v26, vcc_lo, s10, v6
	v_add_co_ci_u32_e64 v27, null, s11, v7, vcc_lo
	s_lshl_b64 s[10:11], s[44:45], 6
	s_add_u32 s12, s24, s12
	s_addc_u32 s13, s25, s13
	v_add_co_u32 v28, vcc_lo, s12, v2
	v_mov_b32_e32 v20, 0
	v_mov_b32_e32 v18, 0
	v_mov_b32_e32 v40, 0
	v_mov_b32_e32 v38, 0
	v_mov_b32_e32 v50, 0
	v_mov_b32_e32 v44, 0
	v_mov_b32_e32 v60, 0
	v_mov_b32_e32 v56, 0
	v_mov_b32_e32 v68, 0
	v_mov_b32_e32 v66, 0
	v_mov_b32_e32 v46, 0
	v_mov_b32_e32 v42, 0
	v_mov_b32_e32 v58, 0
	v_mov_b32_e32 v54, 0
	v_mov_b32_e32 v64, 0
	v_mov_b32_e32 v62, 0
	v_mov_b32_e32 v72, 0
	v_mov_b32_e32 v70, 0
	v_mov_b32_e32 v24, 0
	v_mov_b32_e32 v22, 0
	v_mov_b32_e32 v32, 0
	v_mov_b32_e32 v30, 0
	v_mov_b32_e32 v36, 0
	v_mov_b32_e32 v34, 0
	v_mov_b32_e32 v52, 0
	v_mov_b32_e32 v48, 0
	v_lshlrev_b32_e32 v90, 4, v0
	v_lshl_add_u32 v91, v1, 6, 0x1000
	v_mov_b32_e32 v77, 0
	v_mov_b32_e32 v75, 0
	;; [unrolled: 1-line block ×32, first 2 shown]
	v_add_co_ci_u32_e64 v29, null, s13, v3, vcc_lo
	s_lshl_b64 s[12:13], s[50:51], 6
	s_mov_b64 s[18:19], 0
.LBB265_2:                              ; =>This Inner Loop Header: Depth=1
	flat_load_dwordx4 v[2:5], v[26:27]
	s_add_u32 s18, s18, 4
	s_addc_u32 s19, s19, 0
	v_add_co_u32 v26, vcc_lo, v26, s10
	v_cmp_lt_i64_e64 s24, s[18:19], s[36:37]
	v_add_co_ci_u32_e64 v27, null, s11, v27, vcc_lo
	s_waitcnt vmcnt(0) lgkmcnt(0)
	ds_write2_b64 v92, v[2:3], v[4:5] offset1:1
	flat_load_dwordx4 v[2:5], v[28:29]
	v_add_co_u32 v28, vcc_lo, v28, s12
	v_add_co_ci_u32_e64 v29, null, s13, v29, vcc_lo
	s_and_b32 vcc_lo, exec_lo, s24
	s_waitcnt vmcnt(0) lgkmcnt(0)
	ds_write2_b64 v93, v[2:3], v[4:5] offset1:1
	s_waitcnt lgkmcnt(0)
	s_barrier
	buffer_gl0_inv
	ds_read_b128 v[78:81], v91
	ds_read_b128 v[82:85], v91 offset:16
	ds_read_b128 v[6:9], v91 offset:32
	;; [unrolled: 1-line block ×3, first 2 shown]
	ds_read_b128 v[86:89], v90
	s_waitcnt lgkmcnt(0)
	v_mul_f64 v[94:95], v[80:81], v[88:89]
	v_mul_f64 v[96:97], v[78:79], v[88:89]
	v_fma_f64 v[94:95], v[78:79], v[86:87], -v[94:95]
	v_fma_f64 v[96:97], v[80:81], v[86:87], v[96:97]
	v_add_f64 v[98:99], v[48:49], v[94:95]
	v_add_f64 v[100:101], v[96:97], v[52:53]
	ds_read_b128 v[94:97], v90 offset:256
	s_waitcnt lgkmcnt(0)
	v_mul_f64 v[48:49], v[80:81], v[96:97]
	v_mul_f64 v[52:53], v[78:79], v[96:97]
	v_fma_f64 v[48:49], v[78:79], v[94:95], -v[48:49]
	v_fma_f64 v[52:53], v[80:81], v[94:95], v[52:53]
	v_add_f64 v[102:103], v[34:35], v[48:49]
	v_add_f64 v[104:105], v[52:53], v[36:37]
	ds_read_b128 v[34:37], v90 offset:512
	;; [unrolled: 8-line block ×4, first 2 shown]
	s_waitcnt lgkmcnt(0)
	v_mul_f64 v[48:49], v[24:25], v[88:89]
	v_mul_f64 v[52:53], v[22:23], v[88:89]
	v_fma_f64 v[48:49], v[22:23], v[86:87], -v[48:49]
	v_fma_f64 v[52:53], v[24:25], v[86:87], v[52:53]
	v_add_f64 v[70:71], v[70:71], v[48:49]
	v_mul_f64 v[48:49], v[24:25], v[96:97]
	v_add_f64 v[72:73], v[52:53], v[72:73]
	v_mul_f64 v[52:53], v[22:23], v[96:97]
	v_fma_f64 v[48:49], v[22:23], v[94:95], -v[48:49]
	v_fma_f64 v[52:53], v[24:25], v[94:95], v[52:53]
	v_add_f64 v[110:111], v[62:63], v[48:49]
	v_mul_f64 v[48:49], v[24:25], v[36:37]
	v_add_f64 v[112:113], v[52:53], v[64:65]
	;; [unrolled: 6-line block ×3, first 2 shown]
	v_fma_f64 v[48:49], v[22:23], v[30:31], -v[48:49]
	v_mul_f64 v[22:23], v[22:23], v[32:33]
	v_add_f64 v[118:119], v[42:43], v[48:49]
	v_fma_f64 v[22:23], v[24:25], v[30:31], v[22:23]
	v_add_f64 v[120:121], v[22:23], v[46:47]
	ds_read_b128 v[22:25], v91 offset:2048
	s_waitcnt lgkmcnt(0)
	v_mul_f64 v[42:43], v[24:25], v[88:89]
	v_mul_f64 v[46:47], v[22:23], v[88:89]
	v_fma_f64 v[42:43], v[22:23], v[86:87], -v[42:43]
	v_fma_f64 v[46:47], v[24:25], v[86:87], v[46:47]
	v_add_f64 v[122:123], v[66:67], v[42:43]
	v_mul_f64 v[42:43], v[24:25], v[96:97]
	v_add_f64 v[124:125], v[46:47], v[68:69]
	v_mul_f64 v[46:47], v[22:23], v[96:97]
	v_fma_f64 v[42:43], v[22:23], v[94:95], -v[42:43]
	v_fma_f64 v[46:47], v[24:25], v[94:95], v[46:47]
	v_add_f64 v[126:127], v[56:57], v[42:43]
	v_mul_f64 v[42:43], v[24:25], v[36:37]
	v_add_f64 v[128:129], v[46:47], v[60:61]
	;; [unrolled: 6-line block ×3, first 2 shown]
	v_fma_f64 v[42:43], v[22:23], v[30:31], -v[42:43]
	v_mul_f64 v[22:23], v[22:23], v[32:33]
	v_add_f64 v[134:135], v[38:39], v[42:43]
	v_fma_f64 v[22:23], v[24:25], v[30:31], v[22:23]
	v_add_f64 v[136:137], v[22:23], v[40:41]
	ds_read_b128 v[22:25], v91 offset:3072
	s_waitcnt lgkmcnt(0)
	v_mul_f64 v[38:39], v[24:25], v[88:89]
	v_mul_f64 v[40:41], v[22:23], v[88:89]
	v_fma_f64 v[38:39], v[22:23], v[86:87], -v[38:39]
	v_fma_f64 v[40:41], v[24:25], v[86:87], v[40:41]
	v_add_f64 v[58:59], v[18:19], v[38:39]
	v_add_f64 v[60:61], v[40:41], v[20:21]
	v_mul_f64 v[18:19], v[24:25], v[96:97]
	v_mul_f64 v[20:21], v[22:23], v[96:97]
	v_fma_f64 v[18:19], v[22:23], v[94:95], -v[18:19]
	v_fma_f64 v[20:21], v[24:25], v[94:95], v[20:21]
	v_add_f64 v[54:55], v[14:15], v[18:19]
	v_add_f64 v[56:57], v[20:21], v[16:17]
	v_mul_f64 v[14:15], v[24:25], v[36:37]
	v_mul_f64 v[16:17], v[22:23], v[36:37]
	ds_read_b128 v[18:21], v90 offset:1280
	v_fma_f64 v[14:15], v[22:23], v[34:35], -v[14:15]
	v_fma_f64 v[16:17], v[24:25], v[34:35], v[16:17]
	v_add_f64 v[50:51], v[10:11], v[14:15]
	v_add_f64 v[52:53], v[16:17], v[12:13]
	v_mul_f64 v[10:11], v[24:25], v[32:33]
	v_mul_f64 v[12:13], v[22:23], v[32:33]
	ds_read_b128 v[14:17], v90 offset:1536
	v_fma_f64 v[10:11], v[22:23], v[30:31], -v[10:11]
	v_fma_f64 v[12:13], v[24:25], v[30:31], v[12:13]
	ds_read_b128 v[22:25], v90 offset:1024
	v_add_f64 v[46:47], v[74:75], v[10:11]
	v_add_f64 v[48:49], v[12:13], v[76:77]
	s_waitcnt lgkmcnt(0)
	v_mul_f64 v[10:11], v[84:85], v[24:25]
	v_mul_f64 v[12:13], v[82:83], v[24:25]
	ds_read_b128 v[74:77], v91 offset:1040
	v_fma_f64 v[10:11], v[82:83], v[22:23], -v[10:11]
	v_fma_f64 v[12:13], v[84:85], v[22:23], v[12:13]
	s_waitcnt lgkmcnt(0)
	v_mul_f64 v[62:63], v[76:77], v[24:25]
	v_mul_f64 v[64:65], v[74:75], v[24:25]
	;; [unrolled: 1-line block ×4, first 2 shown]
	v_add_f64 v[42:43], v[98:99], v[10:11]
	v_add_f64 v[44:45], v[12:13], v[100:101]
	v_mul_f64 v[10:11], v[84:85], v[20:21]
	v_mul_f64 v[12:13], v[82:83], v[20:21]
	v_fma_f64 v[62:63], v[74:75], v[22:23], -v[62:63]
	v_fma_f64 v[64:65], v[76:77], v[22:23], v[64:65]
	v_fma_f64 v[66:67], v[74:75], v[18:19], -v[66:67]
	v_fma_f64 v[68:69], v[76:77], v[18:19], v[68:69]
	;; [unrolled: 2-line block ×3, first 2 shown]
	v_add_f64 v[62:63], v[70:71], v[62:63]
	v_mul_f64 v[70:71], v[76:77], v[16:17]
	v_add_f64 v[64:65], v[64:65], v[72:73]
	v_mul_f64 v[72:73], v[74:75], v[16:17]
	v_add_f64 v[66:67], v[110:111], v[66:67]
	v_add_f64 v[68:69], v[68:69], v[112:113]
	v_add_f64 v[38:39], v[102:103], v[10:11]
	v_add_f64 v[40:41], v[12:13], v[104:105]
	v_mul_f64 v[10:11], v[84:85], v[16:17]
	v_mul_f64 v[12:13], v[82:83], v[16:17]
	v_fma_f64 v[70:71], v[74:75], v[14:15], -v[70:71]
	v_fma_f64 v[72:73], v[76:77], v[14:15], v[72:73]
	v_fma_f64 v[10:11], v[82:83], v[14:15], -v[10:11]
	v_fma_f64 v[12:13], v[84:85], v[14:15], v[12:13]
	v_add_f64 v[70:71], v[114:115], v[70:71]
	v_add_f64 v[72:73], v[72:73], v[116:117]
	;; [unrolled: 1-line block ×4, first 2 shown]
	ds_read_b128 v[10:13], v90 offset:1792
	s_waitcnt lgkmcnt(0)
	v_mul_f64 v[30:31], v[84:85], v[12:13]
	v_mul_f64 v[32:33], v[82:83], v[12:13]
	v_fma_f64 v[30:31], v[82:83], v[10:11], -v[30:31]
	v_fma_f64 v[32:33], v[84:85], v[10:11], v[32:33]
	v_add_f64 v[30:31], v[78:79], v[30:31]
	v_mul_f64 v[78:79], v[76:77], v[12:13]
	v_add_f64 v[32:33], v[32:33], v[80:81]
	v_fma_f64 v[78:79], v[74:75], v[10:11], -v[78:79]
	v_mul_f64 v[74:75], v[74:75], v[12:13]
	v_fma_f64 v[76:77], v[76:77], v[10:11], v[74:75]
	v_add_f64 v[74:75], v[118:119], v[78:79]
	ds_read_b128 v[78:81], v91 offset:2064
	s_waitcnt lgkmcnt(0)
	v_mul_f64 v[82:83], v[80:81], v[24:25]
	v_mul_f64 v[86:87], v[80:81], v[20:21]
	;; [unrolled: 1-line block ×7, first 2 shown]
	v_add_f64 v[76:77], v[76:77], v[120:121]
	v_fma_f64 v[82:83], v[78:79], v[22:23], -v[82:83]
	v_fma_f64 v[86:87], v[78:79], v[18:19], -v[86:87]
	;; [unrolled: 1-line block ×4, first 2 shown]
	v_mul_f64 v[78:79], v[78:79], v[12:13]
	v_fma_f64 v[84:85], v[80:81], v[22:23], v[84:85]
	v_fma_f64 v[88:89], v[80:81], v[18:19], v[88:89]
	;; [unrolled: 1-line block ×3, first 2 shown]
	v_add_f64 v[82:83], v[122:123], v[82:83]
	v_add_f64 v[86:87], v[126:127], v[86:87]
	;; [unrolled: 1-line block ×4, first 2 shown]
	v_fma_f64 v[78:79], v[80:81], v[10:11], v[78:79]
	v_add_f64 v[84:85], v[84:85], v[124:125]
	v_add_f64 v[88:89], v[88:89], v[128:129]
	;; [unrolled: 1-line block ×4, first 2 shown]
	ds_read_b128 v[78:81], v91 offset:3088
	s_waitcnt lgkmcnt(0)
	v_mul_f64 v[102:103], v[80:81], v[24:25]
	v_mul_f64 v[24:25], v[78:79], v[24:25]
	v_fma_f64 v[102:103], v[78:79], v[22:23], -v[102:103]
	v_fma_f64 v[22:23], v[80:81], v[22:23], v[24:25]
	v_add_f64 v[58:59], v[58:59], v[102:103]
	v_add_f64 v[60:61], v[22:23], v[60:61]
	v_mul_f64 v[22:23], v[80:81], v[20:21]
	v_mul_f64 v[20:21], v[78:79], v[20:21]
	v_fma_f64 v[22:23], v[78:79], v[18:19], -v[22:23]
	v_fma_f64 v[18:19], v[80:81], v[18:19], v[20:21]
	v_add_f64 v[54:55], v[54:55], v[22:23]
	v_add_f64 v[56:57], v[18:19], v[56:57]
	;; [unrolled: 6-line block ×4, first 2 shown]
	ds_read_b128 v[10:13], v90 offset:2048
	s_waitcnt lgkmcnt(0)
	v_mul_f64 v[14:15], v[8:9], v[12:13]
	v_mul_f64 v[16:17], v[6:7], v[12:13]
	v_fma_f64 v[14:15], v[6:7], v[10:11], -v[14:15]
	v_fma_f64 v[16:17], v[8:9], v[10:11], v[16:17]
	v_add_f64 v[42:43], v[42:43], v[14:15]
	v_add_f64 v[44:45], v[16:17], v[44:45]
	ds_read_b128 v[14:17], v90 offset:2304
	s_waitcnt lgkmcnt(0)
	v_mul_f64 v[18:19], v[8:9], v[16:17]
	v_mul_f64 v[20:21], v[6:7], v[16:17]
	v_fma_f64 v[18:19], v[6:7], v[14:15], -v[18:19]
	v_fma_f64 v[20:21], v[8:9], v[14:15], v[20:21]
	v_add_f64 v[38:39], v[38:39], v[18:19]
	v_add_f64 v[40:41], v[20:21], v[40:41]
	;; [unrolled: 8-line block ×3, first 2 shown]
	ds_read_b128 v[22:25], v90 offset:2816
	s_waitcnt lgkmcnt(0)
	v_mul_f64 v[34:35], v[8:9], v[24:25]
	v_fma_f64 v[34:35], v[6:7], v[22:23], -v[34:35]
	v_mul_f64 v[6:7], v[6:7], v[24:25]
	v_add_f64 v[106:107], v[30:31], v[34:35]
	v_fma_f64 v[6:7], v[8:9], v[22:23], v[6:7]
	v_add_f64 v[108:109], v[6:7], v[32:33]
	ds_read_b128 v[6:9], v91 offset:1056
	s_waitcnt lgkmcnt(0)
	v_mul_f64 v[30:31], v[8:9], v[12:13]
	v_mul_f64 v[32:33], v[6:7], v[12:13]
	v_fma_f64 v[30:31], v[6:7], v[10:11], -v[30:31]
	v_fma_f64 v[32:33], v[8:9], v[10:11], v[32:33]
	v_add_f64 v[62:63], v[62:63], v[30:31]
	v_mul_f64 v[30:31], v[8:9], v[16:17]
	v_add_f64 v[64:65], v[32:33], v[64:65]
	v_mul_f64 v[32:33], v[6:7], v[16:17]
	v_fma_f64 v[30:31], v[6:7], v[14:15], -v[30:31]
	v_fma_f64 v[32:33], v[8:9], v[14:15], v[32:33]
	v_add_f64 v[66:67], v[66:67], v[30:31]
	v_mul_f64 v[30:31], v[8:9], v[20:21]
	v_add_f64 v[68:69], v[32:33], v[68:69]
	;; [unrolled: 6-line block ×3, first 2 shown]
	v_fma_f64 v[30:31], v[6:7], v[22:23], -v[30:31]
	v_mul_f64 v[6:7], v[6:7], v[24:25]
	v_add_f64 v[114:115], v[74:75], v[30:31]
	v_fma_f64 v[6:7], v[8:9], v[22:23], v[6:7]
	v_add_f64 v[116:117], v[6:7], v[76:77]
	ds_read_b128 v[6:9], v91 offset:2080
	s_waitcnt lgkmcnt(0)
	v_mul_f64 v[30:31], v[8:9], v[12:13]
	v_mul_f64 v[32:33], v[6:7], v[12:13]
	v_fma_f64 v[30:31], v[6:7], v[10:11], -v[30:31]
	v_fma_f64 v[32:33], v[8:9], v[10:11], v[32:33]
	v_add_f64 v[118:119], v[82:83], v[30:31]
	v_mul_f64 v[30:31], v[8:9], v[16:17]
	v_add_f64 v[120:121], v[32:33], v[84:85]
	v_mul_f64 v[32:33], v[6:7], v[16:17]
	v_fma_f64 v[30:31], v[6:7], v[14:15], -v[30:31]
	v_fma_f64 v[32:33], v[8:9], v[14:15], v[32:33]
	v_add_f64 v[122:123], v[86:87], v[30:31]
	v_mul_f64 v[30:31], v[8:9], v[20:21]
	v_add_f64 v[124:125], v[32:33], v[88:89]
	;; [unrolled: 6-line block ×3, first 2 shown]
	v_fma_f64 v[30:31], v[6:7], v[22:23], -v[30:31]
	v_mul_f64 v[6:7], v[6:7], v[24:25]
	v_add_f64 v[98:99], v[98:99], v[30:31]
	v_fma_f64 v[6:7], v[8:9], v[22:23], v[6:7]
	v_add_f64 v[100:101], v[6:7], v[100:101]
	ds_read_b128 v[6:9], v91 offset:3104
	s_waitcnt lgkmcnt(0)
	v_mul_f64 v[30:31], v[8:9], v[12:13]
	v_mul_f64 v[12:13], v[6:7], v[12:13]
	v_fma_f64 v[30:31], v[6:7], v[10:11], -v[30:31]
	v_fma_f64 v[10:11], v[8:9], v[10:11], v[12:13]
	v_mul_f64 v[12:13], v[6:7], v[16:17]
	v_add_f64 v[86:87], v[58:59], v[30:31]
	v_add_f64 v[88:89], v[10:11], v[60:61]
	v_mul_f64 v[10:11], v[8:9], v[16:17]
	v_fma_f64 v[12:13], v[8:9], v[14:15], v[12:13]
	v_fma_f64 v[10:11], v[6:7], v[14:15], -v[10:11]
	v_add_f64 v[84:85], v[12:13], v[56:57]
	v_mul_f64 v[12:13], v[6:7], v[20:21]
	ds_read_b128 v[14:17], v90 offset:3328
	v_add_f64 v[82:83], v[54:55], v[10:11]
	v_mul_f64 v[10:11], v[8:9], v[20:21]
	v_fma_f64 v[12:13], v[8:9], v[18:19], v[12:13]
	v_fma_f64 v[10:11], v[6:7], v[18:19], -v[10:11]
	ds_read_b128 v[18:21], v90 offset:3072
	v_add_f64 v[80:81], v[12:13], v[52:53]
	v_add_f64 v[78:79], v[50:51], v[10:11]
	v_mul_f64 v[10:11], v[8:9], v[24:25]
	v_fma_f64 v[10:11], v[6:7], v[22:23], -v[10:11]
	v_mul_f64 v[6:7], v[6:7], v[24:25]
	v_add_f64 v[74:75], v[46:47], v[10:11]
	v_fma_f64 v[6:7], v[8:9], v[22:23], v[6:7]
	s_waitcnt lgkmcnt(0)
	v_mul_f64 v[8:9], v[2:3], v[20:21]
	ds_read_b128 v[10:13], v90 offset:3584
	v_add_f64 v[76:77], v[6:7], v[48:49]
	v_mul_f64 v[6:7], v[4:5], v[20:21]
	v_fma_f64 v[8:9], v[4:5], v[18:19], v[8:9]
	v_fma_f64 v[6:7], v[2:3], v[18:19], -v[6:7]
	v_add_f64 v[52:53], v[8:9], v[44:45]
	v_mul_f64 v[8:9], v[2:3], v[16:17]
	v_add_f64 v[48:49], v[42:43], v[6:7]
	v_mul_f64 v[6:7], v[4:5], v[16:17]
	v_fma_f64 v[8:9], v[4:5], v[14:15], v[8:9]
	v_fma_f64 v[6:7], v[2:3], v[14:15], -v[6:7]
	v_add_f64 v[36:37], v[8:9], v[40:41]
	s_waitcnt lgkmcnt(0)
	v_mul_f64 v[8:9], v[2:3], v[12:13]
	v_add_f64 v[34:35], v[38:39], v[6:7]
	v_mul_f64 v[6:7], v[4:5], v[12:13]
	v_fma_f64 v[8:9], v[4:5], v[10:11], v[8:9]
	v_fma_f64 v[6:7], v[2:3], v[10:11], -v[6:7]
	v_add_f64 v[32:33], v[8:9], v[104:105]
	v_add_f64 v[30:31], v[102:103], v[6:7]
	ds_read_b128 v[6:9], v90 offset:3840
	s_waitcnt lgkmcnt(0)
	v_mul_f64 v[22:23], v[4:5], v[8:9]
	v_fma_f64 v[22:23], v[2:3], v[6:7], -v[22:23]
	v_mul_f64 v[2:3], v[2:3], v[8:9]
	v_add_f64 v[22:23], v[106:107], v[22:23]
	v_fma_f64 v[2:3], v[4:5], v[6:7], v[2:3]
	v_add_f64 v[24:25], v[2:3], v[108:109]
	ds_read_b128 v[2:5], v91 offset:1072
	s_waitcnt lgkmcnt(0)
	v_mul_f64 v[38:39], v[4:5], v[20:21]
	v_mul_f64 v[40:41], v[2:3], v[20:21]
	v_fma_f64 v[38:39], v[2:3], v[18:19], -v[38:39]
	v_fma_f64 v[40:41], v[4:5], v[18:19], v[40:41]
	v_add_f64 v[70:71], v[62:63], v[38:39]
	v_mul_f64 v[38:39], v[4:5], v[16:17]
	v_add_f64 v[72:73], v[40:41], v[64:65]
	v_mul_f64 v[40:41], v[2:3], v[16:17]
	v_fma_f64 v[38:39], v[2:3], v[14:15], -v[38:39]
	v_fma_f64 v[40:41], v[4:5], v[14:15], v[40:41]
	v_add_f64 v[62:63], v[66:67], v[38:39]
	v_mul_f64 v[38:39], v[4:5], v[12:13]
	v_add_f64 v[64:65], v[40:41], v[68:69]
	;; [unrolled: 6-line block ×3, first 2 shown]
	v_fma_f64 v[38:39], v[2:3], v[6:7], -v[38:39]
	v_mul_f64 v[2:3], v[2:3], v[8:9]
	v_add_f64 v[42:43], v[114:115], v[38:39]
	v_fma_f64 v[2:3], v[4:5], v[6:7], v[2:3]
	v_add_f64 v[46:47], v[2:3], v[116:117]
	ds_read_b128 v[2:5], v91 offset:2096
	s_waitcnt lgkmcnt(0)
	v_mul_f64 v[38:39], v[4:5], v[20:21]
	v_mul_f64 v[40:41], v[2:3], v[20:21]
	v_fma_f64 v[38:39], v[2:3], v[18:19], -v[38:39]
	v_fma_f64 v[40:41], v[4:5], v[18:19], v[40:41]
	v_add_f64 v[66:67], v[118:119], v[38:39]
	v_mul_f64 v[38:39], v[4:5], v[16:17]
	v_add_f64 v[68:69], v[40:41], v[120:121]
	v_mul_f64 v[40:41], v[2:3], v[16:17]
	v_fma_f64 v[38:39], v[2:3], v[14:15], -v[38:39]
	v_fma_f64 v[40:41], v[4:5], v[14:15], v[40:41]
	v_add_f64 v[56:57], v[122:123], v[38:39]
	v_mul_f64 v[38:39], v[4:5], v[12:13]
	v_add_f64 v[60:61], v[40:41], v[124:125]
	;; [unrolled: 6-line block ×3, first 2 shown]
	v_fma_f64 v[38:39], v[2:3], v[6:7], -v[38:39]
	v_mul_f64 v[2:3], v[2:3], v[8:9]
	v_add_f64 v[38:39], v[98:99], v[38:39]
	v_fma_f64 v[2:3], v[4:5], v[6:7], v[2:3]
	v_add_f64 v[40:41], v[2:3], v[100:101]
	ds_read_b128 v[2:5], v91 offset:3120
	s_waitcnt lgkmcnt(0)
	s_barrier
	buffer_gl0_inv
	v_mul_f64 v[94:95], v[4:5], v[20:21]
	v_mul_f64 v[20:21], v[2:3], v[20:21]
	v_fma_f64 v[94:95], v[2:3], v[18:19], -v[94:95]
	v_fma_f64 v[20:21], v[4:5], v[18:19], v[20:21]
	v_add_f64 v[18:19], v[86:87], v[94:95]
	v_mul_f64 v[86:87], v[4:5], v[16:17]
	v_mul_f64 v[16:17], v[2:3], v[16:17]
	v_add_f64 v[20:21], v[20:21], v[88:89]
	v_fma_f64 v[86:87], v[2:3], v[14:15], -v[86:87]
	v_fma_f64 v[16:17], v[4:5], v[14:15], v[16:17]
	v_add_f64 v[14:15], v[82:83], v[86:87]
	v_mul_f64 v[82:83], v[4:5], v[12:13]
	v_mul_f64 v[12:13], v[2:3], v[12:13]
	v_add_f64 v[16:17], v[16:17], v[84:85]
	v_fma_f64 v[82:83], v[2:3], v[10:11], -v[82:83]
	v_fma_f64 v[12:13], v[4:5], v[10:11], v[12:13]
	v_add_f64 v[10:11], v[78:79], v[82:83]
	v_mul_f64 v[78:79], v[4:5], v[8:9]
	v_add_f64 v[12:13], v[12:13], v[80:81]
	v_fma_f64 v[78:79], v[2:3], v[6:7], -v[78:79]
	v_mul_f64 v[2:3], v[2:3], v[8:9]
	v_add_f64 v[74:75], v[74:75], v[78:79]
	v_fma_f64 v[2:3], v[4:5], v[6:7], v[2:3]
	v_add_f64 v[76:77], v[2:3], v[76:77]
	s_cbranch_vccnz .LBB265_2
	s_branch .LBB265_4
.LBB265_3:
	v_mov_b32_e32 v48, 0
	v_mov_b32_e32 v52, 0
	;; [unrolled: 1-line block ×64, first 2 shown]
.LBB265_4:
	s_load_dwordx2 s[4:5], s[4:5], 0x90
	v_cmp_neq_f64_e64 s10, s[14:15], 0
	v_cmp_neq_f64_e64 s11, s[16:17], 0
	v_add_co_u32 v6, s8, s8, v1
	v_add_co_ci_u32_e64 v7, null, s9, 0, s8
	s_waitcnt lgkmcnt(0)
	s_lshl_b64 s[4:5], s[4:5], 4
	s_add_u32 s4, s2, s4
	s_addc_u32 s5, s3, s5
	v_add_co_u32 v0, s3, s6, v0
	v_add_co_ci_u32_e64 v1, null, s7, 0, s3
	s_or_b32 s2, s10, s11
	s_and_b32 vcc_lo, exec_lo, s2
	s_cbranch_vccnz .LBB265_6
; %bb.5:
	v_mul_f64 v[4:5], s[40:41], v[52:53]
	v_mul_f64 v[8:9], s[38:39], v[52:53]
	v_mul_lo_u32 v78, v7, s26
	v_mul_lo_u32 v79, v6, s27
	v_mad_u64_u32 v[2:3], null, v6, s26, 0
	v_mul_f64 v[26:27], s[40:41], v[36:37]
	v_mul_f64 v[28:29], s[38:39], v[36:37]
	;; [unrolled: 1-line block ×6, first 2 shown]
	v_add3_u32 v3, v3, v79, v78
	v_mul_f64 v[78:79], s[40:41], v[32:33]
	v_mul_f64 v[88:89], s[38:39], v[72:73]
	;; [unrolled: 1-line block ×4, first 2 shown]
	v_lshlrev_b64 v[2:3], 4, v[2:3]
	v_mul_f64 v[94:95], s[40:41], v[58:59]
	v_mul_f64 v[96:97], s[38:39], v[58:59]
	;; [unrolled: 1-line block ×4, first 2 shown]
	s_lshl_b64 s[2:3], s[26:27], 8
	v_add_co_u32 v104, vcc_lo, s4, v2
	v_add_co_ci_u32_e64 v105, null, s5, v3, vcc_lo
	v_fma_f64 v[2:3], s[38:39], v[48:49], -v[4:5]
	v_fma_f64 v[4:5], s[40:41], v[48:49], v[8:9]
	v_lshlrev_b64 v[8:9], 4, v[0:1]
	v_fma_f64 v[26:27], s[38:39], v[34:35], -v[26:27]
	v_fma_f64 v[28:29], s[40:41], v[34:35], v[28:29]
	v_fma_f64 v[80:81], s[40:41], v[30:31], v[80:81]
	v_fma_f64 v[82:83], s[38:39], v[22:23], -v[82:83]
	v_fma_f64 v[84:85], s[40:41], v[22:23], v[84:85]
	v_add_co_u32 v102, vcc_lo, v104, v8
	v_fma_f64 v[78:79], s[38:39], v[30:31], -v[78:79]
	v_add_co_ci_u32_e64 v103, null, v105, v9, vcc_lo
	v_fma_f64 v[86:87], s[38:39], v[70:71], -v[86:87]
	v_fma_f64 v[88:89], s[40:41], v[70:71], v[88:89]
	v_fma_f64 v[90:91], s[38:39], v[62:63], -v[90:91]
	v_fma_f64 v[92:93], s[40:41], v[62:63], v[92:93]
	v_fma_f64 v[94:95], s[38:39], v[54:55], -v[94:95]
	v_fma_f64 v[96:97], s[40:41], v[54:55], v[96:97]
	v_add_co_u32 v106, vcc_lo, v104, s2
	v_add_co_ci_u32_e64 v107, null, s3, v105, vcc_lo
	flat_store_dwordx4 v[102:103], v[2:5]
	v_fma_f64 v[2:3], s[38:39], v[42:43], -v[98:99]
	v_fma_f64 v[4:5], s[40:41], v[42:43], v[100:101]
	v_add_co_u32 v104, vcc_lo, v106, v8
	v_add_co_ci_u32_e64 v105, null, v107, v9, vcc_lo
	flat_store_dwordx4 v[102:103], v[26:29] offset:256
	flat_store_dwordx4 v[102:103], v[78:81] offset:512
	;; [unrolled: 1-line block ×3, first 2 shown]
	flat_store_dwordx4 v[104:105], v[86:89]
	flat_store_dwordx4 v[104:105], v[90:93] offset:256
	flat_store_dwordx4 v[104:105], v[94:97] offset:512
	v_mul_f64 v[26:27], s[40:41], v[68:69]
	v_mul_f64 v[28:29], s[38:39], v[68:69]
	;; [unrolled: 1-line block ×12, first 2 shown]
	flat_store_dwordx4 v[104:105], v[2:5] offset:768
	v_mul_f64 v[2:3], s[40:41], v[76:77]
	v_mul_f64 v[4:5], s[38:39], v[76:77]
	;; [unrolled: 1-line block ×4, first 2 shown]
	v_add_co_u32 v104, vcc_lo, v106, s2
	v_add_co_ci_u32_e64 v105, null, s3, v107, vcc_lo
	v_fma_f64 v[26:27], s[38:39], v[66:67], -v[26:27]
	v_fma_f64 v[28:29], s[40:41], v[66:67], v[28:29]
	v_fma_f64 v[78:79], s[38:39], v[56:57], -v[78:79]
	v_fma_f64 v[80:81], s[40:41], v[56:57], v[80:81]
	;; [unrolled: 2-line block ×6, first 2 shown]
	v_add_co_u32 v106, vcc_lo, v104, s2
	v_fma_f64 v[102:103], s[38:39], v[74:75], -v[2:3]
	v_fma_f64 v[2:3], s[40:41], v[74:75], v[4:5]
	v_fma_f64 v[98:99], s[38:39], v[10:11], -v[98:99]
	v_fma_f64 v[100:101], s[40:41], v[10:11], v[100:101]
	v_add_co_ci_u32_e64 v107, null, s3, v105, vcc_lo
	v_add_co_u32 v4, vcc_lo, v104, v8
	v_add_co_ci_u32_e64 v5, null, v105, v9, vcc_lo
	v_add_co_u32 v8, vcc_lo, v106, v8
	v_add_co_ci_u32_e64 v9, null, v107, v9, vcc_lo
	flat_store_dwordx4 v[4:5], v[26:29]
	flat_store_dwordx4 v[4:5], v[78:81] offset:256
	flat_store_dwordx4 v[4:5], v[82:85] offset:512
	;; [unrolled: 1-line block ×3, first 2 shown]
	flat_store_dwordx4 v[8:9], v[90:93]
	v_add_co_u32 v4, vcc_lo, 0x300, v8
	v_add_co_ci_u32_e64 v5, null, 0, v9, vcc_lo
	flat_store_dwordx4 v[8:9], v[94:97] offset:256
	flat_store_dwordx4 v[8:9], v[98:101] offset:512
	flat_store_dwordx2 v[8:9], v[102:103] offset:768
	s_cbranch_execz .LBB265_7
	s_branch .LBB265_8
.LBB265_6:
                                        ; implicit-def: $vgpr2_vgpr3
                                        ; implicit-def: $vgpr4_vgpr5
.LBB265_7:
	v_mul_lo_u32 v4, v7, s20
	v_mul_lo_u32 v5, v6, s21
	v_mad_u64_u32 v[2:3], null, v6, s20, 0
	s_lshl_b64 s[2:3], s[22:23], 4
	v_mul_f64 v[26:27], s[40:41], v[52:53]
	s_add_u32 s0, s0, s2
	s_addc_u32 s1, s1, s3
	v_mul_f64 v[28:29], s[38:39], v[52:53]
	s_lshl_b64 s[2:3], s[26:27], 8
	v_add3_u32 v3, v3, v5, v4
	v_lshlrev_b64 v[4:5], 4, v[0:1]
	v_lshlrev_b64 v[2:3], 4, v[2:3]
	v_add_co_u32 v78, vcc_lo, s0, v2
	v_add_co_ci_u32_e64 v79, null, s1, v3, vcc_lo
	s_lshl_b64 s[0:1], s[20:21], 8
	v_add_co_u32 v8, vcc_lo, v78, v4
	v_add_co_ci_u32_e64 v9, null, v79, v5, vcc_lo
	v_fma_f64 v[26:27], s[38:39], v[48:49], -v[26:27]
	v_fma_f64 v[28:29], s[40:41], v[48:49], v[28:29]
	flat_load_dwordx4 v[0:3], v[8:9]
	s_waitcnt vmcnt(0) lgkmcnt(0)
	v_mul_f64 v[52:53], s[16:17], v[2:3]
	v_mul_f64 v[2:3], s[14:15], v[2:3]
	v_fma_f64 v[48:49], s[14:15], v[0:1], -v[52:53]
	v_fma_f64 v[2:3], s[16:17], v[0:1], v[2:3]
	v_mul_lo_u32 v0, v7, s26
	v_mul_lo_u32 v1, v6, s27
	v_mad_u64_u32 v[6:7], null, v6, s26, 0
	v_add3_u32 v7, v7, v1, v0
	v_lshlrev_b64 v[6:7], 4, v[6:7]
	v_add_f64 v[0:1], v[26:27], v[48:49]
	v_add_f64 v[2:3], v[28:29], v[2:3]
	v_add_co_u32 v48, vcc_lo, s4, v6
	v_add_co_ci_u32_e64 v49, null, s5, v7, vcc_lo
	v_mul_f64 v[26:27], s[40:41], v[36:37]
	v_add_co_u32 v6, vcc_lo, v48, v4
	v_add_co_ci_u32_e64 v7, null, v49, v5, vcc_lo
	v_mul_f64 v[28:29], s[38:39], v[36:37]
	flat_store_dwordx4 v[6:7], v[0:3]
	flat_load_dwordx4 v[0:3], v[8:9] offset:256
	v_fma_f64 v[26:27], s[38:39], v[34:35], -v[26:27]
	v_fma_f64 v[28:29], s[40:41], v[34:35], v[28:29]
	s_waitcnt vmcnt(0) lgkmcnt(0)
	v_mul_f64 v[36:37], s[16:17], v[2:3]
	v_mul_f64 v[2:3], s[14:15], v[2:3]
	v_fma_f64 v[34:35], s[14:15], v[0:1], -v[36:37]
	v_fma_f64 v[2:3], s[16:17], v[0:1], v[2:3]
	v_add_f64 v[0:1], v[26:27], v[34:35]
	v_add_f64 v[2:3], v[28:29], v[2:3]
	v_mul_f64 v[26:27], s[40:41], v[32:33]
	v_mul_f64 v[28:29], s[38:39], v[32:33]
	flat_store_dwordx4 v[6:7], v[0:3] offset:256
	flat_load_dwordx4 v[0:3], v[8:9] offset:512
	v_fma_f64 v[26:27], s[38:39], v[30:31], -v[26:27]
	v_fma_f64 v[28:29], s[40:41], v[30:31], v[28:29]
	s_waitcnt vmcnt(0) lgkmcnt(0)
	v_mul_f64 v[32:33], s[16:17], v[2:3]
	v_mul_f64 v[2:3], s[14:15], v[2:3]
	v_fma_f64 v[30:31], s[14:15], v[0:1], -v[32:33]
	v_fma_f64 v[2:3], s[16:17], v[0:1], v[2:3]
	v_add_f64 v[0:1], v[26:27], v[30:31]
	v_add_f64 v[2:3], v[28:29], v[2:3]
	v_add_co_u32 v28, vcc_lo, v78, s0
	v_add_co_ci_u32_e64 v29, null, s1, v79, vcc_lo
	flat_store_dwordx4 v[6:7], v[0:3] offset:512
	flat_load_dwordx4 v[0:3], v[8:9] offset:768
	v_mul_f64 v[8:9], s[40:41], v[24:25]
	v_mul_f64 v[24:25], s[38:39], v[24:25]
	v_fma_f64 v[8:9], s[38:39], v[22:23], -v[8:9]
	v_fma_f64 v[22:23], s[40:41], v[22:23], v[24:25]
	s_waitcnt vmcnt(0) lgkmcnt(0)
	v_mul_f64 v[26:27], s[16:17], v[2:3]
	v_mul_f64 v[2:3], s[14:15], v[2:3]
	v_fma_f64 v[24:25], s[14:15], v[0:1], -v[26:27]
	v_fma_f64 v[2:3], s[16:17], v[0:1], v[2:3]
	v_add_f64 v[0:1], v[8:9], v[24:25]
	v_add_f64 v[2:3], v[22:23], v[2:3]
	v_add_co_u32 v8, vcc_lo, v28, v4
	v_add_co_ci_u32_e64 v9, null, v29, v5, vcc_lo
	v_mul_f64 v[22:23], s[38:39], v[72:73]
	v_add_co_u32 v30, vcc_lo, v48, s2
	v_add_co_ci_u32_e64 v31, null, s3, v49, vcc_lo
	flat_store_dwordx4 v[6:7], v[0:3] offset:768
	flat_load_dwordx4 v[0:3], v[8:9]
	v_mul_f64 v[6:7], s[40:41], v[72:73]
	v_fma_f64 v[22:23], s[40:41], v[70:71], v[22:23]
	v_fma_f64 v[6:7], s[38:39], v[70:71], -v[6:7]
	s_waitcnt vmcnt(0) lgkmcnt(0)
	v_mul_f64 v[24:25], s[16:17], v[2:3]
	v_mul_f64 v[2:3], s[14:15], v[2:3]
	v_fma_f64 v[24:25], s[14:15], v[0:1], -v[24:25]
	v_fma_f64 v[2:3], s[16:17], v[0:1], v[2:3]
	v_add_f64 v[0:1], v[6:7], v[24:25]
	v_add_f64 v[2:3], v[22:23], v[2:3]
	v_add_co_u32 v6, vcc_lo, v30, v4
	v_add_co_ci_u32_e64 v7, null, v31, v5, vcc_lo
	v_mul_f64 v[22:23], s[40:41], v[64:65]
	v_mul_f64 v[24:25], s[38:39], v[64:65]
	v_add_co_u32 v28, vcc_lo, v28, s0
	v_add_co_ci_u32_e64 v29, null, s1, v29, vcc_lo
	flat_store_dwordx4 v[6:7], v[0:3]
	flat_load_dwordx4 v[0:3], v[8:9] offset:256
	v_fma_f64 v[22:23], s[38:39], v[62:63], -v[22:23]
	v_fma_f64 v[24:25], s[40:41], v[62:63], v[24:25]
	s_waitcnt vmcnt(0) lgkmcnt(0)
	v_mul_f64 v[26:27], s[16:17], v[2:3]
	v_mul_f64 v[2:3], s[14:15], v[2:3]
	v_fma_f64 v[26:27], s[14:15], v[0:1], -v[26:27]
	v_fma_f64 v[2:3], s[16:17], v[0:1], v[2:3]
	v_add_f64 v[0:1], v[22:23], v[26:27]
	v_add_f64 v[2:3], v[24:25], v[2:3]
	v_mul_f64 v[22:23], s[40:41], v[58:59]
	v_mul_f64 v[24:25], s[38:39], v[58:59]
	flat_store_dwordx4 v[6:7], v[0:3] offset:256
	flat_load_dwordx4 v[0:3], v[8:9] offset:512
	v_fma_f64 v[22:23], s[38:39], v[54:55], -v[22:23]
	v_fma_f64 v[24:25], s[40:41], v[54:55], v[24:25]
	s_waitcnt vmcnt(0) lgkmcnt(0)
	v_mul_f64 v[26:27], s[16:17], v[2:3]
	v_mul_f64 v[2:3], s[14:15], v[2:3]
	v_fma_f64 v[26:27], s[14:15], v[0:1], -v[26:27]
	v_fma_f64 v[2:3], s[16:17], v[0:1], v[2:3]
	v_add_f64 v[0:1], v[22:23], v[26:27]
	v_add_f64 v[2:3], v[24:25], v[2:3]
	v_mul_f64 v[22:23], s[38:39], v[46:47]
	flat_store_dwordx4 v[6:7], v[0:3] offset:512
	flat_load_dwordx4 v[0:3], v[8:9] offset:768
	v_mul_f64 v[8:9], s[40:41], v[46:47]
	v_fma_f64 v[22:23], s[40:41], v[42:43], v[22:23]
	v_fma_f64 v[8:9], s[38:39], v[42:43], -v[8:9]
	s_waitcnt vmcnt(0) lgkmcnt(0)
	v_mul_f64 v[24:25], s[16:17], v[2:3]
	v_mul_f64 v[2:3], s[14:15], v[2:3]
	v_fma_f64 v[24:25], s[14:15], v[0:1], -v[24:25]
	v_fma_f64 v[2:3], s[16:17], v[0:1], v[2:3]
	v_add_f64 v[0:1], v[8:9], v[24:25]
	v_add_f64 v[2:3], v[22:23], v[2:3]
	v_add_co_u32 v8, vcc_lo, v28, v4
	v_add_co_ci_u32_e64 v9, null, v29, v5, vcc_lo
	v_mul_f64 v[22:23], s[38:39], v[68:69]
	v_add_co_u32 v30, vcc_lo, v30, s2
	v_add_co_ci_u32_e64 v31, null, s3, v31, vcc_lo
	flat_store_dwordx4 v[6:7], v[0:3] offset:768
	flat_load_dwordx4 v[0:3], v[8:9]
	v_mul_f64 v[6:7], s[40:41], v[68:69]
	v_fma_f64 v[22:23], s[40:41], v[66:67], v[22:23]
	v_fma_f64 v[6:7], s[38:39], v[66:67], -v[6:7]
	s_waitcnt vmcnt(0) lgkmcnt(0)
	v_mul_f64 v[24:25], s[16:17], v[2:3]
	v_mul_f64 v[2:3], s[14:15], v[2:3]
	v_fma_f64 v[24:25], s[14:15], v[0:1], -v[24:25]
	v_fma_f64 v[2:3], s[16:17], v[0:1], v[2:3]
	v_add_f64 v[0:1], v[6:7], v[24:25]
	v_add_f64 v[2:3], v[22:23], v[2:3]
	v_add_co_u32 v6, vcc_lo, v30, v4
	v_add_co_ci_u32_e64 v7, null, v31, v5, vcc_lo
	v_mul_f64 v[22:23], s[40:41], v[60:61]
	v_mul_f64 v[24:25], s[38:39], v[60:61]
	flat_store_dwordx4 v[6:7], v[0:3]
	flat_load_dwordx4 v[0:3], v[8:9] offset:256
	v_fma_f64 v[22:23], s[38:39], v[56:57], -v[22:23]
	v_fma_f64 v[24:25], s[40:41], v[56:57], v[24:25]
	s_waitcnt vmcnt(0) lgkmcnt(0)
	v_mul_f64 v[26:27], s[16:17], v[2:3]
	v_mul_f64 v[2:3], s[14:15], v[2:3]
	v_fma_f64 v[26:27], s[14:15], v[0:1], -v[26:27]
	v_fma_f64 v[2:3], s[16:17], v[0:1], v[2:3]
	v_add_f64 v[0:1], v[22:23], v[26:27]
	v_add_f64 v[2:3], v[24:25], v[2:3]
	v_mul_f64 v[22:23], s[40:41], v[50:51]
	v_mul_f64 v[24:25], s[38:39], v[50:51]
	flat_store_dwordx4 v[6:7], v[0:3] offset:256
	flat_load_dwordx4 v[0:3], v[8:9] offset:512
	v_fma_f64 v[22:23], s[38:39], v[44:45], -v[22:23]
	v_fma_f64 v[24:25], s[40:41], v[44:45], v[24:25]
	s_waitcnt vmcnt(0) lgkmcnt(0)
	v_mul_f64 v[26:27], s[16:17], v[2:3]
	v_mul_f64 v[2:3], s[14:15], v[2:3]
	v_fma_f64 v[26:27], s[14:15], v[0:1], -v[26:27]
	v_fma_f64 v[2:3], s[16:17], v[0:1], v[2:3]
	v_add_f64 v[0:1], v[22:23], v[26:27]
	v_add_f64 v[2:3], v[24:25], v[2:3]
	v_mul_f64 v[22:23], s[38:39], v[40:41]
	flat_store_dwordx4 v[6:7], v[0:3] offset:512
	flat_load_dwordx4 v[0:3], v[8:9] offset:768
	v_mul_f64 v[8:9], s[40:41], v[40:41]
	v_fma_f64 v[22:23], s[40:41], v[38:39], v[22:23]
	v_fma_f64 v[8:9], s[38:39], v[38:39], -v[8:9]
	s_waitcnt vmcnt(0) lgkmcnt(0)
	v_mul_f64 v[24:25], s[16:17], v[2:3]
	v_mul_f64 v[2:3], s[14:15], v[2:3]
	v_fma_f64 v[24:25], s[14:15], v[0:1], -v[24:25]
	v_fma_f64 v[2:3], s[16:17], v[0:1], v[2:3]
	v_add_f64 v[0:1], v[8:9], v[24:25]
	v_add_f64 v[2:3], v[22:23], v[2:3]
	v_add_co_u32 v8, vcc_lo, v28, s0
	v_add_co_ci_u32_e64 v9, null, s1, v29, vcc_lo
	v_add_co_u32 v8, vcc_lo, v8, v4
	v_add_co_ci_u32_e64 v9, null, v9, v5, vcc_lo
	flat_store_dwordx4 v[6:7], v[0:3] offset:768
	flat_load_dwordx4 v[0:3], v[8:9]
	v_mul_f64 v[6:7], s[40:41], v[20:21]
	v_mul_f64 v[20:21], s[38:39], v[20:21]
	v_fma_f64 v[6:7], s[38:39], v[18:19], -v[6:7]
	v_fma_f64 v[18:19], s[40:41], v[18:19], v[20:21]
	s_waitcnt vmcnt(0) lgkmcnt(0)
	v_mul_f64 v[22:23], s[16:17], v[2:3]
	v_mul_f64 v[2:3], s[14:15], v[2:3]
	v_fma_f64 v[20:21], s[14:15], v[0:1], -v[22:23]
	v_fma_f64 v[2:3], s[16:17], v[0:1], v[2:3]
	v_add_f64 v[0:1], v[6:7], v[20:21]
	v_add_f64 v[2:3], v[18:19], v[2:3]
	v_add_co_u32 v6, vcc_lo, v30, s2
	v_add_co_ci_u32_e64 v7, null, s3, v31, vcc_lo
	v_add_co_u32 v6, vcc_lo, v6, v4
	v_add_co_ci_u32_e64 v7, null, v7, v5, vcc_lo
	v_mul_f64 v[4:5], s[40:41], v[16:17]
	v_mul_f64 v[16:17], s[38:39], v[16:17]
	flat_store_dwordx4 v[6:7], v[0:3]
	flat_load_dwordx4 v[0:3], v[8:9] offset:256
	v_fma_f64 v[4:5], s[38:39], v[14:15], -v[4:5]
	v_fma_f64 v[14:15], s[40:41], v[14:15], v[16:17]
	s_waitcnt vmcnt(0) lgkmcnt(0)
	v_mul_f64 v[18:19], s[16:17], v[2:3]
	v_mul_f64 v[2:3], s[14:15], v[2:3]
	v_fma_f64 v[16:17], s[14:15], v[0:1], -v[18:19]
	v_fma_f64 v[2:3], s[16:17], v[0:1], v[2:3]
	v_add_f64 v[0:1], v[4:5], v[16:17]
	v_add_f64 v[2:3], v[14:15], v[2:3]
	v_mul_f64 v[4:5], s[40:41], v[12:13]
	v_mul_f64 v[12:13], s[38:39], v[12:13]
	flat_store_dwordx4 v[6:7], v[0:3] offset:256
	flat_load_dwordx4 v[0:3], v[8:9] offset:512
	v_fma_f64 v[4:5], s[38:39], v[10:11], -v[4:5]
	v_fma_f64 v[10:11], s[40:41], v[10:11], v[12:13]
	s_waitcnt vmcnt(0) lgkmcnt(0)
	v_mul_f64 v[14:15], s[16:17], v[2:3]
	v_mul_f64 v[2:3], s[14:15], v[2:3]
	v_fma_f64 v[12:13], s[14:15], v[0:1], -v[14:15]
	v_fma_f64 v[2:3], s[16:17], v[0:1], v[2:3]
	v_add_f64 v[0:1], v[4:5], v[12:13]
	v_add_f64 v[2:3], v[10:11], v[2:3]
	v_mul_f64 v[4:5], s[40:41], v[76:77]
	flat_store_dwordx4 v[6:7], v[0:3] offset:512
	flat_load_dwordx4 v[0:3], v[8:9] offset:768
	v_mul_f64 v[8:9], s[38:39], v[76:77]
	v_fma_f64 v[4:5], s[38:39], v[74:75], -v[4:5]
	v_fma_f64 v[8:9], s[40:41], v[74:75], v[8:9]
	s_waitcnt vmcnt(0) lgkmcnt(0)
	v_mul_f64 v[10:11], s[16:17], v[2:3]
	v_mul_f64 v[2:3], s[14:15], v[2:3]
	v_fma_f64 v[10:11], s[14:15], v[0:1], -v[10:11]
	v_fma_f64 v[0:1], s[16:17], v[0:1], v[2:3]
	v_add_f64 v[10:11], v[4:5], v[10:11]
	v_add_f64 v[2:3], v[8:9], v[0:1]
	v_add_co_u32 v4, vcc_lo, 0x300, v6
	v_add_co_ci_u32_e64 v5, null, 0, v7, vcc_lo
	flat_store_dwordx2 v[6:7], v[10:11] offset:768
.LBB265_8:
	flat_store_dwordx2 v[4:5], v[2:3] offset:8
	s_endpgm
	.section	.rodata,"a",@progbits
	.p2align	6, 0x0
	.amdhsa_kernel _ZN12_GLOBAL__N_127rocblas_gemm_batched_kernelI19rocblas_complex_numIdELi16ELi16ELi64ELi64ELi4ELi64ELi4ELi4ELi64ELc78ELc84EKPKS2_S5_KPS2_EEvlllT_PT11_llSA_llS8_PT12_llPT13_lli
		.amdhsa_group_segment_fixed_size 8192
		.amdhsa_private_segment_fixed_size 0
		.amdhsa_kernarg_size 156
		.amdhsa_user_sgpr_count 6
		.amdhsa_user_sgpr_private_segment_buffer 1
		.amdhsa_user_sgpr_dispatch_ptr 0
		.amdhsa_user_sgpr_queue_ptr 0
		.amdhsa_user_sgpr_kernarg_segment_ptr 1
		.amdhsa_user_sgpr_dispatch_id 0
		.amdhsa_user_sgpr_flat_scratch_init 0
		.amdhsa_user_sgpr_private_segment_size 0
		.amdhsa_wavefront_size32 1
		.amdhsa_uses_dynamic_stack 0
		.amdhsa_system_sgpr_private_segment_wavefront_offset 0
		.amdhsa_system_sgpr_workgroup_id_x 1
		.amdhsa_system_sgpr_workgroup_id_y 1
		.amdhsa_system_sgpr_workgroup_id_z 1
		.amdhsa_system_sgpr_workgroup_info 0
		.amdhsa_system_vgpr_workitem_id 1
		.amdhsa_next_free_vgpr 138
		.amdhsa_next_free_sgpr 52
		.amdhsa_reserve_vcc 1
		.amdhsa_reserve_flat_scratch 0
		.amdhsa_float_round_mode_32 0
		.amdhsa_float_round_mode_16_64 0
		.amdhsa_float_denorm_mode_32 3
		.amdhsa_float_denorm_mode_16_64 3
		.amdhsa_dx10_clamp 1
		.amdhsa_ieee_mode 1
		.amdhsa_fp16_overflow 0
		.amdhsa_workgroup_processor_mode 1
		.amdhsa_memory_ordered 1
		.amdhsa_forward_progress 1
		.amdhsa_shared_vgpr_count 0
		.amdhsa_exception_fp_ieee_invalid_op 0
		.amdhsa_exception_fp_denorm_src 0
		.amdhsa_exception_fp_ieee_div_zero 0
		.amdhsa_exception_fp_ieee_overflow 0
		.amdhsa_exception_fp_ieee_underflow 0
		.amdhsa_exception_fp_ieee_inexact 0
		.amdhsa_exception_int_div_zero 0
	.end_amdhsa_kernel
	.section	.text._ZN12_GLOBAL__N_127rocblas_gemm_batched_kernelI19rocblas_complex_numIdELi16ELi16ELi64ELi64ELi4ELi64ELi4ELi4ELi64ELc78ELc84EKPKS2_S5_KPS2_EEvlllT_PT11_llSA_llS8_PT12_llPT13_lli,"axG",@progbits,_ZN12_GLOBAL__N_127rocblas_gemm_batched_kernelI19rocblas_complex_numIdELi16ELi16ELi64ELi64ELi4ELi64ELi4ELi4ELi64ELc78ELc84EKPKS2_S5_KPS2_EEvlllT_PT11_llSA_llS8_PT12_llPT13_lli,comdat
.Lfunc_end265:
	.size	_ZN12_GLOBAL__N_127rocblas_gemm_batched_kernelI19rocblas_complex_numIdELi16ELi16ELi64ELi64ELi4ELi64ELi4ELi4ELi64ELc78ELc84EKPKS2_S5_KPS2_EEvlllT_PT11_llSA_llS8_PT12_llPT13_lli, .Lfunc_end265-_ZN12_GLOBAL__N_127rocblas_gemm_batched_kernelI19rocblas_complex_numIdELi16ELi16ELi64ELi64ELi4ELi64ELi4ELi4ELi64ELc78ELc84EKPKS2_S5_KPS2_EEvlllT_PT11_llSA_llS8_PT12_llPT13_lli
                                        ; -- End function
	.set _ZN12_GLOBAL__N_127rocblas_gemm_batched_kernelI19rocblas_complex_numIdELi16ELi16ELi64ELi64ELi4ELi64ELi4ELi4ELi64ELc78ELc84EKPKS2_S5_KPS2_EEvlllT_PT11_llSA_llS8_PT12_llPT13_lli.num_vgpr, 138
	.set _ZN12_GLOBAL__N_127rocblas_gemm_batched_kernelI19rocblas_complex_numIdELi16ELi16ELi64ELi64ELi4ELi64ELi4ELi4ELi64ELc78ELc84EKPKS2_S5_KPS2_EEvlllT_PT11_llSA_llS8_PT12_llPT13_lli.num_agpr, 0
	.set _ZN12_GLOBAL__N_127rocblas_gemm_batched_kernelI19rocblas_complex_numIdELi16ELi16ELi64ELi64ELi4ELi64ELi4ELi4ELi64ELc78ELc84EKPKS2_S5_KPS2_EEvlllT_PT11_llSA_llS8_PT12_llPT13_lli.numbered_sgpr, 52
	.set _ZN12_GLOBAL__N_127rocblas_gemm_batched_kernelI19rocblas_complex_numIdELi16ELi16ELi64ELi64ELi4ELi64ELi4ELi4ELi64ELc78ELc84EKPKS2_S5_KPS2_EEvlllT_PT11_llSA_llS8_PT12_llPT13_lli.num_named_barrier, 0
	.set _ZN12_GLOBAL__N_127rocblas_gemm_batched_kernelI19rocblas_complex_numIdELi16ELi16ELi64ELi64ELi4ELi64ELi4ELi4ELi64ELc78ELc84EKPKS2_S5_KPS2_EEvlllT_PT11_llSA_llS8_PT12_llPT13_lli.private_seg_size, 0
	.set _ZN12_GLOBAL__N_127rocblas_gemm_batched_kernelI19rocblas_complex_numIdELi16ELi16ELi64ELi64ELi4ELi64ELi4ELi4ELi64ELc78ELc84EKPKS2_S5_KPS2_EEvlllT_PT11_llSA_llS8_PT12_llPT13_lli.uses_vcc, 1
	.set _ZN12_GLOBAL__N_127rocblas_gemm_batched_kernelI19rocblas_complex_numIdELi16ELi16ELi64ELi64ELi4ELi64ELi4ELi4ELi64ELc78ELc84EKPKS2_S5_KPS2_EEvlllT_PT11_llSA_llS8_PT12_llPT13_lli.uses_flat_scratch, 0
	.set _ZN12_GLOBAL__N_127rocblas_gemm_batched_kernelI19rocblas_complex_numIdELi16ELi16ELi64ELi64ELi4ELi64ELi4ELi4ELi64ELc78ELc84EKPKS2_S5_KPS2_EEvlllT_PT11_llSA_llS8_PT12_llPT13_lli.has_dyn_sized_stack, 0
	.set _ZN12_GLOBAL__N_127rocblas_gemm_batched_kernelI19rocblas_complex_numIdELi16ELi16ELi64ELi64ELi4ELi64ELi4ELi4ELi64ELc78ELc84EKPKS2_S5_KPS2_EEvlllT_PT11_llSA_llS8_PT12_llPT13_lli.has_recursion, 0
	.set _ZN12_GLOBAL__N_127rocblas_gemm_batched_kernelI19rocblas_complex_numIdELi16ELi16ELi64ELi64ELi4ELi64ELi4ELi4ELi64ELc78ELc84EKPKS2_S5_KPS2_EEvlllT_PT11_llSA_llS8_PT12_llPT13_lli.has_indirect_call, 0
	.section	.AMDGPU.csdata,"",@progbits
; Kernel info:
; codeLenInByte = 7360
; TotalNumSgprs: 54
; NumVgprs: 138
; ScratchSize: 0
; MemoryBound: 0
; FloatMode: 240
; IeeeMode: 1
; LDSByteSize: 8192 bytes/workgroup (compile time only)
; SGPRBlocks: 0
; VGPRBlocks: 17
; NumSGPRsForWavesPerEU: 54
; NumVGPRsForWavesPerEU: 138
; Occupancy: 7
; WaveLimiterHint : 1
; COMPUTE_PGM_RSRC2:SCRATCH_EN: 0
; COMPUTE_PGM_RSRC2:USER_SGPR: 6
; COMPUTE_PGM_RSRC2:TRAP_HANDLER: 0
; COMPUTE_PGM_RSRC2:TGID_X_EN: 1
; COMPUTE_PGM_RSRC2:TGID_Y_EN: 1
; COMPUTE_PGM_RSRC2:TGID_Z_EN: 1
; COMPUTE_PGM_RSRC2:TIDIG_COMP_CNT: 1
	.section	.text._ZN12_GLOBAL__N_127rocblas_gemm_batched_kernelI19rocblas_complex_numIdELi16ELi16ELi64ELi64ELi4ELi64ELi4ELi4ELi64ELc84ELc84EKPKS2_S5_KPS2_EEvlllT_PT11_llSA_llS8_PT12_llPT13_lli,"axG",@progbits,_ZN12_GLOBAL__N_127rocblas_gemm_batched_kernelI19rocblas_complex_numIdELi16ELi16ELi64ELi64ELi4ELi64ELi4ELi4ELi64ELc84ELc84EKPKS2_S5_KPS2_EEvlllT_PT11_llSA_llS8_PT12_llPT13_lli,comdat
	.globl	_ZN12_GLOBAL__N_127rocblas_gemm_batched_kernelI19rocblas_complex_numIdELi16ELi16ELi64ELi64ELi4ELi64ELi4ELi4ELi64ELc84ELc84EKPKS2_S5_KPS2_EEvlllT_PT11_llSA_llS8_PT12_llPT13_lli ; -- Begin function _ZN12_GLOBAL__N_127rocblas_gemm_batched_kernelI19rocblas_complex_numIdELi16ELi16ELi64ELi64ELi4ELi64ELi4ELi4ELi64ELc84ELc84EKPKS2_S5_KPS2_EEvlllT_PT11_llSA_llS8_PT12_llPT13_lli
	.p2align	8
	.type	_ZN12_GLOBAL__N_127rocblas_gemm_batched_kernelI19rocblas_complex_numIdELi16ELi16ELi64ELi64ELi4ELi64ELi4ELi4ELi64ELc84ELc84EKPKS2_S5_KPS2_EEvlllT_PT11_llSA_llS8_PT12_llPT13_lli,@function
_ZN12_GLOBAL__N_127rocblas_gemm_batched_kernelI19rocblas_complex_numIdELi16ELi16ELi64ELi64ELi4ELi64ELi4ELi4ELi64ELc84ELc84EKPKS2_S5_KPS2_EEvlllT_PT11_llSA_llS8_PT12_llPT13_lli: ; @_ZN12_GLOBAL__N_127rocblas_gemm_batched_kernelI19rocblas_complex_numIdELi16ELi16ELi64ELi64ELi4ELi64ELi4ELi4ELi64ELc84ELc84EKPKS2_S5_KPS2_EEvlllT_PT11_llSA_llS8_PT12_llPT13_lli
; %bb.0:
	s_clause 0x1
	s_load_dwordx16 s[12:27], s[4:5], 0x50
	s_load_dwordx16 s[36:51], s[4:5], 0x10
	s_mov_b32 s9, 0
	s_mov_b32 s28, s7
	s_lshl_b64 s[10:11], s[8:9], 3
	s_waitcnt lgkmcnt(0)
	s_add_u32 s0, s18, s10
	s_addc_u32 s1, s19, s11
	s_add_u32 s2, s24, s10
	s_addc_u32 s3, s25, s11
	s_load_dwordx2 s[0:1], s[0:1], 0x0
	s_load_dwordx2 s[2:3], s[2:3], 0x0
	v_cmp_lt_i64_e64 s8, s[36:37], 1
	s_ashr_i32 s7, s6, 31
	s_ashr_i32 s29, s28, 31
	s_lshl_b64 s[6:7], s[6:7], 6
	s_and_b32 vcc_lo, exec_lo, s8
	s_lshl_b64 s[8:9], s[28:29], 6
	s_cbranch_vccnz .LBB266_3
; %bb.1:
	v_lshl_add_u32 v6, v1, 4, v0
	v_and_b32_e32 v7, 3, v0
	v_mov_b32_e32 v76, 0
	v_mov_b32_e32 v74, 0
	;; [unrolled: 1-line block ×3, first 2 shown]
	v_lshrrev_b32_e32 v8, 2, v6
	v_and_b32_e32 v9, 63, v6
	v_lshrrev_b32_e32 v12, 6, v6
	v_lshlrev_b32_e32 v13, 4, v7
	v_mov_b32_e32 v14, 0
	v_add_co_u32 v2, s18, v8, s8
	v_add_co_ci_u32_e64 v3, null, 0, s9, s18
	v_add_co_u32 v4, s18, s6, v9
	v_add_co_ci_u32_e64 v5, null, s7, 0, s18
	v_mad_u64_u32 v[2:3], null, s50, v7, v[2:3]
	v_mul_lo_u32 v10, s45, v4
	v_mul_lo_u32 v11, s44, v5
	v_mad_u64_u32 v[4:5], null, s44, v4, 0
	s_add_u32 s18, s42, s10
	s_addc_u32 s19, s43, s11
	s_add_u32 s10, s48, s10
	s_addc_u32 s11, s49, s11
	s_load_dwordx2 s[18:19], s[18:19], 0x0
	s_load_dwordx2 s[10:11], s[10:11], 0x0
	v_add3_u32 v5, v5, v11, v10
	v_mad_u64_u32 v[6:7], null, s51, v7, v[3:4]
	v_lshlrev_b32_e32 v3, 4, v9
	s_lshl_b64 s[24:25], s[46:47], 4
	v_lshlrev_b64 v[4:5], 4, v[4:5]
	s_lshl_b64 s[12:13], s[12:13], 4
	v_lshl_or_b32 v7, v8, 6, v13
	v_lshl_or_b32 v90, v12, 10, v3
	v_mov_b32_e32 v3, v6
	v_lshlrev_b32_e32 v6, 4, v12
	v_add_co_u32 v4, vcc_lo, v4, s24
	v_add_co_ci_u32_e64 v5, null, s25, v5, vcc_lo
	v_lshlrev_b64 v[2:3], 4, v[2:3]
	v_add_co_u32 v4, vcc_lo, v4, v6
	v_add_co_ci_u32_e64 v5, null, 0, v5, vcc_lo
	s_waitcnt lgkmcnt(0)
	s_add_u32 s10, s10, s12
	v_add_co_u32 v26, vcc_lo, s18, v4
	v_add_co_ci_u32_e64 v27, null, s19, v5, vcc_lo
	s_addc_u32 s11, s11, s13
	v_add_co_u32 v28, vcc_lo, s10, v2
	v_mov_b32_e32 v12, 0
	v_mov_b32_e32 v10, 0
	;; [unrolled: 1-line block ×28, first 2 shown]
	v_add_nc_u32_e32 v91, 0x1000, v7
	v_lshlrev_b32_e32 v92, 4, v0
	v_lshl_add_u32 v93, v1, 6, 0x1000
	v_mov_b32_e32 v77, 0
	v_mov_b32_e32 v75, 0
	;; [unrolled: 1-line block ×32, first 2 shown]
	v_add_co_ci_u32_e64 v29, null, s11, v3, vcc_lo
	s_lshl_b64 s[10:11], s[50:51], 6
	s_mov_b64 s[12:13], 0
.LBB266_2:                              ; =>This Inner Loop Header: Depth=1
	flat_load_dwordx4 v[2:5], v[26:27]
	s_add_u32 s12, s12, 4
	s_addc_u32 s13, s13, 0
	v_add_co_u32 v26, vcc_lo, v26, 64
	v_cmp_lt_i64_e64 s18, s[12:13], s[36:37]
	v_add_co_ci_u32_e64 v27, null, 0, v27, vcc_lo
	s_waitcnt vmcnt(0) lgkmcnt(0)
	ds_write2_b64 v90, v[2:3], v[4:5] offset1:1
	flat_load_dwordx4 v[2:5], v[28:29]
	v_add_co_u32 v28, vcc_lo, v28, s10
	v_add_co_ci_u32_e64 v29, null, s11, v29, vcc_lo
	s_and_b32 vcc_lo, exec_lo, s18
	s_waitcnt vmcnt(0) lgkmcnt(0)
	ds_write2_b64 v91, v[2:3], v[4:5] offset1:1
	s_waitcnt lgkmcnt(0)
	s_barrier
	buffer_gl0_inv
	ds_read_b128 v[78:81], v93
	ds_read_b128 v[82:85], v93 offset:16
	ds_read_b128 v[6:9], v93 offset:32
	;; [unrolled: 1-line block ×3, first 2 shown]
	ds_read_b128 v[86:89], v92
	s_waitcnt lgkmcnt(0)
	v_mul_f64 v[94:95], v[80:81], v[88:89]
	v_mul_f64 v[96:97], v[78:79], v[88:89]
	v_fma_f64 v[94:95], v[78:79], v[86:87], -v[94:95]
	v_fma_f64 v[96:97], v[80:81], v[86:87], v[96:97]
	v_add_f64 v[98:99], v[48:49], v[94:95]
	v_add_f64 v[100:101], v[96:97], v[52:53]
	ds_read_b128 v[94:97], v92 offset:256
	s_waitcnt lgkmcnt(0)
	v_mul_f64 v[48:49], v[80:81], v[96:97]
	v_mul_f64 v[52:53], v[78:79], v[96:97]
	v_fma_f64 v[48:49], v[78:79], v[94:95], -v[48:49]
	v_fma_f64 v[52:53], v[80:81], v[94:95], v[52:53]
	v_add_f64 v[102:103], v[34:35], v[48:49]
	v_add_f64 v[104:105], v[52:53], v[36:37]
	ds_read_b128 v[34:37], v92 offset:512
	;; [unrolled: 8-line block ×4, first 2 shown]
	s_waitcnt lgkmcnt(0)
	v_mul_f64 v[48:49], v[24:25], v[88:89]
	v_mul_f64 v[52:53], v[22:23], v[88:89]
	v_fma_f64 v[48:49], v[22:23], v[86:87], -v[48:49]
	v_fma_f64 v[52:53], v[24:25], v[86:87], v[52:53]
	v_add_f64 v[70:71], v[70:71], v[48:49]
	v_mul_f64 v[48:49], v[24:25], v[96:97]
	v_add_f64 v[72:73], v[52:53], v[72:73]
	v_mul_f64 v[52:53], v[22:23], v[96:97]
	v_fma_f64 v[48:49], v[22:23], v[94:95], -v[48:49]
	v_fma_f64 v[52:53], v[24:25], v[94:95], v[52:53]
	v_add_f64 v[110:111], v[62:63], v[48:49]
	v_mul_f64 v[48:49], v[24:25], v[36:37]
	v_add_f64 v[112:113], v[52:53], v[64:65]
	;; [unrolled: 6-line block ×3, first 2 shown]
	v_fma_f64 v[48:49], v[22:23], v[30:31], -v[48:49]
	v_mul_f64 v[22:23], v[22:23], v[32:33]
	v_add_f64 v[118:119], v[42:43], v[48:49]
	v_fma_f64 v[22:23], v[24:25], v[30:31], v[22:23]
	v_add_f64 v[120:121], v[22:23], v[46:47]
	ds_read_b128 v[22:25], v93 offset:2048
	s_waitcnt lgkmcnt(0)
	v_mul_f64 v[42:43], v[24:25], v[88:89]
	v_mul_f64 v[46:47], v[22:23], v[88:89]
	v_fma_f64 v[42:43], v[22:23], v[86:87], -v[42:43]
	v_fma_f64 v[46:47], v[24:25], v[86:87], v[46:47]
	v_add_f64 v[122:123], v[66:67], v[42:43]
	v_mul_f64 v[42:43], v[24:25], v[96:97]
	v_add_f64 v[124:125], v[46:47], v[68:69]
	v_mul_f64 v[46:47], v[22:23], v[96:97]
	v_fma_f64 v[42:43], v[22:23], v[94:95], -v[42:43]
	v_fma_f64 v[46:47], v[24:25], v[94:95], v[46:47]
	v_add_f64 v[126:127], v[56:57], v[42:43]
	v_mul_f64 v[42:43], v[24:25], v[36:37]
	v_add_f64 v[128:129], v[46:47], v[60:61]
	;; [unrolled: 6-line block ×3, first 2 shown]
	v_fma_f64 v[42:43], v[22:23], v[30:31], -v[42:43]
	v_mul_f64 v[22:23], v[22:23], v[32:33]
	v_add_f64 v[134:135], v[38:39], v[42:43]
	v_fma_f64 v[22:23], v[24:25], v[30:31], v[22:23]
	v_add_f64 v[136:137], v[22:23], v[40:41]
	ds_read_b128 v[22:25], v93 offset:3072
	s_waitcnt lgkmcnt(0)
	v_mul_f64 v[38:39], v[24:25], v[88:89]
	v_mul_f64 v[40:41], v[22:23], v[88:89]
	v_fma_f64 v[38:39], v[22:23], v[86:87], -v[38:39]
	v_fma_f64 v[40:41], v[24:25], v[86:87], v[40:41]
	v_add_f64 v[58:59], v[18:19], v[38:39]
	v_add_f64 v[60:61], v[40:41], v[20:21]
	v_mul_f64 v[18:19], v[24:25], v[96:97]
	v_mul_f64 v[20:21], v[22:23], v[96:97]
	v_fma_f64 v[18:19], v[22:23], v[94:95], -v[18:19]
	v_fma_f64 v[20:21], v[24:25], v[94:95], v[20:21]
	v_add_f64 v[54:55], v[14:15], v[18:19]
	v_add_f64 v[56:57], v[20:21], v[16:17]
	v_mul_f64 v[14:15], v[24:25], v[36:37]
	v_mul_f64 v[16:17], v[22:23], v[36:37]
	ds_read_b128 v[18:21], v92 offset:1280
	v_fma_f64 v[14:15], v[22:23], v[34:35], -v[14:15]
	v_fma_f64 v[16:17], v[24:25], v[34:35], v[16:17]
	v_add_f64 v[50:51], v[10:11], v[14:15]
	v_add_f64 v[52:53], v[16:17], v[12:13]
	v_mul_f64 v[10:11], v[24:25], v[32:33]
	v_mul_f64 v[12:13], v[22:23], v[32:33]
	ds_read_b128 v[14:17], v92 offset:1536
	v_fma_f64 v[10:11], v[22:23], v[30:31], -v[10:11]
	v_fma_f64 v[12:13], v[24:25], v[30:31], v[12:13]
	ds_read_b128 v[22:25], v92 offset:1024
	v_add_f64 v[46:47], v[74:75], v[10:11]
	v_add_f64 v[48:49], v[12:13], v[76:77]
	s_waitcnt lgkmcnt(0)
	v_mul_f64 v[10:11], v[84:85], v[24:25]
	v_mul_f64 v[12:13], v[82:83], v[24:25]
	ds_read_b128 v[74:77], v93 offset:1040
	v_fma_f64 v[10:11], v[82:83], v[22:23], -v[10:11]
	v_fma_f64 v[12:13], v[84:85], v[22:23], v[12:13]
	s_waitcnt lgkmcnt(0)
	v_mul_f64 v[62:63], v[76:77], v[24:25]
	v_mul_f64 v[64:65], v[74:75], v[24:25]
	;; [unrolled: 1-line block ×4, first 2 shown]
	v_add_f64 v[42:43], v[98:99], v[10:11]
	v_add_f64 v[44:45], v[12:13], v[100:101]
	v_mul_f64 v[10:11], v[84:85], v[20:21]
	v_mul_f64 v[12:13], v[82:83], v[20:21]
	v_fma_f64 v[62:63], v[74:75], v[22:23], -v[62:63]
	v_fma_f64 v[64:65], v[76:77], v[22:23], v[64:65]
	v_fma_f64 v[66:67], v[74:75], v[18:19], -v[66:67]
	v_fma_f64 v[68:69], v[76:77], v[18:19], v[68:69]
	;; [unrolled: 2-line block ×3, first 2 shown]
	v_add_f64 v[62:63], v[70:71], v[62:63]
	v_mul_f64 v[70:71], v[76:77], v[16:17]
	v_add_f64 v[64:65], v[64:65], v[72:73]
	v_mul_f64 v[72:73], v[74:75], v[16:17]
	v_add_f64 v[66:67], v[110:111], v[66:67]
	v_add_f64 v[68:69], v[68:69], v[112:113]
	;; [unrolled: 1-line block ×4, first 2 shown]
	v_mul_f64 v[10:11], v[84:85], v[16:17]
	v_mul_f64 v[12:13], v[82:83], v[16:17]
	v_fma_f64 v[70:71], v[74:75], v[14:15], -v[70:71]
	v_fma_f64 v[72:73], v[76:77], v[14:15], v[72:73]
	v_fma_f64 v[10:11], v[82:83], v[14:15], -v[10:11]
	v_fma_f64 v[12:13], v[84:85], v[14:15], v[12:13]
	v_add_f64 v[70:71], v[114:115], v[70:71]
	v_add_f64 v[72:73], v[72:73], v[116:117]
	;; [unrolled: 1-line block ×4, first 2 shown]
	ds_read_b128 v[10:13], v92 offset:1792
	s_waitcnt lgkmcnt(0)
	v_mul_f64 v[30:31], v[84:85], v[12:13]
	v_mul_f64 v[32:33], v[82:83], v[12:13]
	v_fma_f64 v[30:31], v[82:83], v[10:11], -v[30:31]
	v_fma_f64 v[32:33], v[84:85], v[10:11], v[32:33]
	v_add_f64 v[30:31], v[78:79], v[30:31]
	v_mul_f64 v[78:79], v[76:77], v[12:13]
	v_add_f64 v[32:33], v[32:33], v[80:81]
	v_fma_f64 v[78:79], v[74:75], v[10:11], -v[78:79]
	v_mul_f64 v[74:75], v[74:75], v[12:13]
	v_fma_f64 v[76:77], v[76:77], v[10:11], v[74:75]
	v_add_f64 v[74:75], v[118:119], v[78:79]
	ds_read_b128 v[78:81], v93 offset:2064
	s_waitcnt lgkmcnt(0)
	v_mul_f64 v[82:83], v[80:81], v[24:25]
	v_mul_f64 v[86:87], v[80:81], v[20:21]
	;; [unrolled: 1-line block ×7, first 2 shown]
	v_add_f64 v[76:77], v[76:77], v[120:121]
	v_fma_f64 v[82:83], v[78:79], v[22:23], -v[82:83]
	v_fma_f64 v[86:87], v[78:79], v[18:19], -v[86:87]
	;; [unrolled: 1-line block ×4, first 2 shown]
	v_mul_f64 v[78:79], v[78:79], v[12:13]
	v_fma_f64 v[84:85], v[80:81], v[22:23], v[84:85]
	v_fma_f64 v[88:89], v[80:81], v[18:19], v[88:89]
	;; [unrolled: 1-line block ×3, first 2 shown]
	v_add_f64 v[82:83], v[122:123], v[82:83]
	v_add_f64 v[86:87], v[126:127], v[86:87]
	;; [unrolled: 1-line block ×4, first 2 shown]
	v_fma_f64 v[78:79], v[80:81], v[10:11], v[78:79]
	v_add_f64 v[84:85], v[84:85], v[124:125]
	v_add_f64 v[88:89], v[88:89], v[128:129]
	;; [unrolled: 1-line block ×4, first 2 shown]
	ds_read_b128 v[78:81], v93 offset:3088
	s_waitcnt lgkmcnt(0)
	v_mul_f64 v[102:103], v[80:81], v[24:25]
	v_mul_f64 v[24:25], v[78:79], v[24:25]
	v_fma_f64 v[102:103], v[78:79], v[22:23], -v[102:103]
	v_fma_f64 v[22:23], v[80:81], v[22:23], v[24:25]
	v_add_f64 v[58:59], v[58:59], v[102:103]
	v_add_f64 v[60:61], v[22:23], v[60:61]
	v_mul_f64 v[22:23], v[80:81], v[20:21]
	v_mul_f64 v[20:21], v[78:79], v[20:21]
	v_fma_f64 v[22:23], v[78:79], v[18:19], -v[22:23]
	v_fma_f64 v[18:19], v[80:81], v[18:19], v[20:21]
	v_add_f64 v[54:55], v[54:55], v[22:23]
	v_add_f64 v[56:57], v[18:19], v[56:57]
	;; [unrolled: 6-line block ×4, first 2 shown]
	ds_read_b128 v[10:13], v92 offset:2048
	s_waitcnt lgkmcnt(0)
	v_mul_f64 v[14:15], v[8:9], v[12:13]
	v_mul_f64 v[16:17], v[6:7], v[12:13]
	v_fma_f64 v[14:15], v[6:7], v[10:11], -v[14:15]
	v_fma_f64 v[16:17], v[8:9], v[10:11], v[16:17]
	v_add_f64 v[42:43], v[42:43], v[14:15]
	v_add_f64 v[44:45], v[16:17], v[44:45]
	ds_read_b128 v[14:17], v92 offset:2304
	s_waitcnt lgkmcnt(0)
	v_mul_f64 v[18:19], v[8:9], v[16:17]
	v_mul_f64 v[20:21], v[6:7], v[16:17]
	v_fma_f64 v[18:19], v[6:7], v[14:15], -v[18:19]
	v_fma_f64 v[20:21], v[8:9], v[14:15], v[20:21]
	v_add_f64 v[38:39], v[38:39], v[18:19]
	v_add_f64 v[40:41], v[20:21], v[40:41]
	;; [unrolled: 8-line block ×3, first 2 shown]
	ds_read_b128 v[22:25], v92 offset:2816
	s_waitcnt lgkmcnt(0)
	v_mul_f64 v[34:35], v[8:9], v[24:25]
	v_fma_f64 v[34:35], v[6:7], v[22:23], -v[34:35]
	v_mul_f64 v[6:7], v[6:7], v[24:25]
	v_add_f64 v[106:107], v[30:31], v[34:35]
	v_fma_f64 v[6:7], v[8:9], v[22:23], v[6:7]
	v_add_f64 v[108:109], v[6:7], v[32:33]
	ds_read_b128 v[6:9], v93 offset:1056
	s_waitcnt lgkmcnt(0)
	v_mul_f64 v[30:31], v[8:9], v[12:13]
	v_mul_f64 v[32:33], v[6:7], v[12:13]
	v_fma_f64 v[30:31], v[6:7], v[10:11], -v[30:31]
	v_fma_f64 v[32:33], v[8:9], v[10:11], v[32:33]
	v_add_f64 v[62:63], v[62:63], v[30:31]
	v_mul_f64 v[30:31], v[8:9], v[16:17]
	v_add_f64 v[64:65], v[32:33], v[64:65]
	v_mul_f64 v[32:33], v[6:7], v[16:17]
	v_fma_f64 v[30:31], v[6:7], v[14:15], -v[30:31]
	v_fma_f64 v[32:33], v[8:9], v[14:15], v[32:33]
	v_add_f64 v[66:67], v[66:67], v[30:31]
	v_mul_f64 v[30:31], v[8:9], v[20:21]
	v_add_f64 v[68:69], v[32:33], v[68:69]
	;; [unrolled: 6-line block ×3, first 2 shown]
	v_fma_f64 v[30:31], v[6:7], v[22:23], -v[30:31]
	v_mul_f64 v[6:7], v[6:7], v[24:25]
	v_add_f64 v[114:115], v[74:75], v[30:31]
	v_fma_f64 v[6:7], v[8:9], v[22:23], v[6:7]
	v_add_f64 v[116:117], v[6:7], v[76:77]
	ds_read_b128 v[6:9], v93 offset:2080
	s_waitcnt lgkmcnt(0)
	v_mul_f64 v[30:31], v[8:9], v[12:13]
	v_mul_f64 v[32:33], v[6:7], v[12:13]
	v_fma_f64 v[30:31], v[6:7], v[10:11], -v[30:31]
	v_fma_f64 v[32:33], v[8:9], v[10:11], v[32:33]
	v_add_f64 v[118:119], v[82:83], v[30:31]
	v_mul_f64 v[30:31], v[8:9], v[16:17]
	v_add_f64 v[120:121], v[32:33], v[84:85]
	v_mul_f64 v[32:33], v[6:7], v[16:17]
	v_fma_f64 v[30:31], v[6:7], v[14:15], -v[30:31]
	v_fma_f64 v[32:33], v[8:9], v[14:15], v[32:33]
	v_add_f64 v[122:123], v[86:87], v[30:31]
	v_mul_f64 v[30:31], v[8:9], v[20:21]
	v_add_f64 v[124:125], v[32:33], v[88:89]
	;; [unrolled: 6-line block ×3, first 2 shown]
	v_fma_f64 v[30:31], v[6:7], v[22:23], -v[30:31]
	v_mul_f64 v[6:7], v[6:7], v[24:25]
	v_add_f64 v[98:99], v[98:99], v[30:31]
	v_fma_f64 v[6:7], v[8:9], v[22:23], v[6:7]
	v_add_f64 v[100:101], v[6:7], v[100:101]
	ds_read_b128 v[6:9], v93 offset:3104
	s_waitcnt lgkmcnt(0)
	v_mul_f64 v[30:31], v[8:9], v[12:13]
	v_mul_f64 v[12:13], v[6:7], v[12:13]
	v_fma_f64 v[30:31], v[6:7], v[10:11], -v[30:31]
	v_fma_f64 v[10:11], v[8:9], v[10:11], v[12:13]
	v_mul_f64 v[12:13], v[6:7], v[16:17]
	v_add_f64 v[86:87], v[58:59], v[30:31]
	v_add_f64 v[88:89], v[10:11], v[60:61]
	v_mul_f64 v[10:11], v[8:9], v[16:17]
	v_fma_f64 v[12:13], v[8:9], v[14:15], v[12:13]
	v_fma_f64 v[10:11], v[6:7], v[14:15], -v[10:11]
	v_add_f64 v[84:85], v[12:13], v[56:57]
	v_mul_f64 v[12:13], v[6:7], v[20:21]
	ds_read_b128 v[14:17], v92 offset:3328
	v_add_f64 v[82:83], v[54:55], v[10:11]
	v_mul_f64 v[10:11], v[8:9], v[20:21]
	v_fma_f64 v[12:13], v[8:9], v[18:19], v[12:13]
	v_fma_f64 v[10:11], v[6:7], v[18:19], -v[10:11]
	ds_read_b128 v[18:21], v92 offset:3072
	v_add_f64 v[80:81], v[12:13], v[52:53]
	v_add_f64 v[78:79], v[50:51], v[10:11]
	v_mul_f64 v[10:11], v[8:9], v[24:25]
	v_fma_f64 v[10:11], v[6:7], v[22:23], -v[10:11]
	v_mul_f64 v[6:7], v[6:7], v[24:25]
	v_add_f64 v[74:75], v[46:47], v[10:11]
	v_fma_f64 v[6:7], v[8:9], v[22:23], v[6:7]
	s_waitcnt lgkmcnt(0)
	v_mul_f64 v[8:9], v[2:3], v[20:21]
	ds_read_b128 v[10:13], v92 offset:3584
	v_add_f64 v[76:77], v[6:7], v[48:49]
	v_mul_f64 v[6:7], v[4:5], v[20:21]
	v_fma_f64 v[8:9], v[4:5], v[18:19], v[8:9]
	v_fma_f64 v[6:7], v[2:3], v[18:19], -v[6:7]
	v_add_f64 v[52:53], v[8:9], v[44:45]
	v_mul_f64 v[8:9], v[2:3], v[16:17]
	v_add_f64 v[48:49], v[42:43], v[6:7]
	v_mul_f64 v[6:7], v[4:5], v[16:17]
	v_fma_f64 v[8:9], v[4:5], v[14:15], v[8:9]
	v_fma_f64 v[6:7], v[2:3], v[14:15], -v[6:7]
	v_add_f64 v[36:37], v[8:9], v[40:41]
	s_waitcnt lgkmcnt(0)
	v_mul_f64 v[8:9], v[2:3], v[12:13]
	v_add_f64 v[34:35], v[38:39], v[6:7]
	v_mul_f64 v[6:7], v[4:5], v[12:13]
	v_fma_f64 v[8:9], v[4:5], v[10:11], v[8:9]
	v_fma_f64 v[6:7], v[2:3], v[10:11], -v[6:7]
	v_add_f64 v[32:33], v[8:9], v[104:105]
	v_add_f64 v[30:31], v[102:103], v[6:7]
	ds_read_b128 v[6:9], v92 offset:3840
	s_waitcnt lgkmcnt(0)
	v_mul_f64 v[22:23], v[4:5], v[8:9]
	v_fma_f64 v[22:23], v[2:3], v[6:7], -v[22:23]
	v_mul_f64 v[2:3], v[2:3], v[8:9]
	v_add_f64 v[22:23], v[106:107], v[22:23]
	v_fma_f64 v[2:3], v[4:5], v[6:7], v[2:3]
	v_add_f64 v[24:25], v[2:3], v[108:109]
	ds_read_b128 v[2:5], v93 offset:1072
	s_waitcnt lgkmcnt(0)
	v_mul_f64 v[38:39], v[4:5], v[20:21]
	v_mul_f64 v[40:41], v[2:3], v[20:21]
	v_fma_f64 v[38:39], v[2:3], v[18:19], -v[38:39]
	v_fma_f64 v[40:41], v[4:5], v[18:19], v[40:41]
	v_add_f64 v[70:71], v[62:63], v[38:39]
	v_mul_f64 v[38:39], v[4:5], v[16:17]
	v_add_f64 v[72:73], v[40:41], v[64:65]
	v_mul_f64 v[40:41], v[2:3], v[16:17]
	v_fma_f64 v[38:39], v[2:3], v[14:15], -v[38:39]
	v_fma_f64 v[40:41], v[4:5], v[14:15], v[40:41]
	v_add_f64 v[62:63], v[66:67], v[38:39]
	v_mul_f64 v[38:39], v[4:5], v[12:13]
	v_add_f64 v[64:65], v[40:41], v[68:69]
	;; [unrolled: 6-line block ×3, first 2 shown]
	v_fma_f64 v[38:39], v[2:3], v[6:7], -v[38:39]
	v_mul_f64 v[2:3], v[2:3], v[8:9]
	v_add_f64 v[42:43], v[114:115], v[38:39]
	v_fma_f64 v[2:3], v[4:5], v[6:7], v[2:3]
	v_add_f64 v[46:47], v[2:3], v[116:117]
	ds_read_b128 v[2:5], v93 offset:2096
	s_waitcnt lgkmcnt(0)
	v_mul_f64 v[38:39], v[4:5], v[20:21]
	v_mul_f64 v[40:41], v[2:3], v[20:21]
	v_fma_f64 v[38:39], v[2:3], v[18:19], -v[38:39]
	v_fma_f64 v[40:41], v[4:5], v[18:19], v[40:41]
	v_add_f64 v[66:67], v[118:119], v[38:39]
	v_mul_f64 v[38:39], v[4:5], v[16:17]
	v_add_f64 v[68:69], v[40:41], v[120:121]
	v_mul_f64 v[40:41], v[2:3], v[16:17]
	v_fma_f64 v[38:39], v[2:3], v[14:15], -v[38:39]
	v_fma_f64 v[40:41], v[4:5], v[14:15], v[40:41]
	v_add_f64 v[56:57], v[122:123], v[38:39]
	v_mul_f64 v[38:39], v[4:5], v[12:13]
	v_add_f64 v[60:61], v[40:41], v[124:125]
	;; [unrolled: 6-line block ×3, first 2 shown]
	v_fma_f64 v[38:39], v[2:3], v[6:7], -v[38:39]
	v_mul_f64 v[2:3], v[2:3], v[8:9]
	v_add_f64 v[38:39], v[98:99], v[38:39]
	v_fma_f64 v[2:3], v[4:5], v[6:7], v[2:3]
	v_add_f64 v[40:41], v[2:3], v[100:101]
	ds_read_b128 v[2:5], v93 offset:3120
	s_waitcnt lgkmcnt(0)
	s_barrier
	buffer_gl0_inv
	v_mul_f64 v[94:95], v[4:5], v[20:21]
	v_mul_f64 v[20:21], v[2:3], v[20:21]
	v_fma_f64 v[94:95], v[2:3], v[18:19], -v[94:95]
	v_fma_f64 v[20:21], v[4:5], v[18:19], v[20:21]
	v_add_f64 v[18:19], v[86:87], v[94:95]
	v_mul_f64 v[86:87], v[4:5], v[16:17]
	v_mul_f64 v[16:17], v[2:3], v[16:17]
	v_add_f64 v[20:21], v[20:21], v[88:89]
	v_fma_f64 v[86:87], v[2:3], v[14:15], -v[86:87]
	v_fma_f64 v[16:17], v[4:5], v[14:15], v[16:17]
	v_add_f64 v[14:15], v[82:83], v[86:87]
	v_mul_f64 v[82:83], v[4:5], v[12:13]
	v_mul_f64 v[12:13], v[2:3], v[12:13]
	v_add_f64 v[16:17], v[16:17], v[84:85]
	v_fma_f64 v[82:83], v[2:3], v[10:11], -v[82:83]
	v_fma_f64 v[12:13], v[4:5], v[10:11], v[12:13]
	v_add_f64 v[10:11], v[78:79], v[82:83]
	v_mul_f64 v[78:79], v[4:5], v[8:9]
	v_add_f64 v[12:13], v[12:13], v[80:81]
	v_fma_f64 v[78:79], v[2:3], v[6:7], -v[78:79]
	v_mul_f64 v[2:3], v[2:3], v[8:9]
	v_add_f64 v[74:75], v[74:75], v[78:79]
	v_fma_f64 v[2:3], v[4:5], v[6:7], v[2:3]
	v_add_f64 v[76:77], v[2:3], v[76:77]
	s_cbranch_vccnz .LBB266_2
	s_branch .LBB266_4
.LBB266_3:
	v_mov_b32_e32 v48, 0
	v_mov_b32_e32 v52, 0
	;; [unrolled: 1-line block ×64, first 2 shown]
.LBB266_4:
	s_load_dwordx2 s[4:5], s[4:5], 0x90
	v_cmp_neq_f64_e64 s10, s[14:15], 0
	v_cmp_neq_f64_e64 s11, s[16:17], 0
	v_add_co_u32 v6, s8, s8, v1
	v_add_co_ci_u32_e64 v7, null, s9, 0, s8
	s_waitcnt lgkmcnt(0)
	s_lshl_b64 s[4:5], s[4:5], 4
	s_add_u32 s4, s2, s4
	s_addc_u32 s5, s3, s5
	v_add_co_u32 v0, s3, s6, v0
	v_add_co_ci_u32_e64 v1, null, s7, 0, s3
	s_or_b32 s2, s10, s11
	s_and_b32 vcc_lo, exec_lo, s2
	s_cbranch_vccnz .LBB266_6
; %bb.5:
	v_mul_f64 v[4:5], s[40:41], v[52:53]
	v_mul_f64 v[8:9], s[38:39], v[52:53]
	v_mul_lo_u32 v78, v7, s26
	v_mul_lo_u32 v79, v6, s27
	v_mad_u64_u32 v[2:3], null, v6, s26, 0
	v_mul_f64 v[26:27], s[40:41], v[36:37]
	v_mul_f64 v[28:29], s[38:39], v[36:37]
	;; [unrolled: 1-line block ×6, first 2 shown]
	v_add3_u32 v3, v3, v79, v78
	v_mul_f64 v[78:79], s[40:41], v[32:33]
	v_mul_f64 v[88:89], s[38:39], v[72:73]
	;; [unrolled: 1-line block ×4, first 2 shown]
	v_lshlrev_b64 v[2:3], 4, v[2:3]
	v_mul_f64 v[94:95], s[40:41], v[58:59]
	v_mul_f64 v[96:97], s[38:39], v[58:59]
	;; [unrolled: 1-line block ×4, first 2 shown]
	s_lshl_b64 s[2:3], s[26:27], 8
	v_add_co_u32 v104, vcc_lo, s4, v2
	v_add_co_ci_u32_e64 v105, null, s5, v3, vcc_lo
	v_fma_f64 v[2:3], s[38:39], v[48:49], -v[4:5]
	v_fma_f64 v[4:5], s[40:41], v[48:49], v[8:9]
	v_lshlrev_b64 v[8:9], 4, v[0:1]
	v_fma_f64 v[26:27], s[38:39], v[34:35], -v[26:27]
	v_fma_f64 v[28:29], s[40:41], v[34:35], v[28:29]
	v_fma_f64 v[80:81], s[40:41], v[30:31], v[80:81]
	v_fma_f64 v[82:83], s[38:39], v[22:23], -v[82:83]
	v_fma_f64 v[84:85], s[40:41], v[22:23], v[84:85]
	v_add_co_u32 v102, vcc_lo, v104, v8
	v_fma_f64 v[78:79], s[38:39], v[30:31], -v[78:79]
	v_add_co_ci_u32_e64 v103, null, v105, v9, vcc_lo
	v_fma_f64 v[86:87], s[38:39], v[70:71], -v[86:87]
	v_fma_f64 v[88:89], s[40:41], v[70:71], v[88:89]
	v_fma_f64 v[90:91], s[38:39], v[62:63], -v[90:91]
	v_fma_f64 v[92:93], s[40:41], v[62:63], v[92:93]
	;; [unrolled: 2-line block ×3, first 2 shown]
	v_add_co_u32 v106, vcc_lo, v104, s2
	v_add_co_ci_u32_e64 v107, null, s3, v105, vcc_lo
	flat_store_dwordx4 v[102:103], v[2:5]
	v_fma_f64 v[2:3], s[38:39], v[42:43], -v[98:99]
	v_fma_f64 v[4:5], s[40:41], v[42:43], v[100:101]
	v_add_co_u32 v104, vcc_lo, v106, v8
	v_add_co_ci_u32_e64 v105, null, v107, v9, vcc_lo
	flat_store_dwordx4 v[102:103], v[26:29] offset:256
	flat_store_dwordx4 v[102:103], v[78:81] offset:512
	flat_store_dwordx4 v[102:103], v[82:85] offset:768
	flat_store_dwordx4 v[104:105], v[86:89]
	flat_store_dwordx4 v[104:105], v[90:93] offset:256
	flat_store_dwordx4 v[104:105], v[94:97] offset:512
	v_mul_f64 v[26:27], s[40:41], v[68:69]
	v_mul_f64 v[28:29], s[38:39], v[68:69]
	;; [unrolled: 1-line block ×12, first 2 shown]
	flat_store_dwordx4 v[104:105], v[2:5] offset:768
	v_mul_f64 v[2:3], s[40:41], v[76:77]
	v_mul_f64 v[4:5], s[38:39], v[76:77]
	;; [unrolled: 1-line block ×4, first 2 shown]
	v_add_co_u32 v104, vcc_lo, v106, s2
	v_add_co_ci_u32_e64 v105, null, s3, v107, vcc_lo
	v_fma_f64 v[26:27], s[38:39], v[66:67], -v[26:27]
	v_fma_f64 v[28:29], s[40:41], v[66:67], v[28:29]
	v_fma_f64 v[78:79], s[38:39], v[56:57], -v[78:79]
	v_fma_f64 v[80:81], s[40:41], v[56:57], v[80:81]
	;; [unrolled: 2-line block ×6, first 2 shown]
	v_add_co_u32 v106, vcc_lo, v104, s2
	v_fma_f64 v[102:103], s[38:39], v[74:75], -v[2:3]
	v_fma_f64 v[2:3], s[40:41], v[74:75], v[4:5]
	v_fma_f64 v[98:99], s[38:39], v[10:11], -v[98:99]
	v_fma_f64 v[100:101], s[40:41], v[10:11], v[100:101]
	v_add_co_ci_u32_e64 v107, null, s3, v105, vcc_lo
	v_add_co_u32 v4, vcc_lo, v104, v8
	v_add_co_ci_u32_e64 v5, null, v105, v9, vcc_lo
	v_add_co_u32 v8, vcc_lo, v106, v8
	v_add_co_ci_u32_e64 v9, null, v107, v9, vcc_lo
	flat_store_dwordx4 v[4:5], v[26:29]
	flat_store_dwordx4 v[4:5], v[78:81] offset:256
	flat_store_dwordx4 v[4:5], v[82:85] offset:512
	;; [unrolled: 1-line block ×3, first 2 shown]
	flat_store_dwordx4 v[8:9], v[90:93]
	v_add_co_u32 v4, vcc_lo, 0x300, v8
	v_add_co_ci_u32_e64 v5, null, 0, v9, vcc_lo
	flat_store_dwordx4 v[8:9], v[94:97] offset:256
	flat_store_dwordx4 v[8:9], v[98:101] offset:512
	flat_store_dwordx2 v[8:9], v[102:103] offset:768
	s_cbranch_execz .LBB266_7
	s_branch .LBB266_8
.LBB266_6:
                                        ; implicit-def: $vgpr2_vgpr3
                                        ; implicit-def: $vgpr4_vgpr5
.LBB266_7:
	v_mul_lo_u32 v4, v7, s20
	v_mul_lo_u32 v5, v6, s21
	v_mad_u64_u32 v[2:3], null, v6, s20, 0
	s_lshl_b64 s[2:3], s[22:23], 4
	v_mul_f64 v[26:27], s[40:41], v[52:53]
	s_add_u32 s0, s0, s2
	s_addc_u32 s1, s1, s3
	v_mul_f64 v[28:29], s[38:39], v[52:53]
	s_lshl_b64 s[2:3], s[26:27], 8
	v_add3_u32 v3, v3, v5, v4
	v_lshlrev_b64 v[4:5], 4, v[0:1]
	v_lshlrev_b64 v[2:3], 4, v[2:3]
	v_add_co_u32 v78, vcc_lo, s0, v2
	v_add_co_ci_u32_e64 v79, null, s1, v3, vcc_lo
	s_lshl_b64 s[0:1], s[20:21], 8
	v_add_co_u32 v8, vcc_lo, v78, v4
	v_add_co_ci_u32_e64 v9, null, v79, v5, vcc_lo
	v_fma_f64 v[26:27], s[38:39], v[48:49], -v[26:27]
	v_fma_f64 v[28:29], s[40:41], v[48:49], v[28:29]
	flat_load_dwordx4 v[0:3], v[8:9]
	s_waitcnt vmcnt(0) lgkmcnt(0)
	v_mul_f64 v[52:53], s[16:17], v[2:3]
	v_mul_f64 v[2:3], s[14:15], v[2:3]
	v_fma_f64 v[48:49], s[14:15], v[0:1], -v[52:53]
	v_fma_f64 v[2:3], s[16:17], v[0:1], v[2:3]
	v_mul_lo_u32 v0, v7, s26
	v_mul_lo_u32 v1, v6, s27
	v_mad_u64_u32 v[6:7], null, v6, s26, 0
	v_add3_u32 v7, v7, v1, v0
	v_lshlrev_b64 v[6:7], 4, v[6:7]
	v_add_f64 v[0:1], v[26:27], v[48:49]
	v_add_f64 v[2:3], v[28:29], v[2:3]
	v_add_co_u32 v48, vcc_lo, s4, v6
	v_add_co_ci_u32_e64 v49, null, s5, v7, vcc_lo
	v_mul_f64 v[26:27], s[40:41], v[36:37]
	v_add_co_u32 v6, vcc_lo, v48, v4
	v_add_co_ci_u32_e64 v7, null, v49, v5, vcc_lo
	v_mul_f64 v[28:29], s[38:39], v[36:37]
	flat_store_dwordx4 v[6:7], v[0:3]
	flat_load_dwordx4 v[0:3], v[8:9] offset:256
	v_fma_f64 v[26:27], s[38:39], v[34:35], -v[26:27]
	v_fma_f64 v[28:29], s[40:41], v[34:35], v[28:29]
	s_waitcnt vmcnt(0) lgkmcnt(0)
	v_mul_f64 v[36:37], s[16:17], v[2:3]
	v_mul_f64 v[2:3], s[14:15], v[2:3]
	v_fma_f64 v[34:35], s[14:15], v[0:1], -v[36:37]
	v_fma_f64 v[2:3], s[16:17], v[0:1], v[2:3]
	v_add_f64 v[0:1], v[26:27], v[34:35]
	v_add_f64 v[2:3], v[28:29], v[2:3]
	v_mul_f64 v[26:27], s[40:41], v[32:33]
	v_mul_f64 v[28:29], s[38:39], v[32:33]
	flat_store_dwordx4 v[6:7], v[0:3] offset:256
	flat_load_dwordx4 v[0:3], v[8:9] offset:512
	v_fma_f64 v[26:27], s[38:39], v[30:31], -v[26:27]
	v_fma_f64 v[28:29], s[40:41], v[30:31], v[28:29]
	s_waitcnt vmcnt(0) lgkmcnt(0)
	v_mul_f64 v[32:33], s[16:17], v[2:3]
	v_mul_f64 v[2:3], s[14:15], v[2:3]
	v_fma_f64 v[30:31], s[14:15], v[0:1], -v[32:33]
	v_fma_f64 v[2:3], s[16:17], v[0:1], v[2:3]
	v_add_f64 v[0:1], v[26:27], v[30:31]
	v_add_f64 v[2:3], v[28:29], v[2:3]
	v_add_co_u32 v28, vcc_lo, v78, s0
	v_add_co_ci_u32_e64 v29, null, s1, v79, vcc_lo
	flat_store_dwordx4 v[6:7], v[0:3] offset:512
	flat_load_dwordx4 v[0:3], v[8:9] offset:768
	v_mul_f64 v[8:9], s[40:41], v[24:25]
	v_mul_f64 v[24:25], s[38:39], v[24:25]
	v_fma_f64 v[8:9], s[38:39], v[22:23], -v[8:9]
	v_fma_f64 v[22:23], s[40:41], v[22:23], v[24:25]
	s_waitcnt vmcnt(0) lgkmcnt(0)
	v_mul_f64 v[26:27], s[16:17], v[2:3]
	v_mul_f64 v[2:3], s[14:15], v[2:3]
	v_fma_f64 v[24:25], s[14:15], v[0:1], -v[26:27]
	v_fma_f64 v[2:3], s[16:17], v[0:1], v[2:3]
	v_add_f64 v[0:1], v[8:9], v[24:25]
	v_add_f64 v[2:3], v[22:23], v[2:3]
	v_add_co_u32 v8, vcc_lo, v28, v4
	v_add_co_ci_u32_e64 v9, null, v29, v5, vcc_lo
	v_mul_f64 v[22:23], s[38:39], v[72:73]
	v_add_co_u32 v30, vcc_lo, v48, s2
	v_add_co_ci_u32_e64 v31, null, s3, v49, vcc_lo
	flat_store_dwordx4 v[6:7], v[0:3] offset:768
	flat_load_dwordx4 v[0:3], v[8:9]
	v_mul_f64 v[6:7], s[40:41], v[72:73]
	v_fma_f64 v[22:23], s[40:41], v[70:71], v[22:23]
	v_fma_f64 v[6:7], s[38:39], v[70:71], -v[6:7]
	s_waitcnt vmcnt(0) lgkmcnt(0)
	v_mul_f64 v[24:25], s[16:17], v[2:3]
	v_mul_f64 v[2:3], s[14:15], v[2:3]
	v_fma_f64 v[24:25], s[14:15], v[0:1], -v[24:25]
	v_fma_f64 v[2:3], s[16:17], v[0:1], v[2:3]
	v_add_f64 v[0:1], v[6:7], v[24:25]
	v_add_f64 v[2:3], v[22:23], v[2:3]
	v_add_co_u32 v6, vcc_lo, v30, v4
	v_add_co_ci_u32_e64 v7, null, v31, v5, vcc_lo
	v_mul_f64 v[22:23], s[40:41], v[64:65]
	v_mul_f64 v[24:25], s[38:39], v[64:65]
	v_add_co_u32 v28, vcc_lo, v28, s0
	v_add_co_ci_u32_e64 v29, null, s1, v29, vcc_lo
	flat_store_dwordx4 v[6:7], v[0:3]
	flat_load_dwordx4 v[0:3], v[8:9] offset:256
	v_fma_f64 v[22:23], s[38:39], v[62:63], -v[22:23]
	v_fma_f64 v[24:25], s[40:41], v[62:63], v[24:25]
	s_waitcnt vmcnt(0) lgkmcnt(0)
	v_mul_f64 v[26:27], s[16:17], v[2:3]
	v_mul_f64 v[2:3], s[14:15], v[2:3]
	v_fma_f64 v[26:27], s[14:15], v[0:1], -v[26:27]
	v_fma_f64 v[2:3], s[16:17], v[0:1], v[2:3]
	v_add_f64 v[0:1], v[22:23], v[26:27]
	v_add_f64 v[2:3], v[24:25], v[2:3]
	v_mul_f64 v[22:23], s[40:41], v[58:59]
	v_mul_f64 v[24:25], s[38:39], v[58:59]
	flat_store_dwordx4 v[6:7], v[0:3] offset:256
	flat_load_dwordx4 v[0:3], v[8:9] offset:512
	v_fma_f64 v[22:23], s[38:39], v[54:55], -v[22:23]
	v_fma_f64 v[24:25], s[40:41], v[54:55], v[24:25]
	s_waitcnt vmcnt(0) lgkmcnt(0)
	v_mul_f64 v[26:27], s[16:17], v[2:3]
	v_mul_f64 v[2:3], s[14:15], v[2:3]
	v_fma_f64 v[26:27], s[14:15], v[0:1], -v[26:27]
	v_fma_f64 v[2:3], s[16:17], v[0:1], v[2:3]
	v_add_f64 v[0:1], v[22:23], v[26:27]
	v_add_f64 v[2:3], v[24:25], v[2:3]
	v_mul_f64 v[22:23], s[38:39], v[46:47]
	flat_store_dwordx4 v[6:7], v[0:3] offset:512
	flat_load_dwordx4 v[0:3], v[8:9] offset:768
	v_mul_f64 v[8:9], s[40:41], v[46:47]
	v_fma_f64 v[22:23], s[40:41], v[42:43], v[22:23]
	v_fma_f64 v[8:9], s[38:39], v[42:43], -v[8:9]
	s_waitcnt vmcnt(0) lgkmcnt(0)
	v_mul_f64 v[24:25], s[16:17], v[2:3]
	v_mul_f64 v[2:3], s[14:15], v[2:3]
	v_fma_f64 v[24:25], s[14:15], v[0:1], -v[24:25]
	v_fma_f64 v[2:3], s[16:17], v[0:1], v[2:3]
	v_add_f64 v[0:1], v[8:9], v[24:25]
	v_add_f64 v[2:3], v[22:23], v[2:3]
	v_add_co_u32 v8, vcc_lo, v28, v4
	v_add_co_ci_u32_e64 v9, null, v29, v5, vcc_lo
	v_mul_f64 v[22:23], s[38:39], v[68:69]
	v_add_co_u32 v30, vcc_lo, v30, s2
	v_add_co_ci_u32_e64 v31, null, s3, v31, vcc_lo
	flat_store_dwordx4 v[6:7], v[0:3] offset:768
	flat_load_dwordx4 v[0:3], v[8:9]
	v_mul_f64 v[6:7], s[40:41], v[68:69]
	v_fma_f64 v[22:23], s[40:41], v[66:67], v[22:23]
	v_fma_f64 v[6:7], s[38:39], v[66:67], -v[6:7]
	s_waitcnt vmcnt(0) lgkmcnt(0)
	v_mul_f64 v[24:25], s[16:17], v[2:3]
	v_mul_f64 v[2:3], s[14:15], v[2:3]
	v_fma_f64 v[24:25], s[14:15], v[0:1], -v[24:25]
	v_fma_f64 v[2:3], s[16:17], v[0:1], v[2:3]
	v_add_f64 v[0:1], v[6:7], v[24:25]
	v_add_f64 v[2:3], v[22:23], v[2:3]
	v_add_co_u32 v6, vcc_lo, v30, v4
	v_add_co_ci_u32_e64 v7, null, v31, v5, vcc_lo
	v_mul_f64 v[22:23], s[40:41], v[60:61]
	v_mul_f64 v[24:25], s[38:39], v[60:61]
	flat_store_dwordx4 v[6:7], v[0:3]
	flat_load_dwordx4 v[0:3], v[8:9] offset:256
	v_fma_f64 v[22:23], s[38:39], v[56:57], -v[22:23]
	v_fma_f64 v[24:25], s[40:41], v[56:57], v[24:25]
	s_waitcnt vmcnt(0) lgkmcnt(0)
	v_mul_f64 v[26:27], s[16:17], v[2:3]
	v_mul_f64 v[2:3], s[14:15], v[2:3]
	v_fma_f64 v[26:27], s[14:15], v[0:1], -v[26:27]
	v_fma_f64 v[2:3], s[16:17], v[0:1], v[2:3]
	v_add_f64 v[0:1], v[22:23], v[26:27]
	v_add_f64 v[2:3], v[24:25], v[2:3]
	v_mul_f64 v[22:23], s[40:41], v[50:51]
	v_mul_f64 v[24:25], s[38:39], v[50:51]
	flat_store_dwordx4 v[6:7], v[0:3] offset:256
	flat_load_dwordx4 v[0:3], v[8:9] offset:512
	v_fma_f64 v[22:23], s[38:39], v[44:45], -v[22:23]
	v_fma_f64 v[24:25], s[40:41], v[44:45], v[24:25]
	s_waitcnt vmcnt(0) lgkmcnt(0)
	v_mul_f64 v[26:27], s[16:17], v[2:3]
	v_mul_f64 v[2:3], s[14:15], v[2:3]
	v_fma_f64 v[26:27], s[14:15], v[0:1], -v[26:27]
	v_fma_f64 v[2:3], s[16:17], v[0:1], v[2:3]
	v_add_f64 v[0:1], v[22:23], v[26:27]
	v_add_f64 v[2:3], v[24:25], v[2:3]
	v_mul_f64 v[22:23], s[38:39], v[40:41]
	flat_store_dwordx4 v[6:7], v[0:3] offset:512
	flat_load_dwordx4 v[0:3], v[8:9] offset:768
	v_mul_f64 v[8:9], s[40:41], v[40:41]
	v_fma_f64 v[22:23], s[40:41], v[38:39], v[22:23]
	v_fma_f64 v[8:9], s[38:39], v[38:39], -v[8:9]
	s_waitcnt vmcnt(0) lgkmcnt(0)
	v_mul_f64 v[24:25], s[16:17], v[2:3]
	v_mul_f64 v[2:3], s[14:15], v[2:3]
	v_fma_f64 v[24:25], s[14:15], v[0:1], -v[24:25]
	v_fma_f64 v[2:3], s[16:17], v[0:1], v[2:3]
	v_add_f64 v[0:1], v[8:9], v[24:25]
	v_add_f64 v[2:3], v[22:23], v[2:3]
	v_add_co_u32 v8, vcc_lo, v28, s0
	v_add_co_ci_u32_e64 v9, null, s1, v29, vcc_lo
	v_add_co_u32 v8, vcc_lo, v8, v4
	v_add_co_ci_u32_e64 v9, null, v9, v5, vcc_lo
	flat_store_dwordx4 v[6:7], v[0:3] offset:768
	flat_load_dwordx4 v[0:3], v[8:9]
	v_mul_f64 v[6:7], s[40:41], v[20:21]
	v_mul_f64 v[20:21], s[38:39], v[20:21]
	v_fma_f64 v[6:7], s[38:39], v[18:19], -v[6:7]
	v_fma_f64 v[18:19], s[40:41], v[18:19], v[20:21]
	s_waitcnt vmcnt(0) lgkmcnt(0)
	v_mul_f64 v[22:23], s[16:17], v[2:3]
	v_mul_f64 v[2:3], s[14:15], v[2:3]
	v_fma_f64 v[20:21], s[14:15], v[0:1], -v[22:23]
	v_fma_f64 v[2:3], s[16:17], v[0:1], v[2:3]
	v_add_f64 v[0:1], v[6:7], v[20:21]
	v_add_f64 v[2:3], v[18:19], v[2:3]
	v_add_co_u32 v6, vcc_lo, v30, s2
	v_add_co_ci_u32_e64 v7, null, s3, v31, vcc_lo
	v_add_co_u32 v6, vcc_lo, v6, v4
	v_add_co_ci_u32_e64 v7, null, v7, v5, vcc_lo
	v_mul_f64 v[4:5], s[40:41], v[16:17]
	v_mul_f64 v[16:17], s[38:39], v[16:17]
	flat_store_dwordx4 v[6:7], v[0:3]
	flat_load_dwordx4 v[0:3], v[8:9] offset:256
	v_fma_f64 v[4:5], s[38:39], v[14:15], -v[4:5]
	v_fma_f64 v[14:15], s[40:41], v[14:15], v[16:17]
	s_waitcnt vmcnt(0) lgkmcnt(0)
	v_mul_f64 v[18:19], s[16:17], v[2:3]
	v_mul_f64 v[2:3], s[14:15], v[2:3]
	v_fma_f64 v[16:17], s[14:15], v[0:1], -v[18:19]
	v_fma_f64 v[2:3], s[16:17], v[0:1], v[2:3]
	v_add_f64 v[0:1], v[4:5], v[16:17]
	v_add_f64 v[2:3], v[14:15], v[2:3]
	v_mul_f64 v[4:5], s[40:41], v[12:13]
	v_mul_f64 v[12:13], s[38:39], v[12:13]
	flat_store_dwordx4 v[6:7], v[0:3] offset:256
	flat_load_dwordx4 v[0:3], v[8:9] offset:512
	v_fma_f64 v[4:5], s[38:39], v[10:11], -v[4:5]
	v_fma_f64 v[10:11], s[40:41], v[10:11], v[12:13]
	s_waitcnt vmcnt(0) lgkmcnt(0)
	v_mul_f64 v[14:15], s[16:17], v[2:3]
	v_mul_f64 v[2:3], s[14:15], v[2:3]
	v_fma_f64 v[12:13], s[14:15], v[0:1], -v[14:15]
	v_fma_f64 v[2:3], s[16:17], v[0:1], v[2:3]
	v_add_f64 v[0:1], v[4:5], v[12:13]
	v_add_f64 v[2:3], v[10:11], v[2:3]
	v_mul_f64 v[4:5], s[40:41], v[76:77]
	flat_store_dwordx4 v[6:7], v[0:3] offset:512
	flat_load_dwordx4 v[0:3], v[8:9] offset:768
	v_mul_f64 v[8:9], s[38:39], v[76:77]
	v_fma_f64 v[4:5], s[38:39], v[74:75], -v[4:5]
	v_fma_f64 v[8:9], s[40:41], v[74:75], v[8:9]
	s_waitcnt vmcnt(0) lgkmcnt(0)
	v_mul_f64 v[10:11], s[16:17], v[2:3]
	v_mul_f64 v[2:3], s[14:15], v[2:3]
	v_fma_f64 v[10:11], s[14:15], v[0:1], -v[10:11]
	v_fma_f64 v[0:1], s[16:17], v[0:1], v[2:3]
	v_add_f64 v[10:11], v[4:5], v[10:11]
	v_add_f64 v[2:3], v[8:9], v[0:1]
	v_add_co_u32 v4, vcc_lo, 0x300, v6
	v_add_co_ci_u32_e64 v5, null, 0, v7, vcc_lo
	flat_store_dwordx2 v[6:7], v[10:11] offset:768
.LBB266_8:
	flat_store_dwordx2 v[4:5], v[2:3] offset:8
	s_endpgm
	.section	.rodata,"a",@progbits
	.p2align	6, 0x0
	.amdhsa_kernel _ZN12_GLOBAL__N_127rocblas_gemm_batched_kernelI19rocblas_complex_numIdELi16ELi16ELi64ELi64ELi4ELi64ELi4ELi4ELi64ELc84ELc84EKPKS2_S5_KPS2_EEvlllT_PT11_llSA_llS8_PT12_llPT13_lli
		.amdhsa_group_segment_fixed_size 8192
		.amdhsa_private_segment_fixed_size 0
		.amdhsa_kernarg_size 156
		.amdhsa_user_sgpr_count 6
		.amdhsa_user_sgpr_private_segment_buffer 1
		.amdhsa_user_sgpr_dispatch_ptr 0
		.amdhsa_user_sgpr_queue_ptr 0
		.amdhsa_user_sgpr_kernarg_segment_ptr 1
		.amdhsa_user_sgpr_dispatch_id 0
		.amdhsa_user_sgpr_flat_scratch_init 0
		.amdhsa_user_sgpr_private_segment_size 0
		.amdhsa_wavefront_size32 1
		.amdhsa_uses_dynamic_stack 0
		.amdhsa_system_sgpr_private_segment_wavefront_offset 0
		.amdhsa_system_sgpr_workgroup_id_x 1
		.amdhsa_system_sgpr_workgroup_id_y 1
		.amdhsa_system_sgpr_workgroup_id_z 1
		.amdhsa_system_sgpr_workgroup_info 0
		.amdhsa_system_vgpr_workitem_id 1
		.amdhsa_next_free_vgpr 138
		.amdhsa_next_free_sgpr 52
		.amdhsa_reserve_vcc 1
		.amdhsa_reserve_flat_scratch 0
		.amdhsa_float_round_mode_32 0
		.amdhsa_float_round_mode_16_64 0
		.amdhsa_float_denorm_mode_32 3
		.amdhsa_float_denorm_mode_16_64 3
		.amdhsa_dx10_clamp 1
		.amdhsa_ieee_mode 1
		.amdhsa_fp16_overflow 0
		.amdhsa_workgroup_processor_mode 1
		.amdhsa_memory_ordered 1
		.amdhsa_forward_progress 1
		.amdhsa_shared_vgpr_count 0
		.amdhsa_exception_fp_ieee_invalid_op 0
		.amdhsa_exception_fp_denorm_src 0
		.amdhsa_exception_fp_ieee_div_zero 0
		.amdhsa_exception_fp_ieee_overflow 0
		.amdhsa_exception_fp_ieee_underflow 0
		.amdhsa_exception_fp_ieee_inexact 0
		.amdhsa_exception_int_div_zero 0
	.end_amdhsa_kernel
	.section	.text._ZN12_GLOBAL__N_127rocblas_gemm_batched_kernelI19rocblas_complex_numIdELi16ELi16ELi64ELi64ELi4ELi64ELi4ELi4ELi64ELc84ELc84EKPKS2_S5_KPS2_EEvlllT_PT11_llSA_llS8_PT12_llPT13_lli,"axG",@progbits,_ZN12_GLOBAL__N_127rocblas_gemm_batched_kernelI19rocblas_complex_numIdELi16ELi16ELi64ELi64ELi4ELi64ELi4ELi4ELi64ELc84ELc84EKPKS2_S5_KPS2_EEvlllT_PT11_llSA_llS8_PT12_llPT13_lli,comdat
.Lfunc_end266:
	.size	_ZN12_GLOBAL__N_127rocblas_gemm_batched_kernelI19rocblas_complex_numIdELi16ELi16ELi64ELi64ELi4ELi64ELi4ELi4ELi64ELc84ELc84EKPKS2_S5_KPS2_EEvlllT_PT11_llSA_llS8_PT12_llPT13_lli, .Lfunc_end266-_ZN12_GLOBAL__N_127rocblas_gemm_batched_kernelI19rocblas_complex_numIdELi16ELi16ELi64ELi64ELi4ELi64ELi4ELi4ELi64ELc84ELc84EKPKS2_S5_KPS2_EEvlllT_PT11_llSA_llS8_PT12_llPT13_lli
                                        ; -- End function
	.set _ZN12_GLOBAL__N_127rocblas_gemm_batched_kernelI19rocblas_complex_numIdELi16ELi16ELi64ELi64ELi4ELi64ELi4ELi4ELi64ELc84ELc84EKPKS2_S5_KPS2_EEvlllT_PT11_llSA_llS8_PT12_llPT13_lli.num_vgpr, 138
	.set _ZN12_GLOBAL__N_127rocblas_gemm_batched_kernelI19rocblas_complex_numIdELi16ELi16ELi64ELi64ELi4ELi64ELi4ELi4ELi64ELc84ELc84EKPKS2_S5_KPS2_EEvlllT_PT11_llSA_llS8_PT12_llPT13_lli.num_agpr, 0
	.set _ZN12_GLOBAL__N_127rocblas_gemm_batched_kernelI19rocblas_complex_numIdELi16ELi16ELi64ELi64ELi4ELi64ELi4ELi4ELi64ELc84ELc84EKPKS2_S5_KPS2_EEvlllT_PT11_llSA_llS8_PT12_llPT13_lli.numbered_sgpr, 52
	.set _ZN12_GLOBAL__N_127rocblas_gemm_batched_kernelI19rocblas_complex_numIdELi16ELi16ELi64ELi64ELi4ELi64ELi4ELi4ELi64ELc84ELc84EKPKS2_S5_KPS2_EEvlllT_PT11_llSA_llS8_PT12_llPT13_lli.num_named_barrier, 0
	.set _ZN12_GLOBAL__N_127rocblas_gemm_batched_kernelI19rocblas_complex_numIdELi16ELi16ELi64ELi64ELi4ELi64ELi4ELi4ELi64ELc84ELc84EKPKS2_S5_KPS2_EEvlllT_PT11_llSA_llS8_PT12_llPT13_lli.private_seg_size, 0
	.set _ZN12_GLOBAL__N_127rocblas_gemm_batched_kernelI19rocblas_complex_numIdELi16ELi16ELi64ELi64ELi4ELi64ELi4ELi4ELi64ELc84ELc84EKPKS2_S5_KPS2_EEvlllT_PT11_llSA_llS8_PT12_llPT13_lli.uses_vcc, 1
	.set _ZN12_GLOBAL__N_127rocblas_gemm_batched_kernelI19rocblas_complex_numIdELi16ELi16ELi64ELi64ELi4ELi64ELi4ELi4ELi64ELc84ELc84EKPKS2_S5_KPS2_EEvlllT_PT11_llSA_llS8_PT12_llPT13_lli.uses_flat_scratch, 0
	.set _ZN12_GLOBAL__N_127rocblas_gemm_batched_kernelI19rocblas_complex_numIdELi16ELi16ELi64ELi64ELi4ELi64ELi4ELi4ELi64ELc84ELc84EKPKS2_S5_KPS2_EEvlllT_PT11_llSA_llS8_PT12_llPT13_lli.has_dyn_sized_stack, 0
	.set _ZN12_GLOBAL__N_127rocblas_gemm_batched_kernelI19rocblas_complex_numIdELi16ELi16ELi64ELi64ELi4ELi64ELi4ELi4ELi64ELc84ELc84EKPKS2_S5_KPS2_EEvlllT_PT11_llSA_llS8_PT12_llPT13_lli.has_recursion, 0
	.set _ZN12_GLOBAL__N_127rocblas_gemm_batched_kernelI19rocblas_complex_numIdELi16ELi16ELi64ELi64ELi4ELi64ELi4ELi4ELi64ELc84ELc84EKPKS2_S5_KPS2_EEvlllT_PT11_llSA_llS8_PT12_llPT13_lli.has_indirect_call, 0
	.section	.AMDGPU.csdata,"",@progbits
; Kernel info:
; codeLenInByte = 7396
; TotalNumSgprs: 54
; NumVgprs: 138
; ScratchSize: 0
; MemoryBound: 0
; FloatMode: 240
; IeeeMode: 1
; LDSByteSize: 8192 bytes/workgroup (compile time only)
; SGPRBlocks: 0
; VGPRBlocks: 17
; NumSGPRsForWavesPerEU: 54
; NumVGPRsForWavesPerEU: 138
; Occupancy: 7
; WaveLimiterHint : 1
; COMPUTE_PGM_RSRC2:SCRATCH_EN: 0
; COMPUTE_PGM_RSRC2:USER_SGPR: 6
; COMPUTE_PGM_RSRC2:TRAP_HANDLER: 0
; COMPUTE_PGM_RSRC2:TGID_X_EN: 1
; COMPUTE_PGM_RSRC2:TGID_Y_EN: 1
; COMPUTE_PGM_RSRC2:TGID_Z_EN: 1
; COMPUTE_PGM_RSRC2:TIDIG_COMP_CNT: 1
	.section	.text._ZN12_GLOBAL__N_127rocblas_gemm_batched_kernelI19rocblas_complex_numIdELi16ELi16ELi64ELi64ELi4ELi64ELi4ELi4ELi64ELc67ELc67EKPKS2_S5_KPS2_EEvlllT_PT11_llSA_llS8_PT12_llPT13_lli,"axG",@progbits,_ZN12_GLOBAL__N_127rocblas_gemm_batched_kernelI19rocblas_complex_numIdELi16ELi16ELi64ELi64ELi4ELi64ELi4ELi4ELi64ELc67ELc67EKPKS2_S5_KPS2_EEvlllT_PT11_llSA_llS8_PT12_llPT13_lli,comdat
	.globl	_ZN12_GLOBAL__N_127rocblas_gemm_batched_kernelI19rocblas_complex_numIdELi16ELi16ELi64ELi64ELi4ELi64ELi4ELi4ELi64ELc67ELc67EKPKS2_S5_KPS2_EEvlllT_PT11_llSA_llS8_PT12_llPT13_lli ; -- Begin function _ZN12_GLOBAL__N_127rocblas_gemm_batched_kernelI19rocblas_complex_numIdELi16ELi16ELi64ELi64ELi4ELi64ELi4ELi4ELi64ELc67ELc67EKPKS2_S5_KPS2_EEvlllT_PT11_llSA_llS8_PT12_llPT13_lli
	.p2align	8
	.type	_ZN12_GLOBAL__N_127rocblas_gemm_batched_kernelI19rocblas_complex_numIdELi16ELi16ELi64ELi64ELi4ELi64ELi4ELi4ELi64ELc67ELc67EKPKS2_S5_KPS2_EEvlllT_PT11_llSA_llS8_PT12_llPT13_lli,@function
_ZN12_GLOBAL__N_127rocblas_gemm_batched_kernelI19rocblas_complex_numIdELi16ELi16ELi64ELi64ELi4ELi64ELi4ELi4ELi64ELc67ELc67EKPKS2_S5_KPS2_EEvlllT_PT11_llSA_llS8_PT12_llPT13_lli: ; @_ZN12_GLOBAL__N_127rocblas_gemm_batched_kernelI19rocblas_complex_numIdELi16ELi16ELi64ELi64ELi4ELi64ELi4ELi4ELi64ELc67ELc67EKPKS2_S5_KPS2_EEvlllT_PT11_llSA_llS8_PT12_llPT13_lli
; %bb.0:
	s_clause 0x1
	s_load_dwordx16 s[12:27], s[4:5], 0x50
	s_load_dwordx16 s[36:51], s[4:5], 0x10
	s_mov_b32 s9, 0
	s_mov_b32 s28, s7
	s_lshl_b64 s[10:11], s[8:9], 3
	s_waitcnt lgkmcnt(0)
	s_add_u32 s0, s18, s10
	s_addc_u32 s1, s19, s11
	s_add_u32 s2, s24, s10
	s_addc_u32 s3, s25, s11
	s_load_dwordx2 s[0:1], s[0:1], 0x0
	s_load_dwordx2 s[2:3], s[2:3], 0x0
	v_cmp_lt_i64_e64 s8, s[36:37], 1
	s_ashr_i32 s7, s6, 31
	s_ashr_i32 s29, s28, 31
	s_lshl_b64 s[6:7], s[6:7], 6
	s_and_b32 vcc_lo, exec_lo, s8
	s_lshl_b64 s[8:9], s[28:29], 6
	s_cbranch_vccnz .LBB267_3
; %bb.1:
	v_lshl_add_u32 v6, v1, 4, v0
	v_and_b32_e32 v7, 3, v0
	v_mov_b32_e32 v76, 0
	v_mov_b32_e32 v74, 0
	v_mov_b32_e32 v16, 0
	v_lshrrev_b32_e32 v8, 2, v6
	v_and_b32_e32 v9, 63, v6
	v_lshrrev_b32_e32 v12, 6, v6
	v_lshlrev_b32_e32 v13, 4, v7
	v_mov_b32_e32 v14, 0
	v_add_co_u32 v2, s18, v8, s8
	v_add_co_ci_u32_e64 v3, null, 0, s9, s18
	v_add_co_u32 v4, s18, s6, v9
	v_add_co_ci_u32_e64 v5, null, s7, 0, s18
	v_mad_u64_u32 v[2:3], null, s50, v7, v[2:3]
	v_mul_lo_u32 v10, s45, v4
	v_mul_lo_u32 v11, s44, v5
	v_mad_u64_u32 v[4:5], null, s44, v4, 0
	s_add_u32 s18, s42, s10
	s_addc_u32 s19, s43, s11
	s_add_u32 s10, s48, s10
	s_addc_u32 s11, s49, s11
	s_load_dwordx2 s[18:19], s[18:19], 0x0
	s_load_dwordx2 s[10:11], s[10:11], 0x0
	v_add3_u32 v5, v5, v11, v10
	v_mad_u64_u32 v[6:7], null, s51, v7, v[3:4]
	v_lshlrev_b32_e32 v3, 4, v9
	s_lshl_b64 s[24:25], s[46:47], 4
	v_lshlrev_b64 v[4:5], 4, v[4:5]
	s_lshl_b64 s[12:13], s[12:13], 4
	v_lshl_or_b32 v7, v8, 6, v13
	v_lshl_or_b32 v90, v12, 10, v3
	v_mov_b32_e32 v3, v6
	v_lshlrev_b32_e32 v6, 4, v12
	v_add_co_u32 v4, vcc_lo, v4, s24
	v_add_co_ci_u32_e64 v5, null, s25, v5, vcc_lo
	v_lshlrev_b64 v[2:3], 4, v[2:3]
	v_add_co_u32 v4, vcc_lo, v4, v6
	v_add_co_ci_u32_e64 v5, null, 0, v5, vcc_lo
	s_waitcnt lgkmcnt(0)
	s_add_u32 s10, s10, s12
	v_add_co_u32 v26, vcc_lo, s18, v4
	v_add_co_ci_u32_e64 v27, null, s19, v5, vcc_lo
	s_addc_u32 s11, s11, s13
	v_add_co_u32 v28, vcc_lo, s10, v2
	v_mov_b32_e32 v12, 0
	v_mov_b32_e32 v10, 0
	;; [unrolled: 1-line block ×28, first 2 shown]
	v_add_nc_u32_e32 v91, 0x1000, v7
	v_lshlrev_b32_e32 v92, 4, v0
	v_lshl_add_u32 v93, v1, 6, 0x1000
	v_mov_b32_e32 v77, 0
	v_mov_b32_e32 v75, 0
	;; [unrolled: 1-line block ×32, first 2 shown]
	v_add_co_ci_u32_e64 v29, null, s11, v3, vcc_lo
	s_lshl_b64 s[10:11], s[50:51], 6
	s_mov_b64 s[12:13], 0
.LBB267_2:                              ; =>This Inner Loop Header: Depth=1
	flat_load_dwordx4 v[2:5], v[26:27]
	s_add_u32 s12, s12, 4
	s_addc_u32 s13, s13, 0
	v_add_co_u32 v26, vcc_lo, v26, 64
	v_cmp_lt_i64_e64 s18, s[12:13], s[36:37]
	v_add_co_ci_u32_e64 v27, null, 0, v27, vcc_lo
	s_waitcnt vmcnt(0) lgkmcnt(0)
	v_xor_b32_e32 v5, 0x80000000, v5
	ds_write_b128 v90, v[2:5]
	flat_load_dwordx4 v[2:5], v[28:29]
	v_add_co_u32 v28, vcc_lo, v28, s10
	v_add_co_ci_u32_e64 v29, null, s11, v29, vcc_lo
	s_and_b32 vcc_lo, exec_lo, s18
	s_waitcnt vmcnt(0) lgkmcnt(0)
	v_xor_b32_e32 v5, 0x80000000, v5
	ds_write_b128 v91, v[2:5]
	s_waitcnt lgkmcnt(0)
	s_barrier
	buffer_gl0_inv
	ds_read_b128 v[78:81], v93
	ds_read_b128 v[82:85], v93 offset:16
	ds_read_b128 v[6:9], v93 offset:32
	;; [unrolled: 1-line block ×3, first 2 shown]
	ds_read_b128 v[86:89], v92
	s_waitcnt lgkmcnt(0)
	v_mul_f64 v[94:95], v[80:81], v[88:89]
	v_mul_f64 v[96:97], v[78:79], v[88:89]
	v_fma_f64 v[94:95], v[78:79], v[86:87], -v[94:95]
	v_fma_f64 v[96:97], v[80:81], v[86:87], v[96:97]
	v_add_f64 v[98:99], v[48:49], v[94:95]
	v_add_f64 v[100:101], v[96:97], v[52:53]
	ds_read_b128 v[94:97], v92 offset:256
	s_waitcnt lgkmcnt(0)
	v_mul_f64 v[48:49], v[80:81], v[96:97]
	v_mul_f64 v[52:53], v[78:79], v[96:97]
	v_fma_f64 v[48:49], v[78:79], v[94:95], -v[48:49]
	v_fma_f64 v[52:53], v[80:81], v[94:95], v[52:53]
	v_add_f64 v[102:103], v[34:35], v[48:49]
	v_add_f64 v[104:105], v[52:53], v[36:37]
	ds_read_b128 v[34:37], v92 offset:512
	;; [unrolled: 8-line block ×4, first 2 shown]
	s_waitcnt lgkmcnt(0)
	v_mul_f64 v[48:49], v[24:25], v[88:89]
	v_mul_f64 v[52:53], v[22:23], v[88:89]
	v_fma_f64 v[48:49], v[22:23], v[86:87], -v[48:49]
	v_fma_f64 v[52:53], v[24:25], v[86:87], v[52:53]
	v_add_f64 v[70:71], v[70:71], v[48:49]
	v_mul_f64 v[48:49], v[24:25], v[96:97]
	v_add_f64 v[72:73], v[52:53], v[72:73]
	v_mul_f64 v[52:53], v[22:23], v[96:97]
	v_fma_f64 v[48:49], v[22:23], v[94:95], -v[48:49]
	v_fma_f64 v[52:53], v[24:25], v[94:95], v[52:53]
	v_add_f64 v[110:111], v[62:63], v[48:49]
	v_mul_f64 v[48:49], v[24:25], v[36:37]
	v_add_f64 v[112:113], v[52:53], v[64:65]
	;; [unrolled: 6-line block ×3, first 2 shown]
	v_fma_f64 v[48:49], v[22:23], v[30:31], -v[48:49]
	v_mul_f64 v[22:23], v[22:23], v[32:33]
	v_add_f64 v[118:119], v[42:43], v[48:49]
	v_fma_f64 v[22:23], v[24:25], v[30:31], v[22:23]
	v_add_f64 v[120:121], v[22:23], v[46:47]
	ds_read_b128 v[22:25], v93 offset:2048
	s_waitcnt lgkmcnt(0)
	v_mul_f64 v[42:43], v[24:25], v[88:89]
	v_mul_f64 v[46:47], v[22:23], v[88:89]
	v_fma_f64 v[42:43], v[22:23], v[86:87], -v[42:43]
	v_fma_f64 v[46:47], v[24:25], v[86:87], v[46:47]
	v_add_f64 v[122:123], v[66:67], v[42:43]
	v_mul_f64 v[42:43], v[24:25], v[96:97]
	v_add_f64 v[124:125], v[46:47], v[68:69]
	v_mul_f64 v[46:47], v[22:23], v[96:97]
	v_fma_f64 v[42:43], v[22:23], v[94:95], -v[42:43]
	v_fma_f64 v[46:47], v[24:25], v[94:95], v[46:47]
	v_add_f64 v[126:127], v[56:57], v[42:43]
	v_mul_f64 v[42:43], v[24:25], v[36:37]
	v_add_f64 v[128:129], v[46:47], v[60:61]
	;; [unrolled: 6-line block ×3, first 2 shown]
	v_fma_f64 v[42:43], v[22:23], v[30:31], -v[42:43]
	v_mul_f64 v[22:23], v[22:23], v[32:33]
	v_add_f64 v[134:135], v[38:39], v[42:43]
	v_fma_f64 v[22:23], v[24:25], v[30:31], v[22:23]
	v_add_f64 v[136:137], v[22:23], v[40:41]
	ds_read_b128 v[22:25], v93 offset:3072
	s_waitcnt lgkmcnt(0)
	v_mul_f64 v[38:39], v[24:25], v[88:89]
	v_mul_f64 v[40:41], v[22:23], v[88:89]
	v_fma_f64 v[38:39], v[22:23], v[86:87], -v[38:39]
	v_fma_f64 v[40:41], v[24:25], v[86:87], v[40:41]
	v_add_f64 v[58:59], v[18:19], v[38:39]
	v_add_f64 v[60:61], v[40:41], v[20:21]
	v_mul_f64 v[18:19], v[24:25], v[96:97]
	v_mul_f64 v[20:21], v[22:23], v[96:97]
	v_fma_f64 v[18:19], v[22:23], v[94:95], -v[18:19]
	v_fma_f64 v[20:21], v[24:25], v[94:95], v[20:21]
	v_add_f64 v[54:55], v[14:15], v[18:19]
	v_add_f64 v[56:57], v[20:21], v[16:17]
	v_mul_f64 v[14:15], v[24:25], v[36:37]
	v_mul_f64 v[16:17], v[22:23], v[36:37]
	ds_read_b128 v[18:21], v92 offset:1280
	v_fma_f64 v[14:15], v[22:23], v[34:35], -v[14:15]
	v_fma_f64 v[16:17], v[24:25], v[34:35], v[16:17]
	v_add_f64 v[50:51], v[10:11], v[14:15]
	v_add_f64 v[52:53], v[16:17], v[12:13]
	v_mul_f64 v[10:11], v[24:25], v[32:33]
	v_mul_f64 v[12:13], v[22:23], v[32:33]
	ds_read_b128 v[14:17], v92 offset:1536
	v_fma_f64 v[10:11], v[22:23], v[30:31], -v[10:11]
	v_fma_f64 v[12:13], v[24:25], v[30:31], v[12:13]
	ds_read_b128 v[22:25], v92 offset:1024
	v_add_f64 v[46:47], v[74:75], v[10:11]
	v_add_f64 v[48:49], v[12:13], v[76:77]
	s_waitcnt lgkmcnt(0)
	v_mul_f64 v[10:11], v[84:85], v[24:25]
	v_mul_f64 v[12:13], v[82:83], v[24:25]
	ds_read_b128 v[74:77], v93 offset:1040
	v_fma_f64 v[10:11], v[82:83], v[22:23], -v[10:11]
	v_fma_f64 v[12:13], v[84:85], v[22:23], v[12:13]
	s_waitcnt lgkmcnt(0)
	v_mul_f64 v[62:63], v[76:77], v[24:25]
	v_mul_f64 v[64:65], v[74:75], v[24:25]
	v_mul_f64 v[66:67], v[76:77], v[20:21]
	v_mul_f64 v[68:69], v[74:75], v[20:21]
	v_add_f64 v[42:43], v[98:99], v[10:11]
	v_add_f64 v[44:45], v[12:13], v[100:101]
	v_mul_f64 v[10:11], v[84:85], v[20:21]
	v_mul_f64 v[12:13], v[82:83], v[20:21]
	v_fma_f64 v[62:63], v[74:75], v[22:23], -v[62:63]
	v_fma_f64 v[64:65], v[76:77], v[22:23], v[64:65]
	v_fma_f64 v[66:67], v[74:75], v[18:19], -v[66:67]
	v_fma_f64 v[68:69], v[76:77], v[18:19], v[68:69]
	;; [unrolled: 2-line block ×3, first 2 shown]
	v_add_f64 v[62:63], v[70:71], v[62:63]
	v_mul_f64 v[70:71], v[76:77], v[16:17]
	v_add_f64 v[64:65], v[64:65], v[72:73]
	v_mul_f64 v[72:73], v[74:75], v[16:17]
	v_add_f64 v[66:67], v[110:111], v[66:67]
	v_add_f64 v[68:69], v[68:69], v[112:113]
	;; [unrolled: 1-line block ×4, first 2 shown]
	v_mul_f64 v[10:11], v[84:85], v[16:17]
	v_mul_f64 v[12:13], v[82:83], v[16:17]
	v_fma_f64 v[70:71], v[74:75], v[14:15], -v[70:71]
	v_fma_f64 v[72:73], v[76:77], v[14:15], v[72:73]
	v_fma_f64 v[10:11], v[82:83], v[14:15], -v[10:11]
	v_fma_f64 v[12:13], v[84:85], v[14:15], v[12:13]
	v_add_f64 v[70:71], v[114:115], v[70:71]
	v_add_f64 v[72:73], v[72:73], v[116:117]
	;; [unrolled: 1-line block ×4, first 2 shown]
	ds_read_b128 v[10:13], v92 offset:1792
	s_waitcnt lgkmcnt(0)
	v_mul_f64 v[30:31], v[84:85], v[12:13]
	v_mul_f64 v[32:33], v[82:83], v[12:13]
	v_fma_f64 v[30:31], v[82:83], v[10:11], -v[30:31]
	v_fma_f64 v[32:33], v[84:85], v[10:11], v[32:33]
	v_add_f64 v[30:31], v[78:79], v[30:31]
	v_mul_f64 v[78:79], v[76:77], v[12:13]
	v_add_f64 v[32:33], v[32:33], v[80:81]
	v_fma_f64 v[78:79], v[74:75], v[10:11], -v[78:79]
	v_mul_f64 v[74:75], v[74:75], v[12:13]
	v_fma_f64 v[76:77], v[76:77], v[10:11], v[74:75]
	v_add_f64 v[74:75], v[118:119], v[78:79]
	ds_read_b128 v[78:81], v93 offset:2064
	s_waitcnt lgkmcnt(0)
	v_mul_f64 v[82:83], v[80:81], v[24:25]
	v_mul_f64 v[86:87], v[80:81], v[20:21]
	;; [unrolled: 1-line block ×7, first 2 shown]
	v_add_f64 v[76:77], v[76:77], v[120:121]
	v_fma_f64 v[82:83], v[78:79], v[22:23], -v[82:83]
	v_fma_f64 v[86:87], v[78:79], v[18:19], -v[86:87]
	;; [unrolled: 1-line block ×4, first 2 shown]
	v_mul_f64 v[78:79], v[78:79], v[12:13]
	v_fma_f64 v[84:85], v[80:81], v[22:23], v[84:85]
	v_fma_f64 v[88:89], v[80:81], v[18:19], v[88:89]
	;; [unrolled: 1-line block ×3, first 2 shown]
	v_add_f64 v[82:83], v[122:123], v[82:83]
	v_add_f64 v[86:87], v[126:127], v[86:87]
	;; [unrolled: 1-line block ×4, first 2 shown]
	v_fma_f64 v[78:79], v[80:81], v[10:11], v[78:79]
	v_add_f64 v[84:85], v[84:85], v[124:125]
	v_add_f64 v[88:89], v[88:89], v[128:129]
	;; [unrolled: 1-line block ×4, first 2 shown]
	ds_read_b128 v[78:81], v93 offset:3088
	s_waitcnt lgkmcnt(0)
	v_mul_f64 v[102:103], v[80:81], v[24:25]
	v_mul_f64 v[24:25], v[78:79], v[24:25]
	v_fma_f64 v[102:103], v[78:79], v[22:23], -v[102:103]
	v_fma_f64 v[22:23], v[80:81], v[22:23], v[24:25]
	v_add_f64 v[58:59], v[58:59], v[102:103]
	v_add_f64 v[60:61], v[22:23], v[60:61]
	v_mul_f64 v[22:23], v[80:81], v[20:21]
	v_mul_f64 v[20:21], v[78:79], v[20:21]
	v_fma_f64 v[22:23], v[78:79], v[18:19], -v[22:23]
	v_fma_f64 v[18:19], v[80:81], v[18:19], v[20:21]
	v_add_f64 v[54:55], v[54:55], v[22:23]
	v_add_f64 v[56:57], v[18:19], v[56:57]
	;; [unrolled: 6-line block ×4, first 2 shown]
	ds_read_b128 v[10:13], v92 offset:2048
	s_waitcnt lgkmcnt(0)
	v_mul_f64 v[14:15], v[8:9], v[12:13]
	v_mul_f64 v[16:17], v[6:7], v[12:13]
	v_fma_f64 v[14:15], v[6:7], v[10:11], -v[14:15]
	v_fma_f64 v[16:17], v[8:9], v[10:11], v[16:17]
	v_add_f64 v[42:43], v[42:43], v[14:15]
	v_add_f64 v[44:45], v[16:17], v[44:45]
	ds_read_b128 v[14:17], v92 offset:2304
	s_waitcnt lgkmcnt(0)
	v_mul_f64 v[18:19], v[8:9], v[16:17]
	v_mul_f64 v[20:21], v[6:7], v[16:17]
	v_fma_f64 v[18:19], v[6:7], v[14:15], -v[18:19]
	v_fma_f64 v[20:21], v[8:9], v[14:15], v[20:21]
	v_add_f64 v[38:39], v[38:39], v[18:19]
	v_add_f64 v[40:41], v[20:21], v[40:41]
	;; [unrolled: 8-line block ×3, first 2 shown]
	ds_read_b128 v[22:25], v92 offset:2816
	s_waitcnt lgkmcnt(0)
	v_mul_f64 v[34:35], v[8:9], v[24:25]
	v_fma_f64 v[34:35], v[6:7], v[22:23], -v[34:35]
	v_mul_f64 v[6:7], v[6:7], v[24:25]
	v_add_f64 v[106:107], v[30:31], v[34:35]
	v_fma_f64 v[6:7], v[8:9], v[22:23], v[6:7]
	v_add_f64 v[108:109], v[6:7], v[32:33]
	ds_read_b128 v[6:9], v93 offset:1056
	s_waitcnt lgkmcnt(0)
	v_mul_f64 v[30:31], v[8:9], v[12:13]
	v_mul_f64 v[32:33], v[6:7], v[12:13]
	v_fma_f64 v[30:31], v[6:7], v[10:11], -v[30:31]
	v_fma_f64 v[32:33], v[8:9], v[10:11], v[32:33]
	v_add_f64 v[62:63], v[62:63], v[30:31]
	v_mul_f64 v[30:31], v[8:9], v[16:17]
	v_add_f64 v[64:65], v[32:33], v[64:65]
	v_mul_f64 v[32:33], v[6:7], v[16:17]
	v_fma_f64 v[30:31], v[6:7], v[14:15], -v[30:31]
	v_fma_f64 v[32:33], v[8:9], v[14:15], v[32:33]
	v_add_f64 v[66:67], v[66:67], v[30:31]
	v_mul_f64 v[30:31], v[8:9], v[20:21]
	v_add_f64 v[68:69], v[32:33], v[68:69]
	;; [unrolled: 6-line block ×3, first 2 shown]
	v_fma_f64 v[30:31], v[6:7], v[22:23], -v[30:31]
	v_mul_f64 v[6:7], v[6:7], v[24:25]
	v_add_f64 v[114:115], v[74:75], v[30:31]
	v_fma_f64 v[6:7], v[8:9], v[22:23], v[6:7]
	v_add_f64 v[116:117], v[6:7], v[76:77]
	ds_read_b128 v[6:9], v93 offset:2080
	s_waitcnt lgkmcnt(0)
	v_mul_f64 v[30:31], v[8:9], v[12:13]
	v_mul_f64 v[32:33], v[6:7], v[12:13]
	v_fma_f64 v[30:31], v[6:7], v[10:11], -v[30:31]
	v_fma_f64 v[32:33], v[8:9], v[10:11], v[32:33]
	v_add_f64 v[118:119], v[82:83], v[30:31]
	v_mul_f64 v[30:31], v[8:9], v[16:17]
	v_add_f64 v[120:121], v[32:33], v[84:85]
	v_mul_f64 v[32:33], v[6:7], v[16:17]
	v_fma_f64 v[30:31], v[6:7], v[14:15], -v[30:31]
	v_fma_f64 v[32:33], v[8:9], v[14:15], v[32:33]
	v_add_f64 v[122:123], v[86:87], v[30:31]
	v_mul_f64 v[30:31], v[8:9], v[20:21]
	v_add_f64 v[124:125], v[32:33], v[88:89]
	;; [unrolled: 6-line block ×3, first 2 shown]
	v_fma_f64 v[30:31], v[6:7], v[22:23], -v[30:31]
	v_mul_f64 v[6:7], v[6:7], v[24:25]
	v_add_f64 v[98:99], v[98:99], v[30:31]
	v_fma_f64 v[6:7], v[8:9], v[22:23], v[6:7]
	v_add_f64 v[100:101], v[6:7], v[100:101]
	ds_read_b128 v[6:9], v93 offset:3104
	s_waitcnt lgkmcnt(0)
	v_mul_f64 v[30:31], v[8:9], v[12:13]
	v_mul_f64 v[12:13], v[6:7], v[12:13]
	v_fma_f64 v[30:31], v[6:7], v[10:11], -v[30:31]
	v_fma_f64 v[10:11], v[8:9], v[10:11], v[12:13]
	v_mul_f64 v[12:13], v[6:7], v[16:17]
	v_add_f64 v[86:87], v[58:59], v[30:31]
	v_add_f64 v[88:89], v[10:11], v[60:61]
	v_mul_f64 v[10:11], v[8:9], v[16:17]
	v_fma_f64 v[12:13], v[8:9], v[14:15], v[12:13]
	v_fma_f64 v[10:11], v[6:7], v[14:15], -v[10:11]
	v_add_f64 v[84:85], v[12:13], v[56:57]
	v_mul_f64 v[12:13], v[6:7], v[20:21]
	ds_read_b128 v[14:17], v92 offset:3328
	v_add_f64 v[82:83], v[54:55], v[10:11]
	v_mul_f64 v[10:11], v[8:9], v[20:21]
	v_fma_f64 v[12:13], v[8:9], v[18:19], v[12:13]
	v_fma_f64 v[10:11], v[6:7], v[18:19], -v[10:11]
	ds_read_b128 v[18:21], v92 offset:3072
	v_add_f64 v[80:81], v[12:13], v[52:53]
	v_add_f64 v[78:79], v[50:51], v[10:11]
	v_mul_f64 v[10:11], v[8:9], v[24:25]
	v_fma_f64 v[10:11], v[6:7], v[22:23], -v[10:11]
	v_mul_f64 v[6:7], v[6:7], v[24:25]
	v_add_f64 v[74:75], v[46:47], v[10:11]
	v_fma_f64 v[6:7], v[8:9], v[22:23], v[6:7]
	s_waitcnt lgkmcnt(0)
	v_mul_f64 v[8:9], v[2:3], v[20:21]
	ds_read_b128 v[10:13], v92 offset:3584
	v_add_f64 v[76:77], v[6:7], v[48:49]
	v_mul_f64 v[6:7], v[4:5], v[20:21]
	v_fma_f64 v[8:9], v[4:5], v[18:19], v[8:9]
	v_fma_f64 v[6:7], v[2:3], v[18:19], -v[6:7]
	v_add_f64 v[52:53], v[8:9], v[44:45]
	v_mul_f64 v[8:9], v[2:3], v[16:17]
	v_add_f64 v[48:49], v[42:43], v[6:7]
	v_mul_f64 v[6:7], v[4:5], v[16:17]
	v_fma_f64 v[8:9], v[4:5], v[14:15], v[8:9]
	v_fma_f64 v[6:7], v[2:3], v[14:15], -v[6:7]
	v_add_f64 v[36:37], v[8:9], v[40:41]
	s_waitcnt lgkmcnt(0)
	v_mul_f64 v[8:9], v[2:3], v[12:13]
	v_add_f64 v[34:35], v[38:39], v[6:7]
	v_mul_f64 v[6:7], v[4:5], v[12:13]
	v_fma_f64 v[8:9], v[4:5], v[10:11], v[8:9]
	v_fma_f64 v[6:7], v[2:3], v[10:11], -v[6:7]
	v_add_f64 v[32:33], v[8:9], v[104:105]
	v_add_f64 v[30:31], v[102:103], v[6:7]
	ds_read_b128 v[6:9], v92 offset:3840
	s_waitcnt lgkmcnt(0)
	v_mul_f64 v[22:23], v[4:5], v[8:9]
	v_fma_f64 v[22:23], v[2:3], v[6:7], -v[22:23]
	v_mul_f64 v[2:3], v[2:3], v[8:9]
	v_add_f64 v[22:23], v[106:107], v[22:23]
	v_fma_f64 v[2:3], v[4:5], v[6:7], v[2:3]
	v_add_f64 v[24:25], v[2:3], v[108:109]
	ds_read_b128 v[2:5], v93 offset:1072
	s_waitcnt lgkmcnt(0)
	v_mul_f64 v[38:39], v[4:5], v[20:21]
	v_mul_f64 v[40:41], v[2:3], v[20:21]
	v_fma_f64 v[38:39], v[2:3], v[18:19], -v[38:39]
	v_fma_f64 v[40:41], v[4:5], v[18:19], v[40:41]
	v_add_f64 v[70:71], v[62:63], v[38:39]
	v_mul_f64 v[38:39], v[4:5], v[16:17]
	v_add_f64 v[72:73], v[40:41], v[64:65]
	v_mul_f64 v[40:41], v[2:3], v[16:17]
	v_fma_f64 v[38:39], v[2:3], v[14:15], -v[38:39]
	v_fma_f64 v[40:41], v[4:5], v[14:15], v[40:41]
	v_add_f64 v[62:63], v[66:67], v[38:39]
	v_mul_f64 v[38:39], v[4:5], v[12:13]
	v_add_f64 v[64:65], v[40:41], v[68:69]
	;; [unrolled: 6-line block ×3, first 2 shown]
	v_fma_f64 v[38:39], v[2:3], v[6:7], -v[38:39]
	v_mul_f64 v[2:3], v[2:3], v[8:9]
	v_add_f64 v[42:43], v[114:115], v[38:39]
	v_fma_f64 v[2:3], v[4:5], v[6:7], v[2:3]
	v_add_f64 v[46:47], v[2:3], v[116:117]
	ds_read_b128 v[2:5], v93 offset:2096
	s_waitcnt lgkmcnt(0)
	v_mul_f64 v[38:39], v[4:5], v[20:21]
	v_mul_f64 v[40:41], v[2:3], v[20:21]
	v_fma_f64 v[38:39], v[2:3], v[18:19], -v[38:39]
	v_fma_f64 v[40:41], v[4:5], v[18:19], v[40:41]
	v_add_f64 v[66:67], v[118:119], v[38:39]
	v_mul_f64 v[38:39], v[4:5], v[16:17]
	v_add_f64 v[68:69], v[40:41], v[120:121]
	v_mul_f64 v[40:41], v[2:3], v[16:17]
	v_fma_f64 v[38:39], v[2:3], v[14:15], -v[38:39]
	v_fma_f64 v[40:41], v[4:5], v[14:15], v[40:41]
	v_add_f64 v[56:57], v[122:123], v[38:39]
	v_mul_f64 v[38:39], v[4:5], v[12:13]
	v_add_f64 v[60:61], v[40:41], v[124:125]
	;; [unrolled: 6-line block ×3, first 2 shown]
	v_fma_f64 v[38:39], v[2:3], v[6:7], -v[38:39]
	v_mul_f64 v[2:3], v[2:3], v[8:9]
	v_add_f64 v[38:39], v[98:99], v[38:39]
	v_fma_f64 v[2:3], v[4:5], v[6:7], v[2:3]
	v_add_f64 v[40:41], v[2:3], v[100:101]
	ds_read_b128 v[2:5], v93 offset:3120
	s_waitcnt lgkmcnt(0)
	s_barrier
	buffer_gl0_inv
	v_mul_f64 v[94:95], v[4:5], v[20:21]
	v_mul_f64 v[20:21], v[2:3], v[20:21]
	v_fma_f64 v[94:95], v[2:3], v[18:19], -v[94:95]
	v_fma_f64 v[20:21], v[4:5], v[18:19], v[20:21]
	v_add_f64 v[18:19], v[86:87], v[94:95]
	v_mul_f64 v[86:87], v[4:5], v[16:17]
	v_mul_f64 v[16:17], v[2:3], v[16:17]
	v_add_f64 v[20:21], v[20:21], v[88:89]
	v_fma_f64 v[86:87], v[2:3], v[14:15], -v[86:87]
	v_fma_f64 v[16:17], v[4:5], v[14:15], v[16:17]
	v_add_f64 v[14:15], v[82:83], v[86:87]
	v_mul_f64 v[82:83], v[4:5], v[12:13]
	v_mul_f64 v[12:13], v[2:3], v[12:13]
	v_add_f64 v[16:17], v[16:17], v[84:85]
	v_fma_f64 v[82:83], v[2:3], v[10:11], -v[82:83]
	v_fma_f64 v[12:13], v[4:5], v[10:11], v[12:13]
	v_add_f64 v[10:11], v[78:79], v[82:83]
	v_mul_f64 v[78:79], v[4:5], v[8:9]
	v_add_f64 v[12:13], v[12:13], v[80:81]
	v_fma_f64 v[78:79], v[2:3], v[6:7], -v[78:79]
	v_mul_f64 v[2:3], v[2:3], v[8:9]
	v_add_f64 v[74:75], v[74:75], v[78:79]
	v_fma_f64 v[2:3], v[4:5], v[6:7], v[2:3]
	v_add_f64 v[76:77], v[2:3], v[76:77]
	s_cbranch_vccnz .LBB267_2
	s_branch .LBB267_4
.LBB267_3:
	v_mov_b32_e32 v48, 0
	v_mov_b32_e32 v52, 0
	;; [unrolled: 1-line block ×64, first 2 shown]
.LBB267_4:
	s_load_dwordx2 s[4:5], s[4:5], 0x90
	v_cmp_neq_f64_e64 s10, s[14:15], 0
	v_cmp_neq_f64_e64 s11, s[16:17], 0
	v_add_co_u32 v6, s8, s8, v1
	v_add_co_ci_u32_e64 v7, null, s9, 0, s8
	s_waitcnt lgkmcnt(0)
	s_lshl_b64 s[4:5], s[4:5], 4
	s_add_u32 s4, s2, s4
	s_addc_u32 s5, s3, s5
	v_add_co_u32 v0, s3, s6, v0
	v_add_co_ci_u32_e64 v1, null, s7, 0, s3
	s_or_b32 s2, s10, s11
	s_and_b32 vcc_lo, exec_lo, s2
	s_cbranch_vccnz .LBB267_6
; %bb.5:
	v_mul_f64 v[4:5], s[40:41], v[52:53]
	v_mul_f64 v[8:9], s[38:39], v[52:53]
	v_mul_lo_u32 v78, v7, s26
	v_mul_lo_u32 v79, v6, s27
	v_mad_u64_u32 v[2:3], null, v6, s26, 0
	v_mul_f64 v[26:27], s[40:41], v[36:37]
	v_mul_f64 v[28:29], s[38:39], v[36:37]
	;; [unrolled: 1-line block ×6, first 2 shown]
	v_add3_u32 v3, v3, v79, v78
	v_mul_f64 v[78:79], s[40:41], v[32:33]
	v_mul_f64 v[88:89], s[38:39], v[72:73]
	;; [unrolled: 1-line block ×4, first 2 shown]
	v_lshlrev_b64 v[2:3], 4, v[2:3]
	v_mul_f64 v[94:95], s[40:41], v[58:59]
	v_mul_f64 v[96:97], s[38:39], v[58:59]
	;; [unrolled: 1-line block ×4, first 2 shown]
	s_lshl_b64 s[2:3], s[26:27], 8
	v_add_co_u32 v104, vcc_lo, s4, v2
	v_add_co_ci_u32_e64 v105, null, s5, v3, vcc_lo
	v_fma_f64 v[2:3], s[38:39], v[48:49], -v[4:5]
	v_fma_f64 v[4:5], s[40:41], v[48:49], v[8:9]
	v_lshlrev_b64 v[8:9], 4, v[0:1]
	v_fma_f64 v[26:27], s[38:39], v[34:35], -v[26:27]
	v_fma_f64 v[28:29], s[40:41], v[34:35], v[28:29]
	v_fma_f64 v[80:81], s[40:41], v[30:31], v[80:81]
	v_fma_f64 v[82:83], s[38:39], v[22:23], -v[82:83]
	v_fma_f64 v[84:85], s[40:41], v[22:23], v[84:85]
	v_add_co_u32 v102, vcc_lo, v104, v8
	v_fma_f64 v[78:79], s[38:39], v[30:31], -v[78:79]
	v_add_co_ci_u32_e64 v103, null, v105, v9, vcc_lo
	v_fma_f64 v[86:87], s[38:39], v[70:71], -v[86:87]
	v_fma_f64 v[88:89], s[40:41], v[70:71], v[88:89]
	v_fma_f64 v[90:91], s[38:39], v[62:63], -v[90:91]
	v_fma_f64 v[92:93], s[40:41], v[62:63], v[92:93]
	;; [unrolled: 2-line block ×3, first 2 shown]
	v_add_co_u32 v106, vcc_lo, v104, s2
	v_add_co_ci_u32_e64 v107, null, s3, v105, vcc_lo
	flat_store_dwordx4 v[102:103], v[2:5]
	v_fma_f64 v[2:3], s[38:39], v[42:43], -v[98:99]
	v_fma_f64 v[4:5], s[40:41], v[42:43], v[100:101]
	v_add_co_u32 v104, vcc_lo, v106, v8
	v_add_co_ci_u32_e64 v105, null, v107, v9, vcc_lo
	flat_store_dwordx4 v[102:103], v[26:29] offset:256
	flat_store_dwordx4 v[102:103], v[78:81] offset:512
	;; [unrolled: 1-line block ×3, first 2 shown]
	flat_store_dwordx4 v[104:105], v[86:89]
	flat_store_dwordx4 v[104:105], v[90:93] offset:256
	flat_store_dwordx4 v[104:105], v[94:97] offset:512
	v_mul_f64 v[26:27], s[40:41], v[68:69]
	v_mul_f64 v[28:29], s[38:39], v[68:69]
	;; [unrolled: 1-line block ×12, first 2 shown]
	flat_store_dwordx4 v[104:105], v[2:5] offset:768
	v_mul_f64 v[2:3], s[40:41], v[76:77]
	v_mul_f64 v[4:5], s[38:39], v[76:77]
	;; [unrolled: 1-line block ×4, first 2 shown]
	v_add_co_u32 v104, vcc_lo, v106, s2
	v_add_co_ci_u32_e64 v105, null, s3, v107, vcc_lo
	v_fma_f64 v[26:27], s[38:39], v[66:67], -v[26:27]
	v_fma_f64 v[28:29], s[40:41], v[66:67], v[28:29]
	v_fma_f64 v[78:79], s[38:39], v[56:57], -v[78:79]
	v_fma_f64 v[80:81], s[40:41], v[56:57], v[80:81]
	;; [unrolled: 2-line block ×6, first 2 shown]
	v_add_co_u32 v106, vcc_lo, v104, s2
	v_fma_f64 v[102:103], s[38:39], v[74:75], -v[2:3]
	v_fma_f64 v[2:3], s[40:41], v[74:75], v[4:5]
	v_fma_f64 v[98:99], s[38:39], v[10:11], -v[98:99]
	v_fma_f64 v[100:101], s[40:41], v[10:11], v[100:101]
	v_add_co_ci_u32_e64 v107, null, s3, v105, vcc_lo
	v_add_co_u32 v4, vcc_lo, v104, v8
	v_add_co_ci_u32_e64 v5, null, v105, v9, vcc_lo
	v_add_co_u32 v8, vcc_lo, v106, v8
	v_add_co_ci_u32_e64 v9, null, v107, v9, vcc_lo
	flat_store_dwordx4 v[4:5], v[26:29]
	flat_store_dwordx4 v[4:5], v[78:81] offset:256
	flat_store_dwordx4 v[4:5], v[82:85] offset:512
	;; [unrolled: 1-line block ×3, first 2 shown]
	flat_store_dwordx4 v[8:9], v[90:93]
	v_add_co_u32 v4, vcc_lo, 0x300, v8
	v_add_co_ci_u32_e64 v5, null, 0, v9, vcc_lo
	flat_store_dwordx4 v[8:9], v[94:97] offset:256
	flat_store_dwordx4 v[8:9], v[98:101] offset:512
	flat_store_dwordx2 v[8:9], v[102:103] offset:768
	s_cbranch_execz .LBB267_7
	s_branch .LBB267_8
.LBB267_6:
                                        ; implicit-def: $vgpr2_vgpr3
                                        ; implicit-def: $vgpr4_vgpr5
.LBB267_7:
	v_mul_lo_u32 v4, v7, s20
	v_mul_lo_u32 v5, v6, s21
	v_mad_u64_u32 v[2:3], null, v6, s20, 0
	s_lshl_b64 s[2:3], s[22:23], 4
	v_mul_f64 v[26:27], s[40:41], v[52:53]
	s_add_u32 s0, s0, s2
	s_addc_u32 s1, s1, s3
	v_mul_f64 v[28:29], s[38:39], v[52:53]
	s_lshl_b64 s[2:3], s[26:27], 8
	v_add3_u32 v3, v3, v5, v4
	v_lshlrev_b64 v[4:5], 4, v[0:1]
	v_lshlrev_b64 v[2:3], 4, v[2:3]
	v_add_co_u32 v78, vcc_lo, s0, v2
	v_add_co_ci_u32_e64 v79, null, s1, v3, vcc_lo
	s_lshl_b64 s[0:1], s[20:21], 8
	v_add_co_u32 v8, vcc_lo, v78, v4
	v_add_co_ci_u32_e64 v9, null, v79, v5, vcc_lo
	v_fma_f64 v[26:27], s[38:39], v[48:49], -v[26:27]
	v_fma_f64 v[28:29], s[40:41], v[48:49], v[28:29]
	flat_load_dwordx4 v[0:3], v[8:9]
	s_waitcnt vmcnt(0) lgkmcnt(0)
	v_mul_f64 v[52:53], s[16:17], v[2:3]
	v_mul_f64 v[2:3], s[14:15], v[2:3]
	v_fma_f64 v[48:49], s[14:15], v[0:1], -v[52:53]
	v_fma_f64 v[2:3], s[16:17], v[0:1], v[2:3]
	v_mul_lo_u32 v0, v7, s26
	v_mul_lo_u32 v1, v6, s27
	v_mad_u64_u32 v[6:7], null, v6, s26, 0
	v_add3_u32 v7, v7, v1, v0
	v_lshlrev_b64 v[6:7], 4, v[6:7]
	v_add_f64 v[0:1], v[26:27], v[48:49]
	v_add_f64 v[2:3], v[28:29], v[2:3]
	v_add_co_u32 v48, vcc_lo, s4, v6
	v_add_co_ci_u32_e64 v49, null, s5, v7, vcc_lo
	v_mul_f64 v[26:27], s[40:41], v[36:37]
	v_add_co_u32 v6, vcc_lo, v48, v4
	v_add_co_ci_u32_e64 v7, null, v49, v5, vcc_lo
	v_mul_f64 v[28:29], s[38:39], v[36:37]
	flat_store_dwordx4 v[6:7], v[0:3]
	flat_load_dwordx4 v[0:3], v[8:9] offset:256
	v_fma_f64 v[26:27], s[38:39], v[34:35], -v[26:27]
	v_fma_f64 v[28:29], s[40:41], v[34:35], v[28:29]
	s_waitcnt vmcnt(0) lgkmcnt(0)
	v_mul_f64 v[36:37], s[16:17], v[2:3]
	v_mul_f64 v[2:3], s[14:15], v[2:3]
	v_fma_f64 v[34:35], s[14:15], v[0:1], -v[36:37]
	v_fma_f64 v[2:3], s[16:17], v[0:1], v[2:3]
	v_add_f64 v[0:1], v[26:27], v[34:35]
	v_add_f64 v[2:3], v[28:29], v[2:3]
	v_mul_f64 v[26:27], s[40:41], v[32:33]
	v_mul_f64 v[28:29], s[38:39], v[32:33]
	flat_store_dwordx4 v[6:7], v[0:3] offset:256
	flat_load_dwordx4 v[0:3], v[8:9] offset:512
	v_fma_f64 v[26:27], s[38:39], v[30:31], -v[26:27]
	v_fma_f64 v[28:29], s[40:41], v[30:31], v[28:29]
	s_waitcnt vmcnt(0) lgkmcnt(0)
	v_mul_f64 v[32:33], s[16:17], v[2:3]
	v_mul_f64 v[2:3], s[14:15], v[2:3]
	v_fma_f64 v[30:31], s[14:15], v[0:1], -v[32:33]
	v_fma_f64 v[2:3], s[16:17], v[0:1], v[2:3]
	v_add_f64 v[0:1], v[26:27], v[30:31]
	v_add_f64 v[2:3], v[28:29], v[2:3]
	v_add_co_u32 v28, vcc_lo, v78, s0
	v_add_co_ci_u32_e64 v29, null, s1, v79, vcc_lo
	flat_store_dwordx4 v[6:7], v[0:3] offset:512
	flat_load_dwordx4 v[0:3], v[8:9] offset:768
	v_mul_f64 v[8:9], s[40:41], v[24:25]
	v_mul_f64 v[24:25], s[38:39], v[24:25]
	v_fma_f64 v[8:9], s[38:39], v[22:23], -v[8:9]
	v_fma_f64 v[22:23], s[40:41], v[22:23], v[24:25]
	s_waitcnt vmcnt(0) lgkmcnt(0)
	v_mul_f64 v[26:27], s[16:17], v[2:3]
	v_mul_f64 v[2:3], s[14:15], v[2:3]
	v_fma_f64 v[24:25], s[14:15], v[0:1], -v[26:27]
	v_fma_f64 v[2:3], s[16:17], v[0:1], v[2:3]
	v_add_f64 v[0:1], v[8:9], v[24:25]
	v_add_f64 v[2:3], v[22:23], v[2:3]
	v_add_co_u32 v8, vcc_lo, v28, v4
	v_add_co_ci_u32_e64 v9, null, v29, v5, vcc_lo
	v_mul_f64 v[22:23], s[38:39], v[72:73]
	v_add_co_u32 v30, vcc_lo, v48, s2
	v_add_co_ci_u32_e64 v31, null, s3, v49, vcc_lo
	flat_store_dwordx4 v[6:7], v[0:3] offset:768
	flat_load_dwordx4 v[0:3], v[8:9]
	v_mul_f64 v[6:7], s[40:41], v[72:73]
	v_fma_f64 v[22:23], s[40:41], v[70:71], v[22:23]
	v_fma_f64 v[6:7], s[38:39], v[70:71], -v[6:7]
	s_waitcnt vmcnt(0) lgkmcnt(0)
	v_mul_f64 v[24:25], s[16:17], v[2:3]
	v_mul_f64 v[2:3], s[14:15], v[2:3]
	v_fma_f64 v[24:25], s[14:15], v[0:1], -v[24:25]
	v_fma_f64 v[2:3], s[16:17], v[0:1], v[2:3]
	v_add_f64 v[0:1], v[6:7], v[24:25]
	v_add_f64 v[2:3], v[22:23], v[2:3]
	v_add_co_u32 v6, vcc_lo, v30, v4
	v_add_co_ci_u32_e64 v7, null, v31, v5, vcc_lo
	v_mul_f64 v[22:23], s[40:41], v[64:65]
	v_mul_f64 v[24:25], s[38:39], v[64:65]
	v_add_co_u32 v28, vcc_lo, v28, s0
	v_add_co_ci_u32_e64 v29, null, s1, v29, vcc_lo
	flat_store_dwordx4 v[6:7], v[0:3]
	flat_load_dwordx4 v[0:3], v[8:9] offset:256
	v_fma_f64 v[22:23], s[38:39], v[62:63], -v[22:23]
	v_fma_f64 v[24:25], s[40:41], v[62:63], v[24:25]
	s_waitcnt vmcnt(0) lgkmcnt(0)
	v_mul_f64 v[26:27], s[16:17], v[2:3]
	v_mul_f64 v[2:3], s[14:15], v[2:3]
	v_fma_f64 v[26:27], s[14:15], v[0:1], -v[26:27]
	v_fma_f64 v[2:3], s[16:17], v[0:1], v[2:3]
	v_add_f64 v[0:1], v[22:23], v[26:27]
	v_add_f64 v[2:3], v[24:25], v[2:3]
	v_mul_f64 v[22:23], s[40:41], v[58:59]
	v_mul_f64 v[24:25], s[38:39], v[58:59]
	flat_store_dwordx4 v[6:7], v[0:3] offset:256
	flat_load_dwordx4 v[0:3], v[8:9] offset:512
	v_fma_f64 v[22:23], s[38:39], v[54:55], -v[22:23]
	v_fma_f64 v[24:25], s[40:41], v[54:55], v[24:25]
	s_waitcnt vmcnt(0) lgkmcnt(0)
	v_mul_f64 v[26:27], s[16:17], v[2:3]
	v_mul_f64 v[2:3], s[14:15], v[2:3]
	v_fma_f64 v[26:27], s[14:15], v[0:1], -v[26:27]
	v_fma_f64 v[2:3], s[16:17], v[0:1], v[2:3]
	v_add_f64 v[0:1], v[22:23], v[26:27]
	v_add_f64 v[2:3], v[24:25], v[2:3]
	v_mul_f64 v[22:23], s[38:39], v[46:47]
	flat_store_dwordx4 v[6:7], v[0:3] offset:512
	flat_load_dwordx4 v[0:3], v[8:9] offset:768
	v_mul_f64 v[8:9], s[40:41], v[46:47]
	v_fma_f64 v[22:23], s[40:41], v[42:43], v[22:23]
	v_fma_f64 v[8:9], s[38:39], v[42:43], -v[8:9]
	s_waitcnt vmcnt(0) lgkmcnt(0)
	v_mul_f64 v[24:25], s[16:17], v[2:3]
	v_mul_f64 v[2:3], s[14:15], v[2:3]
	v_fma_f64 v[24:25], s[14:15], v[0:1], -v[24:25]
	v_fma_f64 v[2:3], s[16:17], v[0:1], v[2:3]
	v_add_f64 v[0:1], v[8:9], v[24:25]
	v_add_f64 v[2:3], v[22:23], v[2:3]
	v_add_co_u32 v8, vcc_lo, v28, v4
	v_add_co_ci_u32_e64 v9, null, v29, v5, vcc_lo
	v_mul_f64 v[22:23], s[38:39], v[68:69]
	v_add_co_u32 v30, vcc_lo, v30, s2
	v_add_co_ci_u32_e64 v31, null, s3, v31, vcc_lo
	flat_store_dwordx4 v[6:7], v[0:3] offset:768
	flat_load_dwordx4 v[0:3], v[8:9]
	v_mul_f64 v[6:7], s[40:41], v[68:69]
	v_fma_f64 v[22:23], s[40:41], v[66:67], v[22:23]
	v_fma_f64 v[6:7], s[38:39], v[66:67], -v[6:7]
	s_waitcnt vmcnt(0) lgkmcnt(0)
	v_mul_f64 v[24:25], s[16:17], v[2:3]
	v_mul_f64 v[2:3], s[14:15], v[2:3]
	v_fma_f64 v[24:25], s[14:15], v[0:1], -v[24:25]
	v_fma_f64 v[2:3], s[16:17], v[0:1], v[2:3]
	v_add_f64 v[0:1], v[6:7], v[24:25]
	v_add_f64 v[2:3], v[22:23], v[2:3]
	v_add_co_u32 v6, vcc_lo, v30, v4
	v_add_co_ci_u32_e64 v7, null, v31, v5, vcc_lo
	v_mul_f64 v[22:23], s[40:41], v[60:61]
	v_mul_f64 v[24:25], s[38:39], v[60:61]
	flat_store_dwordx4 v[6:7], v[0:3]
	flat_load_dwordx4 v[0:3], v[8:9] offset:256
	v_fma_f64 v[22:23], s[38:39], v[56:57], -v[22:23]
	v_fma_f64 v[24:25], s[40:41], v[56:57], v[24:25]
	s_waitcnt vmcnt(0) lgkmcnt(0)
	v_mul_f64 v[26:27], s[16:17], v[2:3]
	v_mul_f64 v[2:3], s[14:15], v[2:3]
	v_fma_f64 v[26:27], s[14:15], v[0:1], -v[26:27]
	v_fma_f64 v[2:3], s[16:17], v[0:1], v[2:3]
	v_add_f64 v[0:1], v[22:23], v[26:27]
	v_add_f64 v[2:3], v[24:25], v[2:3]
	v_mul_f64 v[22:23], s[40:41], v[50:51]
	v_mul_f64 v[24:25], s[38:39], v[50:51]
	flat_store_dwordx4 v[6:7], v[0:3] offset:256
	flat_load_dwordx4 v[0:3], v[8:9] offset:512
	v_fma_f64 v[22:23], s[38:39], v[44:45], -v[22:23]
	v_fma_f64 v[24:25], s[40:41], v[44:45], v[24:25]
	s_waitcnt vmcnt(0) lgkmcnt(0)
	v_mul_f64 v[26:27], s[16:17], v[2:3]
	v_mul_f64 v[2:3], s[14:15], v[2:3]
	v_fma_f64 v[26:27], s[14:15], v[0:1], -v[26:27]
	v_fma_f64 v[2:3], s[16:17], v[0:1], v[2:3]
	v_add_f64 v[0:1], v[22:23], v[26:27]
	v_add_f64 v[2:3], v[24:25], v[2:3]
	v_mul_f64 v[22:23], s[38:39], v[40:41]
	flat_store_dwordx4 v[6:7], v[0:3] offset:512
	flat_load_dwordx4 v[0:3], v[8:9] offset:768
	v_mul_f64 v[8:9], s[40:41], v[40:41]
	v_fma_f64 v[22:23], s[40:41], v[38:39], v[22:23]
	v_fma_f64 v[8:9], s[38:39], v[38:39], -v[8:9]
	s_waitcnt vmcnt(0) lgkmcnt(0)
	v_mul_f64 v[24:25], s[16:17], v[2:3]
	v_mul_f64 v[2:3], s[14:15], v[2:3]
	v_fma_f64 v[24:25], s[14:15], v[0:1], -v[24:25]
	v_fma_f64 v[2:3], s[16:17], v[0:1], v[2:3]
	v_add_f64 v[0:1], v[8:9], v[24:25]
	v_add_f64 v[2:3], v[22:23], v[2:3]
	v_add_co_u32 v8, vcc_lo, v28, s0
	v_add_co_ci_u32_e64 v9, null, s1, v29, vcc_lo
	v_add_co_u32 v8, vcc_lo, v8, v4
	v_add_co_ci_u32_e64 v9, null, v9, v5, vcc_lo
	flat_store_dwordx4 v[6:7], v[0:3] offset:768
	flat_load_dwordx4 v[0:3], v[8:9]
	v_mul_f64 v[6:7], s[40:41], v[20:21]
	v_mul_f64 v[20:21], s[38:39], v[20:21]
	v_fma_f64 v[6:7], s[38:39], v[18:19], -v[6:7]
	v_fma_f64 v[18:19], s[40:41], v[18:19], v[20:21]
	s_waitcnt vmcnt(0) lgkmcnt(0)
	v_mul_f64 v[22:23], s[16:17], v[2:3]
	v_mul_f64 v[2:3], s[14:15], v[2:3]
	v_fma_f64 v[20:21], s[14:15], v[0:1], -v[22:23]
	v_fma_f64 v[2:3], s[16:17], v[0:1], v[2:3]
	v_add_f64 v[0:1], v[6:7], v[20:21]
	v_add_f64 v[2:3], v[18:19], v[2:3]
	v_add_co_u32 v6, vcc_lo, v30, s2
	v_add_co_ci_u32_e64 v7, null, s3, v31, vcc_lo
	v_add_co_u32 v6, vcc_lo, v6, v4
	v_add_co_ci_u32_e64 v7, null, v7, v5, vcc_lo
	v_mul_f64 v[4:5], s[40:41], v[16:17]
	v_mul_f64 v[16:17], s[38:39], v[16:17]
	flat_store_dwordx4 v[6:7], v[0:3]
	flat_load_dwordx4 v[0:3], v[8:9] offset:256
	v_fma_f64 v[4:5], s[38:39], v[14:15], -v[4:5]
	v_fma_f64 v[14:15], s[40:41], v[14:15], v[16:17]
	s_waitcnt vmcnt(0) lgkmcnt(0)
	v_mul_f64 v[18:19], s[16:17], v[2:3]
	v_mul_f64 v[2:3], s[14:15], v[2:3]
	v_fma_f64 v[16:17], s[14:15], v[0:1], -v[18:19]
	v_fma_f64 v[2:3], s[16:17], v[0:1], v[2:3]
	v_add_f64 v[0:1], v[4:5], v[16:17]
	v_add_f64 v[2:3], v[14:15], v[2:3]
	v_mul_f64 v[4:5], s[40:41], v[12:13]
	v_mul_f64 v[12:13], s[38:39], v[12:13]
	flat_store_dwordx4 v[6:7], v[0:3] offset:256
	flat_load_dwordx4 v[0:3], v[8:9] offset:512
	v_fma_f64 v[4:5], s[38:39], v[10:11], -v[4:5]
	v_fma_f64 v[10:11], s[40:41], v[10:11], v[12:13]
	s_waitcnt vmcnt(0) lgkmcnt(0)
	v_mul_f64 v[14:15], s[16:17], v[2:3]
	v_mul_f64 v[2:3], s[14:15], v[2:3]
	v_fma_f64 v[12:13], s[14:15], v[0:1], -v[14:15]
	v_fma_f64 v[2:3], s[16:17], v[0:1], v[2:3]
	v_add_f64 v[0:1], v[4:5], v[12:13]
	v_add_f64 v[2:3], v[10:11], v[2:3]
	v_mul_f64 v[4:5], s[40:41], v[76:77]
	flat_store_dwordx4 v[6:7], v[0:3] offset:512
	flat_load_dwordx4 v[0:3], v[8:9] offset:768
	v_mul_f64 v[8:9], s[38:39], v[76:77]
	v_fma_f64 v[4:5], s[38:39], v[74:75], -v[4:5]
	v_fma_f64 v[8:9], s[40:41], v[74:75], v[8:9]
	s_waitcnt vmcnt(0) lgkmcnt(0)
	v_mul_f64 v[10:11], s[16:17], v[2:3]
	v_mul_f64 v[2:3], s[14:15], v[2:3]
	v_fma_f64 v[10:11], s[14:15], v[0:1], -v[10:11]
	v_fma_f64 v[0:1], s[16:17], v[0:1], v[2:3]
	v_add_f64 v[10:11], v[4:5], v[10:11]
	v_add_f64 v[2:3], v[8:9], v[0:1]
	v_add_co_u32 v4, vcc_lo, 0x300, v6
	v_add_co_ci_u32_e64 v5, null, 0, v7, vcc_lo
	flat_store_dwordx2 v[6:7], v[10:11] offset:768
.LBB267_8:
	flat_store_dwordx2 v[4:5], v[2:3] offset:8
	s_endpgm
	.section	.rodata,"a",@progbits
	.p2align	6, 0x0
	.amdhsa_kernel _ZN12_GLOBAL__N_127rocblas_gemm_batched_kernelI19rocblas_complex_numIdELi16ELi16ELi64ELi64ELi4ELi64ELi4ELi4ELi64ELc67ELc67EKPKS2_S5_KPS2_EEvlllT_PT11_llSA_llS8_PT12_llPT13_lli
		.amdhsa_group_segment_fixed_size 8192
		.amdhsa_private_segment_fixed_size 0
		.amdhsa_kernarg_size 156
		.amdhsa_user_sgpr_count 6
		.amdhsa_user_sgpr_private_segment_buffer 1
		.amdhsa_user_sgpr_dispatch_ptr 0
		.amdhsa_user_sgpr_queue_ptr 0
		.amdhsa_user_sgpr_kernarg_segment_ptr 1
		.amdhsa_user_sgpr_dispatch_id 0
		.amdhsa_user_sgpr_flat_scratch_init 0
		.amdhsa_user_sgpr_private_segment_size 0
		.amdhsa_wavefront_size32 1
		.amdhsa_uses_dynamic_stack 0
		.amdhsa_system_sgpr_private_segment_wavefront_offset 0
		.amdhsa_system_sgpr_workgroup_id_x 1
		.amdhsa_system_sgpr_workgroup_id_y 1
		.amdhsa_system_sgpr_workgroup_id_z 1
		.amdhsa_system_sgpr_workgroup_info 0
		.amdhsa_system_vgpr_workitem_id 1
		.amdhsa_next_free_vgpr 138
		.amdhsa_next_free_sgpr 52
		.amdhsa_reserve_vcc 1
		.amdhsa_reserve_flat_scratch 0
		.amdhsa_float_round_mode_32 0
		.amdhsa_float_round_mode_16_64 0
		.amdhsa_float_denorm_mode_32 3
		.amdhsa_float_denorm_mode_16_64 3
		.amdhsa_dx10_clamp 1
		.amdhsa_ieee_mode 1
		.amdhsa_fp16_overflow 0
		.amdhsa_workgroup_processor_mode 1
		.amdhsa_memory_ordered 1
		.amdhsa_forward_progress 1
		.amdhsa_shared_vgpr_count 0
		.amdhsa_exception_fp_ieee_invalid_op 0
		.amdhsa_exception_fp_denorm_src 0
		.amdhsa_exception_fp_ieee_div_zero 0
		.amdhsa_exception_fp_ieee_overflow 0
		.amdhsa_exception_fp_ieee_underflow 0
		.amdhsa_exception_fp_ieee_inexact 0
		.amdhsa_exception_int_div_zero 0
	.end_amdhsa_kernel
	.section	.text._ZN12_GLOBAL__N_127rocblas_gemm_batched_kernelI19rocblas_complex_numIdELi16ELi16ELi64ELi64ELi4ELi64ELi4ELi4ELi64ELc67ELc67EKPKS2_S5_KPS2_EEvlllT_PT11_llSA_llS8_PT12_llPT13_lli,"axG",@progbits,_ZN12_GLOBAL__N_127rocblas_gemm_batched_kernelI19rocblas_complex_numIdELi16ELi16ELi64ELi64ELi4ELi64ELi4ELi4ELi64ELc67ELc67EKPKS2_S5_KPS2_EEvlllT_PT11_llSA_llS8_PT12_llPT13_lli,comdat
.Lfunc_end267:
	.size	_ZN12_GLOBAL__N_127rocblas_gemm_batched_kernelI19rocblas_complex_numIdELi16ELi16ELi64ELi64ELi4ELi64ELi4ELi4ELi64ELc67ELc67EKPKS2_S5_KPS2_EEvlllT_PT11_llSA_llS8_PT12_llPT13_lli, .Lfunc_end267-_ZN12_GLOBAL__N_127rocblas_gemm_batched_kernelI19rocblas_complex_numIdELi16ELi16ELi64ELi64ELi4ELi64ELi4ELi4ELi64ELc67ELc67EKPKS2_S5_KPS2_EEvlllT_PT11_llSA_llS8_PT12_llPT13_lli
                                        ; -- End function
	.set _ZN12_GLOBAL__N_127rocblas_gemm_batched_kernelI19rocblas_complex_numIdELi16ELi16ELi64ELi64ELi4ELi64ELi4ELi4ELi64ELc67ELc67EKPKS2_S5_KPS2_EEvlllT_PT11_llSA_llS8_PT12_llPT13_lli.num_vgpr, 138
	.set _ZN12_GLOBAL__N_127rocblas_gemm_batched_kernelI19rocblas_complex_numIdELi16ELi16ELi64ELi64ELi4ELi64ELi4ELi4ELi64ELc67ELc67EKPKS2_S5_KPS2_EEvlllT_PT11_llSA_llS8_PT12_llPT13_lli.num_agpr, 0
	.set _ZN12_GLOBAL__N_127rocblas_gemm_batched_kernelI19rocblas_complex_numIdELi16ELi16ELi64ELi64ELi4ELi64ELi4ELi4ELi64ELc67ELc67EKPKS2_S5_KPS2_EEvlllT_PT11_llSA_llS8_PT12_llPT13_lli.numbered_sgpr, 52
	.set _ZN12_GLOBAL__N_127rocblas_gemm_batched_kernelI19rocblas_complex_numIdELi16ELi16ELi64ELi64ELi4ELi64ELi4ELi4ELi64ELc67ELc67EKPKS2_S5_KPS2_EEvlllT_PT11_llSA_llS8_PT12_llPT13_lli.num_named_barrier, 0
	.set _ZN12_GLOBAL__N_127rocblas_gemm_batched_kernelI19rocblas_complex_numIdELi16ELi16ELi64ELi64ELi4ELi64ELi4ELi4ELi64ELc67ELc67EKPKS2_S5_KPS2_EEvlllT_PT11_llSA_llS8_PT12_llPT13_lli.private_seg_size, 0
	.set _ZN12_GLOBAL__N_127rocblas_gemm_batched_kernelI19rocblas_complex_numIdELi16ELi16ELi64ELi64ELi4ELi64ELi4ELi4ELi64ELc67ELc67EKPKS2_S5_KPS2_EEvlllT_PT11_llSA_llS8_PT12_llPT13_lli.uses_vcc, 1
	.set _ZN12_GLOBAL__N_127rocblas_gemm_batched_kernelI19rocblas_complex_numIdELi16ELi16ELi64ELi64ELi4ELi64ELi4ELi4ELi64ELc67ELc67EKPKS2_S5_KPS2_EEvlllT_PT11_llSA_llS8_PT12_llPT13_lli.uses_flat_scratch, 0
	.set _ZN12_GLOBAL__N_127rocblas_gemm_batched_kernelI19rocblas_complex_numIdELi16ELi16ELi64ELi64ELi4ELi64ELi4ELi4ELi64ELc67ELc67EKPKS2_S5_KPS2_EEvlllT_PT11_llSA_llS8_PT12_llPT13_lli.has_dyn_sized_stack, 0
	.set _ZN12_GLOBAL__N_127rocblas_gemm_batched_kernelI19rocblas_complex_numIdELi16ELi16ELi64ELi64ELi4ELi64ELi4ELi4ELi64ELc67ELc67EKPKS2_S5_KPS2_EEvlllT_PT11_llSA_llS8_PT12_llPT13_lli.has_recursion, 0
	.set _ZN12_GLOBAL__N_127rocblas_gemm_batched_kernelI19rocblas_complex_numIdELi16ELi16ELi64ELi64ELi4ELi64ELi4ELi4ELi64ELc67ELc67EKPKS2_S5_KPS2_EEvlllT_PT11_llSA_llS8_PT12_llPT13_lli.has_indirect_call, 0
	.section	.AMDGPU.csdata,"",@progbits
; Kernel info:
; codeLenInByte = 7412
; TotalNumSgprs: 54
; NumVgprs: 138
; ScratchSize: 0
; MemoryBound: 0
; FloatMode: 240
; IeeeMode: 1
; LDSByteSize: 8192 bytes/workgroup (compile time only)
; SGPRBlocks: 0
; VGPRBlocks: 17
; NumSGPRsForWavesPerEU: 54
; NumVGPRsForWavesPerEU: 138
; Occupancy: 7
; WaveLimiterHint : 1
; COMPUTE_PGM_RSRC2:SCRATCH_EN: 0
; COMPUTE_PGM_RSRC2:USER_SGPR: 6
; COMPUTE_PGM_RSRC2:TRAP_HANDLER: 0
; COMPUTE_PGM_RSRC2:TGID_X_EN: 1
; COMPUTE_PGM_RSRC2:TGID_Y_EN: 1
; COMPUTE_PGM_RSRC2:TGID_Z_EN: 1
; COMPUTE_PGM_RSRC2:TIDIG_COMP_CNT: 1
	.section	.text._ZN12_GLOBAL__N_127rocblas_gemm_batched_kernelI19rocblas_complex_numIdELi16ELi16ELi64ELi64ELi4ELi64ELi4ELi4ELi64ELc67ELc78EKPKS2_S5_KPS2_EEvlllT_PT11_llSA_llS8_PT12_llPT13_lli,"axG",@progbits,_ZN12_GLOBAL__N_127rocblas_gemm_batched_kernelI19rocblas_complex_numIdELi16ELi16ELi64ELi64ELi4ELi64ELi4ELi4ELi64ELc67ELc78EKPKS2_S5_KPS2_EEvlllT_PT11_llSA_llS8_PT12_llPT13_lli,comdat
	.globl	_ZN12_GLOBAL__N_127rocblas_gemm_batched_kernelI19rocblas_complex_numIdELi16ELi16ELi64ELi64ELi4ELi64ELi4ELi4ELi64ELc67ELc78EKPKS2_S5_KPS2_EEvlllT_PT11_llSA_llS8_PT12_llPT13_lli ; -- Begin function _ZN12_GLOBAL__N_127rocblas_gemm_batched_kernelI19rocblas_complex_numIdELi16ELi16ELi64ELi64ELi4ELi64ELi4ELi4ELi64ELc67ELc78EKPKS2_S5_KPS2_EEvlllT_PT11_llSA_llS8_PT12_llPT13_lli
	.p2align	8
	.type	_ZN12_GLOBAL__N_127rocblas_gemm_batched_kernelI19rocblas_complex_numIdELi16ELi16ELi64ELi64ELi4ELi64ELi4ELi4ELi64ELc67ELc78EKPKS2_S5_KPS2_EEvlllT_PT11_llSA_llS8_PT12_llPT13_lli,@function
_ZN12_GLOBAL__N_127rocblas_gemm_batched_kernelI19rocblas_complex_numIdELi16ELi16ELi64ELi64ELi4ELi64ELi4ELi4ELi64ELc67ELc78EKPKS2_S5_KPS2_EEvlllT_PT11_llSA_llS8_PT12_llPT13_lli: ; @_ZN12_GLOBAL__N_127rocblas_gemm_batched_kernelI19rocblas_complex_numIdELi16ELi16ELi64ELi64ELi4ELi64ELi4ELi4ELi64ELc67ELc78EKPKS2_S5_KPS2_EEvlllT_PT11_llSA_llS8_PT12_llPT13_lli
; %bb.0:
	s_clause 0x1
	s_load_dwordx16 s[12:27], s[4:5], 0x50
	s_load_dwordx16 s[36:51], s[4:5], 0x10
	s_mov_b32 s9, 0
	s_mov_b32 s28, s7
	s_lshl_b64 s[10:11], s[8:9], 3
	s_waitcnt lgkmcnt(0)
	s_add_u32 s0, s18, s10
	s_addc_u32 s1, s19, s11
	s_add_u32 s2, s24, s10
	s_addc_u32 s3, s25, s11
	s_load_dwordx2 s[0:1], s[0:1], 0x0
	s_load_dwordx2 s[2:3], s[2:3], 0x0
	v_cmp_lt_i64_e64 s8, s[36:37], 1
	s_ashr_i32 s7, s6, 31
	s_ashr_i32 s29, s28, 31
	s_lshl_b64 s[6:7], s[6:7], 6
	s_and_b32 vcc_lo, exec_lo, s8
	s_lshl_b64 s[8:9], s[28:29], 6
	s_cbranch_vccnz .LBB268_3
; %bb.1:
	v_lshl_add_u32 v4, v1, 4, v0
	v_and_b32_e32 v2, 3, v0
	s_add_u32 s18, s42, s10
	s_addc_u32 s19, s43, s11
	s_add_u32 s10, s48, s10
	v_and_b32_e32 v5, 63, v4
	v_lshrrev_b32_e32 v7, 2, v4
	v_lshlrev_b32_e32 v8, 4, v2
	v_lshrrev_b32_e32 v12, 6, v4
	s_load_dwordx2 s[18:19], s[18:19], 0x0
	v_add_co_u32 v3, s24, s6, v5
	v_add_co_ci_u32_e64 v6, null, s7, 0, s24
	v_add_co_u32 v10, s24, v7, s8
	v_mul_lo_u32 v9, s45, v3
	v_mul_lo_u32 v6, s44, v6
	v_mad_u64_u32 v[2:3], null, s44, v3, 0
	v_add_co_ci_u32_e64 v11, null, 0, s9, s24
	v_lshlrev_b32_e32 v13, 4, v5
	v_mad_u64_u32 v[4:5], null, s50, v10, 0
	s_addc_u32 s11, s49, s11
	v_add3_u32 v3, v3, v6, v9
	v_mul_lo_u32 v6, s51, v10
	v_mul_lo_u32 v9, s50, v11
	v_lshl_or_b32 v7, v7, 6, v8
	s_load_dwordx2 s[10:11], s[10:11], 0x0
	v_lshlrev_b64 v[2:3], 4, v[2:3]
	s_lshl_b64 s[24:25], s[46:47], 4
	s_lshl_b64 s[12:13], s[12:13], 4
	v_add_nc_u32_e32 v91, 0x1000, v7
	v_lshlrev_b32_e32 v7, 4, v12
	v_add3_u32 v5, v5, v9, v6
	v_add_co_u32 v6, vcc_lo, v2, s24
	v_add_co_ci_u32_e64 v9, null, s25, v3, vcc_lo
	v_lshlrev_b64 v[2:3], 4, v[4:5]
	v_add_co_u32 v4, vcc_lo, v6, v7
	v_add_co_ci_u32_e64 v5, null, 0, v9, vcc_lo
	v_lshl_or_b32 v90, v12, 10, v13
	v_add_co_u32 v2, vcc_lo, v2, s12
	v_add_co_ci_u32_e64 v3, null, s13, v3, vcc_lo
	s_waitcnt lgkmcnt(0)
	v_add_co_u32 v26, vcc_lo, s18, v4
	v_add_co_ci_u32_e64 v27, null, s19, v5, vcc_lo
	v_add_co_u32 v2, vcc_lo, v2, v8
	v_add_co_ci_u32_e64 v3, null, 0, v3, vcc_lo
	v_mov_b32_e32 v76, 0
	v_add_co_u32 v28, vcc_lo, s10, v2
	v_mov_b32_e32 v74, 0
	v_mov_b32_e32 v12, 0
	v_mov_b32_e32 v10, 0
	v_mov_b32_e32 v16, 0
	v_mov_b32_e32 v14, 0
	v_mov_b32_e32 v20, 0
	v_mov_b32_e32 v18, 0
	v_mov_b32_e32 v40, 0
	v_mov_b32_e32 v38, 0
	v_mov_b32_e32 v50, 0
	v_mov_b32_e32 v44, 0
	v_mov_b32_e32 v60, 0
	v_mov_b32_e32 v56, 0
	v_mov_b32_e32 v68, 0
	v_mov_b32_e32 v66, 0
	v_mov_b32_e32 v46, 0
	v_mov_b32_e32 v42, 0
	v_mov_b32_e32 v58, 0
	v_mov_b32_e32 v54, 0
	v_mov_b32_e32 v64, 0
	v_mov_b32_e32 v62, 0
	v_mov_b32_e32 v72, 0
	v_mov_b32_e32 v70, 0
	v_mov_b32_e32 v24, 0
	v_mov_b32_e32 v22, 0
	v_mov_b32_e32 v32, 0
	v_mov_b32_e32 v30, 0
	v_mov_b32_e32 v36, 0
	v_mov_b32_e32 v34, 0
	v_mov_b32_e32 v52, 0
	v_mov_b32_e32 v48, 0
	v_lshlrev_b32_e32 v92, 4, v0
	v_lshl_add_u32 v93, v1, 6, 0x1000
	v_mov_b32_e32 v77, 0
	v_mov_b32_e32 v75, 0
	;; [unrolled: 1-line block ×32, first 2 shown]
	v_add_co_ci_u32_e64 v29, null, s11, v3, vcc_lo
	s_mov_b64 s[10:11], 0
.LBB268_2:                              ; =>This Inner Loop Header: Depth=1
	flat_load_dwordx4 v[2:5], v[26:27]
	s_add_u32 s10, s10, 4
	s_addc_u32 s11, s11, 0
	v_add_co_u32 v26, vcc_lo, v26, 64
	v_cmp_lt_i64_e64 s12, s[10:11], s[36:37]
	v_add_co_ci_u32_e64 v27, null, 0, v27, vcc_lo
	s_waitcnt vmcnt(0) lgkmcnt(0)
	v_xor_b32_e32 v5, 0x80000000, v5
	ds_write_b128 v90, v[2:5]
	flat_load_dwordx4 v[2:5], v[28:29]
	v_add_co_u32 v28, vcc_lo, v28, 64
	v_add_co_ci_u32_e64 v29, null, 0, v29, vcc_lo
	s_and_b32 vcc_lo, exec_lo, s12
	s_waitcnt vmcnt(0) lgkmcnt(0)
	ds_write2_b64 v91, v[2:3], v[4:5] offset1:1
	s_waitcnt lgkmcnt(0)
	s_barrier
	buffer_gl0_inv
	ds_read_b128 v[78:81], v93
	ds_read_b128 v[82:85], v93 offset:16
	ds_read_b128 v[6:9], v93 offset:32
	ds_read_b128 v[2:5], v93 offset:48
	ds_read_b128 v[86:89], v92
	s_waitcnt lgkmcnt(0)
	v_mul_f64 v[94:95], v[80:81], v[88:89]
	v_mul_f64 v[96:97], v[78:79], v[88:89]
	v_fma_f64 v[94:95], v[78:79], v[86:87], -v[94:95]
	v_fma_f64 v[96:97], v[80:81], v[86:87], v[96:97]
	v_add_f64 v[98:99], v[48:49], v[94:95]
	v_add_f64 v[100:101], v[96:97], v[52:53]
	ds_read_b128 v[94:97], v92 offset:256
	s_waitcnt lgkmcnt(0)
	v_mul_f64 v[48:49], v[80:81], v[96:97]
	v_mul_f64 v[52:53], v[78:79], v[96:97]
	v_fma_f64 v[48:49], v[78:79], v[94:95], -v[48:49]
	v_fma_f64 v[52:53], v[80:81], v[94:95], v[52:53]
	v_add_f64 v[102:103], v[34:35], v[48:49]
	v_add_f64 v[104:105], v[52:53], v[36:37]
	ds_read_b128 v[34:37], v92 offset:512
	;; [unrolled: 8-line block ×4, first 2 shown]
	s_waitcnt lgkmcnt(0)
	v_mul_f64 v[48:49], v[24:25], v[88:89]
	v_mul_f64 v[52:53], v[22:23], v[88:89]
	v_fma_f64 v[48:49], v[22:23], v[86:87], -v[48:49]
	v_fma_f64 v[52:53], v[24:25], v[86:87], v[52:53]
	v_add_f64 v[70:71], v[70:71], v[48:49]
	v_mul_f64 v[48:49], v[24:25], v[96:97]
	v_add_f64 v[72:73], v[52:53], v[72:73]
	v_mul_f64 v[52:53], v[22:23], v[96:97]
	v_fma_f64 v[48:49], v[22:23], v[94:95], -v[48:49]
	v_fma_f64 v[52:53], v[24:25], v[94:95], v[52:53]
	v_add_f64 v[110:111], v[62:63], v[48:49]
	v_mul_f64 v[48:49], v[24:25], v[36:37]
	v_add_f64 v[112:113], v[52:53], v[64:65]
	;; [unrolled: 6-line block ×3, first 2 shown]
	v_fma_f64 v[48:49], v[22:23], v[30:31], -v[48:49]
	v_mul_f64 v[22:23], v[22:23], v[32:33]
	v_add_f64 v[118:119], v[42:43], v[48:49]
	v_fma_f64 v[22:23], v[24:25], v[30:31], v[22:23]
	v_add_f64 v[120:121], v[22:23], v[46:47]
	ds_read_b128 v[22:25], v93 offset:2048
	s_waitcnt lgkmcnt(0)
	v_mul_f64 v[42:43], v[24:25], v[88:89]
	v_mul_f64 v[46:47], v[22:23], v[88:89]
	v_fma_f64 v[42:43], v[22:23], v[86:87], -v[42:43]
	v_fma_f64 v[46:47], v[24:25], v[86:87], v[46:47]
	v_add_f64 v[122:123], v[66:67], v[42:43]
	v_mul_f64 v[42:43], v[24:25], v[96:97]
	v_add_f64 v[124:125], v[46:47], v[68:69]
	v_mul_f64 v[46:47], v[22:23], v[96:97]
	v_fma_f64 v[42:43], v[22:23], v[94:95], -v[42:43]
	v_fma_f64 v[46:47], v[24:25], v[94:95], v[46:47]
	v_add_f64 v[126:127], v[56:57], v[42:43]
	v_mul_f64 v[42:43], v[24:25], v[36:37]
	v_add_f64 v[128:129], v[46:47], v[60:61]
	;; [unrolled: 6-line block ×3, first 2 shown]
	v_fma_f64 v[42:43], v[22:23], v[30:31], -v[42:43]
	v_mul_f64 v[22:23], v[22:23], v[32:33]
	v_add_f64 v[134:135], v[38:39], v[42:43]
	v_fma_f64 v[22:23], v[24:25], v[30:31], v[22:23]
	v_add_f64 v[136:137], v[22:23], v[40:41]
	ds_read_b128 v[22:25], v93 offset:3072
	s_waitcnt lgkmcnt(0)
	v_mul_f64 v[38:39], v[24:25], v[88:89]
	v_mul_f64 v[40:41], v[22:23], v[88:89]
	v_fma_f64 v[38:39], v[22:23], v[86:87], -v[38:39]
	v_fma_f64 v[40:41], v[24:25], v[86:87], v[40:41]
	v_add_f64 v[58:59], v[18:19], v[38:39]
	v_add_f64 v[60:61], v[40:41], v[20:21]
	v_mul_f64 v[18:19], v[24:25], v[96:97]
	v_mul_f64 v[20:21], v[22:23], v[96:97]
	v_fma_f64 v[18:19], v[22:23], v[94:95], -v[18:19]
	v_fma_f64 v[20:21], v[24:25], v[94:95], v[20:21]
	v_add_f64 v[54:55], v[14:15], v[18:19]
	v_add_f64 v[56:57], v[20:21], v[16:17]
	v_mul_f64 v[14:15], v[24:25], v[36:37]
	v_mul_f64 v[16:17], v[22:23], v[36:37]
	ds_read_b128 v[18:21], v92 offset:1280
	v_fma_f64 v[14:15], v[22:23], v[34:35], -v[14:15]
	v_fma_f64 v[16:17], v[24:25], v[34:35], v[16:17]
	v_add_f64 v[50:51], v[10:11], v[14:15]
	v_add_f64 v[52:53], v[16:17], v[12:13]
	v_mul_f64 v[10:11], v[24:25], v[32:33]
	v_mul_f64 v[12:13], v[22:23], v[32:33]
	ds_read_b128 v[14:17], v92 offset:1536
	v_fma_f64 v[10:11], v[22:23], v[30:31], -v[10:11]
	v_fma_f64 v[12:13], v[24:25], v[30:31], v[12:13]
	ds_read_b128 v[22:25], v92 offset:1024
	v_add_f64 v[46:47], v[74:75], v[10:11]
	v_add_f64 v[48:49], v[12:13], v[76:77]
	s_waitcnt lgkmcnt(0)
	v_mul_f64 v[10:11], v[84:85], v[24:25]
	v_mul_f64 v[12:13], v[82:83], v[24:25]
	ds_read_b128 v[74:77], v93 offset:1040
	v_fma_f64 v[10:11], v[82:83], v[22:23], -v[10:11]
	v_fma_f64 v[12:13], v[84:85], v[22:23], v[12:13]
	s_waitcnt lgkmcnt(0)
	v_mul_f64 v[62:63], v[76:77], v[24:25]
	v_mul_f64 v[64:65], v[74:75], v[24:25]
	;; [unrolled: 1-line block ×4, first 2 shown]
	v_add_f64 v[42:43], v[98:99], v[10:11]
	v_add_f64 v[44:45], v[12:13], v[100:101]
	v_mul_f64 v[10:11], v[84:85], v[20:21]
	v_mul_f64 v[12:13], v[82:83], v[20:21]
	v_fma_f64 v[62:63], v[74:75], v[22:23], -v[62:63]
	v_fma_f64 v[64:65], v[76:77], v[22:23], v[64:65]
	v_fma_f64 v[66:67], v[74:75], v[18:19], -v[66:67]
	v_fma_f64 v[68:69], v[76:77], v[18:19], v[68:69]
	;; [unrolled: 2-line block ×3, first 2 shown]
	v_add_f64 v[62:63], v[70:71], v[62:63]
	v_mul_f64 v[70:71], v[76:77], v[16:17]
	v_add_f64 v[64:65], v[64:65], v[72:73]
	v_mul_f64 v[72:73], v[74:75], v[16:17]
	v_add_f64 v[66:67], v[110:111], v[66:67]
	v_add_f64 v[68:69], v[68:69], v[112:113]
	;; [unrolled: 1-line block ×4, first 2 shown]
	v_mul_f64 v[10:11], v[84:85], v[16:17]
	v_mul_f64 v[12:13], v[82:83], v[16:17]
	v_fma_f64 v[70:71], v[74:75], v[14:15], -v[70:71]
	v_fma_f64 v[72:73], v[76:77], v[14:15], v[72:73]
	v_fma_f64 v[10:11], v[82:83], v[14:15], -v[10:11]
	v_fma_f64 v[12:13], v[84:85], v[14:15], v[12:13]
	v_add_f64 v[70:71], v[114:115], v[70:71]
	v_add_f64 v[72:73], v[72:73], v[116:117]
	v_add_f64 v[34:35], v[106:107], v[10:11]
	v_add_f64 v[36:37], v[12:13], v[108:109]
	ds_read_b128 v[10:13], v92 offset:1792
	s_waitcnt lgkmcnt(0)
	v_mul_f64 v[30:31], v[84:85], v[12:13]
	v_mul_f64 v[32:33], v[82:83], v[12:13]
	v_fma_f64 v[30:31], v[82:83], v[10:11], -v[30:31]
	v_fma_f64 v[32:33], v[84:85], v[10:11], v[32:33]
	v_add_f64 v[30:31], v[78:79], v[30:31]
	v_mul_f64 v[78:79], v[76:77], v[12:13]
	v_add_f64 v[32:33], v[32:33], v[80:81]
	v_fma_f64 v[78:79], v[74:75], v[10:11], -v[78:79]
	v_mul_f64 v[74:75], v[74:75], v[12:13]
	v_fma_f64 v[76:77], v[76:77], v[10:11], v[74:75]
	v_add_f64 v[74:75], v[118:119], v[78:79]
	ds_read_b128 v[78:81], v93 offset:2064
	s_waitcnt lgkmcnt(0)
	v_mul_f64 v[82:83], v[80:81], v[24:25]
	v_mul_f64 v[86:87], v[80:81], v[20:21]
	;; [unrolled: 1-line block ×7, first 2 shown]
	v_add_f64 v[76:77], v[76:77], v[120:121]
	v_fma_f64 v[82:83], v[78:79], v[22:23], -v[82:83]
	v_fma_f64 v[86:87], v[78:79], v[18:19], -v[86:87]
	v_fma_f64 v[94:95], v[78:79], v[14:15], -v[94:95]
	v_fma_f64 v[98:99], v[78:79], v[10:11], -v[98:99]
	v_mul_f64 v[78:79], v[78:79], v[12:13]
	v_fma_f64 v[84:85], v[80:81], v[22:23], v[84:85]
	v_fma_f64 v[88:89], v[80:81], v[18:19], v[88:89]
	;; [unrolled: 1-line block ×3, first 2 shown]
	v_add_f64 v[82:83], v[122:123], v[82:83]
	v_add_f64 v[86:87], v[126:127], v[86:87]
	;; [unrolled: 1-line block ×4, first 2 shown]
	v_fma_f64 v[78:79], v[80:81], v[10:11], v[78:79]
	v_add_f64 v[84:85], v[84:85], v[124:125]
	v_add_f64 v[88:89], v[88:89], v[128:129]
	;; [unrolled: 1-line block ×4, first 2 shown]
	ds_read_b128 v[78:81], v93 offset:3088
	s_waitcnt lgkmcnt(0)
	v_mul_f64 v[102:103], v[80:81], v[24:25]
	v_mul_f64 v[24:25], v[78:79], v[24:25]
	v_fma_f64 v[102:103], v[78:79], v[22:23], -v[102:103]
	v_fma_f64 v[22:23], v[80:81], v[22:23], v[24:25]
	v_add_f64 v[58:59], v[58:59], v[102:103]
	v_add_f64 v[60:61], v[22:23], v[60:61]
	v_mul_f64 v[22:23], v[80:81], v[20:21]
	v_mul_f64 v[20:21], v[78:79], v[20:21]
	v_fma_f64 v[22:23], v[78:79], v[18:19], -v[22:23]
	v_fma_f64 v[18:19], v[80:81], v[18:19], v[20:21]
	v_add_f64 v[54:55], v[54:55], v[22:23]
	v_add_f64 v[56:57], v[18:19], v[56:57]
	;; [unrolled: 6-line block ×4, first 2 shown]
	ds_read_b128 v[10:13], v92 offset:2048
	s_waitcnt lgkmcnt(0)
	v_mul_f64 v[14:15], v[8:9], v[12:13]
	v_mul_f64 v[16:17], v[6:7], v[12:13]
	v_fma_f64 v[14:15], v[6:7], v[10:11], -v[14:15]
	v_fma_f64 v[16:17], v[8:9], v[10:11], v[16:17]
	v_add_f64 v[42:43], v[42:43], v[14:15]
	v_add_f64 v[44:45], v[16:17], v[44:45]
	ds_read_b128 v[14:17], v92 offset:2304
	s_waitcnt lgkmcnt(0)
	v_mul_f64 v[18:19], v[8:9], v[16:17]
	v_mul_f64 v[20:21], v[6:7], v[16:17]
	v_fma_f64 v[18:19], v[6:7], v[14:15], -v[18:19]
	v_fma_f64 v[20:21], v[8:9], v[14:15], v[20:21]
	v_add_f64 v[38:39], v[38:39], v[18:19]
	v_add_f64 v[40:41], v[20:21], v[40:41]
	;; [unrolled: 8-line block ×3, first 2 shown]
	ds_read_b128 v[22:25], v92 offset:2816
	s_waitcnt lgkmcnt(0)
	v_mul_f64 v[34:35], v[8:9], v[24:25]
	v_fma_f64 v[34:35], v[6:7], v[22:23], -v[34:35]
	v_mul_f64 v[6:7], v[6:7], v[24:25]
	v_add_f64 v[106:107], v[30:31], v[34:35]
	v_fma_f64 v[6:7], v[8:9], v[22:23], v[6:7]
	v_add_f64 v[108:109], v[6:7], v[32:33]
	ds_read_b128 v[6:9], v93 offset:1056
	s_waitcnt lgkmcnt(0)
	v_mul_f64 v[30:31], v[8:9], v[12:13]
	v_mul_f64 v[32:33], v[6:7], v[12:13]
	v_fma_f64 v[30:31], v[6:7], v[10:11], -v[30:31]
	v_fma_f64 v[32:33], v[8:9], v[10:11], v[32:33]
	v_add_f64 v[62:63], v[62:63], v[30:31]
	v_mul_f64 v[30:31], v[8:9], v[16:17]
	v_add_f64 v[64:65], v[32:33], v[64:65]
	v_mul_f64 v[32:33], v[6:7], v[16:17]
	v_fma_f64 v[30:31], v[6:7], v[14:15], -v[30:31]
	v_fma_f64 v[32:33], v[8:9], v[14:15], v[32:33]
	v_add_f64 v[66:67], v[66:67], v[30:31]
	v_mul_f64 v[30:31], v[8:9], v[20:21]
	v_add_f64 v[68:69], v[32:33], v[68:69]
	;; [unrolled: 6-line block ×3, first 2 shown]
	v_fma_f64 v[30:31], v[6:7], v[22:23], -v[30:31]
	v_mul_f64 v[6:7], v[6:7], v[24:25]
	v_add_f64 v[114:115], v[74:75], v[30:31]
	v_fma_f64 v[6:7], v[8:9], v[22:23], v[6:7]
	v_add_f64 v[116:117], v[6:7], v[76:77]
	ds_read_b128 v[6:9], v93 offset:2080
	s_waitcnt lgkmcnt(0)
	v_mul_f64 v[30:31], v[8:9], v[12:13]
	v_mul_f64 v[32:33], v[6:7], v[12:13]
	v_fma_f64 v[30:31], v[6:7], v[10:11], -v[30:31]
	v_fma_f64 v[32:33], v[8:9], v[10:11], v[32:33]
	v_add_f64 v[118:119], v[82:83], v[30:31]
	v_mul_f64 v[30:31], v[8:9], v[16:17]
	v_add_f64 v[120:121], v[32:33], v[84:85]
	v_mul_f64 v[32:33], v[6:7], v[16:17]
	v_fma_f64 v[30:31], v[6:7], v[14:15], -v[30:31]
	v_fma_f64 v[32:33], v[8:9], v[14:15], v[32:33]
	v_add_f64 v[122:123], v[86:87], v[30:31]
	v_mul_f64 v[30:31], v[8:9], v[20:21]
	v_add_f64 v[124:125], v[32:33], v[88:89]
	;; [unrolled: 6-line block ×3, first 2 shown]
	v_fma_f64 v[30:31], v[6:7], v[22:23], -v[30:31]
	v_mul_f64 v[6:7], v[6:7], v[24:25]
	v_add_f64 v[98:99], v[98:99], v[30:31]
	v_fma_f64 v[6:7], v[8:9], v[22:23], v[6:7]
	v_add_f64 v[100:101], v[6:7], v[100:101]
	ds_read_b128 v[6:9], v93 offset:3104
	s_waitcnt lgkmcnt(0)
	v_mul_f64 v[30:31], v[8:9], v[12:13]
	v_mul_f64 v[12:13], v[6:7], v[12:13]
	v_fma_f64 v[30:31], v[6:7], v[10:11], -v[30:31]
	v_fma_f64 v[10:11], v[8:9], v[10:11], v[12:13]
	v_mul_f64 v[12:13], v[6:7], v[16:17]
	v_add_f64 v[86:87], v[58:59], v[30:31]
	v_add_f64 v[88:89], v[10:11], v[60:61]
	v_mul_f64 v[10:11], v[8:9], v[16:17]
	v_fma_f64 v[12:13], v[8:9], v[14:15], v[12:13]
	v_fma_f64 v[10:11], v[6:7], v[14:15], -v[10:11]
	v_add_f64 v[84:85], v[12:13], v[56:57]
	v_mul_f64 v[12:13], v[6:7], v[20:21]
	ds_read_b128 v[14:17], v92 offset:3328
	v_add_f64 v[82:83], v[54:55], v[10:11]
	v_mul_f64 v[10:11], v[8:9], v[20:21]
	v_fma_f64 v[12:13], v[8:9], v[18:19], v[12:13]
	v_fma_f64 v[10:11], v[6:7], v[18:19], -v[10:11]
	ds_read_b128 v[18:21], v92 offset:3072
	v_add_f64 v[80:81], v[12:13], v[52:53]
	v_add_f64 v[78:79], v[50:51], v[10:11]
	v_mul_f64 v[10:11], v[8:9], v[24:25]
	v_fma_f64 v[10:11], v[6:7], v[22:23], -v[10:11]
	v_mul_f64 v[6:7], v[6:7], v[24:25]
	v_add_f64 v[74:75], v[46:47], v[10:11]
	v_fma_f64 v[6:7], v[8:9], v[22:23], v[6:7]
	s_waitcnt lgkmcnt(0)
	v_mul_f64 v[8:9], v[2:3], v[20:21]
	ds_read_b128 v[10:13], v92 offset:3584
	v_add_f64 v[76:77], v[6:7], v[48:49]
	v_mul_f64 v[6:7], v[4:5], v[20:21]
	v_fma_f64 v[8:9], v[4:5], v[18:19], v[8:9]
	v_fma_f64 v[6:7], v[2:3], v[18:19], -v[6:7]
	v_add_f64 v[52:53], v[8:9], v[44:45]
	v_mul_f64 v[8:9], v[2:3], v[16:17]
	v_add_f64 v[48:49], v[42:43], v[6:7]
	v_mul_f64 v[6:7], v[4:5], v[16:17]
	v_fma_f64 v[8:9], v[4:5], v[14:15], v[8:9]
	v_fma_f64 v[6:7], v[2:3], v[14:15], -v[6:7]
	v_add_f64 v[36:37], v[8:9], v[40:41]
	s_waitcnt lgkmcnt(0)
	v_mul_f64 v[8:9], v[2:3], v[12:13]
	v_add_f64 v[34:35], v[38:39], v[6:7]
	v_mul_f64 v[6:7], v[4:5], v[12:13]
	v_fma_f64 v[8:9], v[4:5], v[10:11], v[8:9]
	v_fma_f64 v[6:7], v[2:3], v[10:11], -v[6:7]
	v_add_f64 v[32:33], v[8:9], v[104:105]
	v_add_f64 v[30:31], v[102:103], v[6:7]
	ds_read_b128 v[6:9], v92 offset:3840
	s_waitcnt lgkmcnt(0)
	v_mul_f64 v[22:23], v[4:5], v[8:9]
	v_fma_f64 v[22:23], v[2:3], v[6:7], -v[22:23]
	v_mul_f64 v[2:3], v[2:3], v[8:9]
	v_add_f64 v[22:23], v[106:107], v[22:23]
	v_fma_f64 v[2:3], v[4:5], v[6:7], v[2:3]
	v_add_f64 v[24:25], v[2:3], v[108:109]
	ds_read_b128 v[2:5], v93 offset:1072
	s_waitcnt lgkmcnt(0)
	v_mul_f64 v[38:39], v[4:5], v[20:21]
	v_mul_f64 v[40:41], v[2:3], v[20:21]
	v_fma_f64 v[38:39], v[2:3], v[18:19], -v[38:39]
	v_fma_f64 v[40:41], v[4:5], v[18:19], v[40:41]
	v_add_f64 v[70:71], v[62:63], v[38:39]
	v_mul_f64 v[38:39], v[4:5], v[16:17]
	v_add_f64 v[72:73], v[40:41], v[64:65]
	v_mul_f64 v[40:41], v[2:3], v[16:17]
	v_fma_f64 v[38:39], v[2:3], v[14:15], -v[38:39]
	v_fma_f64 v[40:41], v[4:5], v[14:15], v[40:41]
	v_add_f64 v[62:63], v[66:67], v[38:39]
	v_mul_f64 v[38:39], v[4:5], v[12:13]
	v_add_f64 v[64:65], v[40:41], v[68:69]
	;; [unrolled: 6-line block ×3, first 2 shown]
	v_fma_f64 v[38:39], v[2:3], v[6:7], -v[38:39]
	v_mul_f64 v[2:3], v[2:3], v[8:9]
	v_add_f64 v[42:43], v[114:115], v[38:39]
	v_fma_f64 v[2:3], v[4:5], v[6:7], v[2:3]
	v_add_f64 v[46:47], v[2:3], v[116:117]
	ds_read_b128 v[2:5], v93 offset:2096
	s_waitcnt lgkmcnt(0)
	v_mul_f64 v[38:39], v[4:5], v[20:21]
	v_mul_f64 v[40:41], v[2:3], v[20:21]
	v_fma_f64 v[38:39], v[2:3], v[18:19], -v[38:39]
	v_fma_f64 v[40:41], v[4:5], v[18:19], v[40:41]
	v_add_f64 v[66:67], v[118:119], v[38:39]
	v_mul_f64 v[38:39], v[4:5], v[16:17]
	v_add_f64 v[68:69], v[40:41], v[120:121]
	v_mul_f64 v[40:41], v[2:3], v[16:17]
	v_fma_f64 v[38:39], v[2:3], v[14:15], -v[38:39]
	v_fma_f64 v[40:41], v[4:5], v[14:15], v[40:41]
	v_add_f64 v[56:57], v[122:123], v[38:39]
	v_mul_f64 v[38:39], v[4:5], v[12:13]
	v_add_f64 v[60:61], v[40:41], v[124:125]
	;; [unrolled: 6-line block ×3, first 2 shown]
	v_fma_f64 v[38:39], v[2:3], v[6:7], -v[38:39]
	v_mul_f64 v[2:3], v[2:3], v[8:9]
	v_add_f64 v[38:39], v[98:99], v[38:39]
	v_fma_f64 v[2:3], v[4:5], v[6:7], v[2:3]
	v_add_f64 v[40:41], v[2:3], v[100:101]
	ds_read_b128 v[2:5], v93 offset:3120
	s_waitcnt lgkmcnt(0)
	s_barrier
	buffer_gl0_inv
	v_mul_f64 v[94:95], v[4:5], v[20:21]
	v_mul_f64 v[20:21], v[2:3], v[20:21]
	v_fma_f64 v[94:95], v[2:3], v[18:19], -v[94:95]
	v_fma_f64 v[20:21], v[4:5], v[18:19], v[20:21]
	v_add_f64 v[18:19], v[86:87], v[94:95]
	v_mul_f64 v[86:87], v[4:5], v[16:17]
	v_mul_f64 v[16:17], v[2:3], v[16:17]
	v_add_f64 v[20:21], v[20:21], v[88:89]
	v_fma_f64 v[86:87], v[2:3], v[14:15], -v[86:87]
	v_fma_f64 v[16:17], v[4:5], v[14:15], v[16:17]
	v_add_f64 v[14:15], v[82:83], v[86:87]
	v_mul_f64 v[82:83], v[4:5], v[12:13]
	v_mul_f64 v[12:13], v[2:3], v[12:13]
	v_add_f64 v[16:17], v[16:17], v[84:85]
	v_fma_f64 v[82:83], v[2:3], v[10:11], -v[82:83]
	v_fma_f64 v[12:13], v[4:5], v[10:11], v[12:13]
	v_add_f64 v[10:11], v[78:79], v[82:83]
	v_mul_f64 v[78:79], v[4:5], v[8:9]
	v_add_f64 v[12:13], v[12:13], v[80:81]
	v_fma_f64 v[78:79], v[2:3], v[6:7], -v[78:79]
	v_mul_f64 v[2:3], v[2:3], v[8:9]
	v_add_f64 v[74:75], v[74:75], v[78:79]
	v_fma_f64 v[2:3], v[4:5], v[6:7], v[2:3]
	v_add_f64 v[76:77], v[2:3], v[76:77]
	s_cbranch_vccnz .LBB268_2
	s_branch .LBB268_4
.LBB268_3:
	v_mov_b32_e32 v48, 0
	v_mov_b32_e32 v52, 0
	;; [unrolled: 1-line block ×64, first 2 shown]
.LBB268_4:
	s_load_dwordx2 s[4:5], s[4:5], 0x90
	v_cmp_neq_f64_e64 s10, s[14:15], 0
	v_cmp_neq_f64_e64 s11, s[16:17], 0
	v_add_co_u32 v6, s8, s8, v1
	v_add_co_ci_u32_e64 v7, null, s9, 0, s8
	s_waitcnt lgkmcnt(0)
	s_lshl_b64 s[4:5], s[4:5], 4
	s_add_u32 s4, s2, s4
	s_addc_u32 s5, s3, s5
	v_add_co_u32 v0, s3, s6, v0
	v_add_co_ci_u32_e64 v1, null, s7, 0, s3
	s_or_b32 s2, s10, s11
	s_and_b32 vcc_lo, exec_lo, s2
	s_cbranch_vccnz .LBB268_6
; %bb.5:
	v_mul_f64 v[4:5], s[40:41], v[52:53]
	v_mul_f64 v[8:9], s[38:39], v[52:53]
	v_mul_lo_u32 v78, v7, s26
	v_mul_lo_u32 v79, v6, s27
	v_mad_u64_u32 v[2:3], null, v6, s26, 0
	v_mul_f64 v[26:27], s[40:41], v[36:37]
	v_mul_f64 v[28:29], s[38:39], v[36:37]
	;; [unrolled: 1-line block ×6, first 2 shown]
	v_add3_u32 v3, v3, v79, v78
	v_mul_f64 v[78:79], s[40:41], v[32:33]
	v_mul_f64 v[88:89], s[38:39], v[72:73]
	;; [unrolled: 1-line block ×4, first 2 shown]
	v_lshlrev_b64 v[2:3], 4, v[2:3]
	v_mul_f64 v[94:95], s[40:41], v[58:59]
	v_mul_f64 v[96:97], s[38:39], v[58:59]
	;; [unrolled: 1-line block ×4, first 2 shown]
	s_lshl_b64 s[2:3], s[26:27], 8
	v_add_co_u32 v104, vcc_lo, s4, v2
	v_add_co_ci_u32_e64 v105, null, s5, v3, vcc_lo
	v_fma_f64 v[2:3], s[38:39], v[48:49], -v[4:5]
	v_fma_f64 v[4:5], s[40:41], v[48:49], v[8:9]
	v_lshlrev_b64 v[8:9], 4, v[0:1]
	v_fma_f64 v[26:27], s[38:39], v[34:35], -v[26:27]
	v_fma_f64 v[28:29], s[40:41], v[34:35], v[28:29]
	v_fma_f64 v[80:81], s[40:41], v[30:31], v[80:81]
	v_fma_f64 v[82:83], s[38:39], v[22:23], -v[82:83]
	v_fma_f64 v[84:85], s[40:41], v[22:23], v[84:85]
	v_add_co_u32 v102, vcc_lo, v104, v8
	v_fma_f64 v[78:79], s[38:39], v[30:31], -v[78:79]
	v_add_co_ci_u32_e64 v103, null, v105, v9, vcc_lo
	v_fma_f64 v[86:87], s[38:39], v[70:71], -v[86:87]
	v_fma_f64 v[88:89], s[40:41], v[70:71], v[88:89]
	v_fma_f64 v[90:91], s[38:39], v[62:63], -v[90:91]
	v_fma_f64 v[92:93], s[40:41], v[62:63], v[92:93]
	;; [unrolled: 2-line block ×3, first 2 shown]
	v_add_co_u32 v106, vcc_lo, v104, s2
	v_add_co_ci_u32_e64 v107, null, s3, v105, vcc_lo
	flat_store_dwordx4 v[102:103], v[2:5]
	v_fma_f64 v[2:3], s[38:39], v[42:43], -v[98:99]
	v_fma_f64 v[4:5], s[40:41], v[42:43], v[100:101]
	v_add_co_u32 v104, vcc_lo, v106, v8
	v_add_co_ci_u32_e64 v105, null, v107, v9, vcc_lo
	flat_store_dwordx4 v[102:103], v[26:29] offset:256
	flat_store_dwordx4 v[102:103], v[78:81] offset:512
	;; [unrolled: 1-line block ×3, first 2 shown]
	flat_store_dwordx4 v[104:105], v[86:89]
	flat_store_dwordx4 v[104:105], v[90:93] offset:256
	flat_store_dwordx4 v[104:105], v[94:97] offset:512
	v_mul_f64 v[26:27], s[40:41], v[68:69]
	v_mul_f64 v[28:29], s[38:39], v[68:69]
	;; [unrolled: 1-line block ×12, first 2 shown]
	flat_store_dwordx4 v[104:105], v[2:5] offset:768
	v_mul_f64 v[2:3], s[40:41], v[76:77]
	v_mul_f64 v[4:5], s[38:39], v[76:77]
	;; [unrolled: 1-line block ×4, first 2 shown]
	v_add_co_u32 v104, vcc_lo, v106, s2
	v_add_co_ci_u32_e64 v105, null, s3, v107, vcc_lo
	v_fma_f64 v[26:27], s[38:39], v[66:67], -v[26:27]
	v_fma_f64 v[28:29], s[40:41], v[66:67], v[28:29]
	v_fma_f64 v[78:79], s[38:39], v[56:57], -v[78:79]
	v_fma_f64 v[80:81], s[40:41], v[56:57], v[80:81]
	v_fma_f64 v[82:83], s[38:39], v[44:45], -v[82:83]
	v_fma_f64 v[84:85], s[40:41], v[44:45], v[84:85]
	v_fma_f64 v[86:87], s[38:39], v[38:39], -v[86:87]
	v_fma_f64 v[88:89], s[40:41], v[38:39], v[88:89]
	v_fma_f64 v[90:91], s[38:39], v[18:19], -v[90:91]
	v_fma_f64 v[92:93], s[40:41], v[18:19], v[92:93]
	v_fma_f64 v[94:95], s[38:39], v[14:15], -v[94:95]
	v_fma_f64 v[96:97], s[40:41], v[14:15], v[96:97]
	v_add_co_u32 v106, vcc_lo, v104, s2
	v_fma_f64 v[102:103], s[38:39], v[74:75], -v[2:3]
	v_fma_f64 v[2:3], s[40:41], v[74:75], v[4:5]
	v_fma_f64 v[98:99], s[38:39], v[10:11], -v[98:99]
	v_fma_f64 v[100:101], s[40:41], v[10:11], v[100:101]
	v_add_co_ci_u32_e64 v107, null, s3, v105, vcc_lo
	v_add_co_u32 v4, vcc_lo, v104, v8
	v_add_co_ci_u32_e64 v5, null, v105, v9, vcc_lo
	v_add_co_u32 v8, vcc_lo, v106, v8
	v_add_co_ci_u32_e64 v9, null, v107, v9, vcc_lo
	flat_store_dwordx4 v[4:5], v[26:29]
	flat_store_dwordx4 v[4:5], v[78:81] offset:256
	flat_store_dwordx4 v[4:5], v[82:85] offset:512
	;; [unrolled: 1-line block ×3, first 2 shown]
	flat_store_dwordx4 v[8:9], v[90:93]
	v_add_co_u32 v4, vcc_lo, 0x300, v8
	v_add_co_ci_u32_e64 v5, null, 0, v9, vcc_lo
	flat_store_dwordx4 v[8:9], v[94:97] offset:256
	flat_store_dwordx4 v[8:9], v[98:101] offset:512
	flat_store_dwordx2 v[8:9], v[102:103] offset:768
	s_cbranch_execz .LBB268_7
	s_branch .LBB268_8
.LBB268_6:
                                        ; implicit-def: $vgpr2_vgpr3
                                        ; implicit-def: $vgpr4_vgpr5
.LBB268_7:
	v_mul_lo_u32 v4, v7, s20
	v_mul_lo_u32 v5, v6, s21
	v_mad_u64_u32 v[2:3], null, v6, s20, 0
	s_lshl_b64 s[2:3], s[22:23], 4
	v_mul_f64 v[26:27], s[40:41], v[52:53]
	s_add_u32 s0, s0, s2
	s_addc_u32 s1, s1, s3
	v_mul_f64 v[28:29], s[38:39], v[52:53]
	s_lshl_b64 s[2:3], s[26:27], 8
	v_add3_u32 v3, v3, v5, v4
	v_lshlrev_b64 v[4:5], 4, v[0:1]
	v_lshlrev_b64 v[2:3], 4, v[2:3]
	v_add_co_u32 v78, vcc_lo, s0, v2
	v_add_co_ci_u32_e64 v79, null, s1, v3, vcc_lo
	s_lshl_b64 s[0:1], s[20:21], 8
	v_add_co_u32 v8, vcc_lo, v78, v4
	v_add_co_ci_u32_e64 v9, null, v79, v5, vcc_lo
	v_fma_f64 v[26:27], s[38:39], v[48:49], -v[26:27]
	v_fma_f64 v[28:29], s[40:41], v[48:49], v[28:29]
	flat_load_dwordx4 v[0:3], v[8:9]
	s_waitcnt vmcnt(0) lgkmcnt(0)
	v_mul_f64 v[52:53], s[16:17], v[2:3]
	v_mul_f64 v[2:3], s[14:15], v[2:3]
	v_fma_f64 v[48:49], s[14:15], v[0:1], -v[52:53]
	v_fma_f64 v[2:3], s[16:17], v[0:1], v[2:3]
	v_mul_lo_u32 v0, v7, s26
	v_mul_lo_u32 v1, v6, s27
	v_mad_u64_u32 v[6:7], null, v6, s26, 0
	v_add3_u32 v7, v7, v1, v0
	v_lshlrev_b64 v[6:7], 4, v[6:7]
	v_add_f64 v[0:1], v[26:27], v[48:49]
	v_add_f64 v[2:3], v[28:29], v[2:3]
	v_add_co_u32 v48, vcc_lo, s4, v6
	v_add_co_ci_u32_e64 v49, null, s5, v7, vcc_lo
	v_mul_f64 v[26:27], s[40:41], v[36:37]
	v_add_co_u32 v6, vcc_lo, v48, v4
	v_add_co_ci_u32_e64 v7, null, v49, v5, vcc_lo
	v_mul_f64 v[28:29], s[38:39], v[36:37]
	flat_store_dwordx4 v[6:7], v[0:3]
	flat_load_dwordx4 v[0:3], v[8:9] offset:256
	v_fma_f64 v[26:27], s[38:39], v[34:35], -v[26:27]
	v_fma_f64 v[28:29], s[40:41], v[34:35], v[28:29]
	s_waitcnt vmcnt(0) lgkmcnt(0)
	v_mul_f64 v[36:37], s[16:17], v[2:3]
	v_mul_f64 v[2:3], s[14:15], v[2:3]
	v_fma_f64 v[34:35], s[14:15], v[0:1], -v[36:37]
	v_fma_f64 v[2:3], s[16:17], v[0:1], v[2:3]
	v_add_f64 v[0:1], v[26:27], v[34:35]
	v_add_f64 v[2:3], v[28:29], v[2:3]
	v_mul_f64 v[26:27], s[40:41], v[32:33]
	v_mul_f64 v[28:29], s[38:39], v[32:33]
	flat_store_dwordx4 v[6:7], v[0:3] offset:256
	flat_load_dwordx4 v[0:3], v[8:9] offset:512
	v_fma_f64 v[26:27], s[38:39], v[30:31], -v[26:27]
	v_fma_f64 v[28:29], s[40:41], v[30:31], v[28:29]
	s_waitcnt vmcnt(0) lgkmcnt(0)
	v_mul_f64 v[32:33], s[16:17], v[2:3]
	v_mul_f64 v[2:3], s[14:15], v[2:3]
	v_fma_f64 v[30:31], s[14:15], v[0:1], -v[32:33]
	v_fma_f64 v[2:3], s[16:17], v[0:1], v[2:3]
	v_add_f64 v[0:1], v[26:27], v[30:31]
	v_add_f64 v[2:3], v[28:29], v[2:3]
	v_add_co_u32 v28, vcc_lo, v78, s0
	v_add_co_ci_u32_e64 v29, null, s1, v79, vcc_lo
	flat_store_dwordx4 v[6:7], v[0:3] offset:512
	flat_load_dwordx4 v[0:3], v[8:9] offset:768
	v_mul_f64 v[8:9], s[40:41], v[24:25]
	v_mul_f64 v[24:25], s[38:39], v[24:25]
	v_fma_f64 v[8:9], s[38:39], v[22:23], -v[8:9]
	v_fma_f64 v[22:23], s[40:41], v[22:23], v[24:25]
	s_waitcnt vmcnt(0) lgkmcnt(0)
	v_mul_f64 v[26:27], s[16:17], v[2:3]
	v_mul_f64 v[2:3], s[14:15], v[2:3]
	v_fma_f64 v[24:25], s[14:15], v[0:1], -v[26:27]
	v_fma_f64 v[2:3], s[16:17], v[0:1], v[2:3]
	v_add_f64 v[0:1], v[8:9], v[24:25]
	v_add_f64 v[2:3], v[22:23], v[2:3]
	v_add_co_u32 v8, vcc_lo, v28, v4
	v_add_co_ci_u32_e64 v9, null, v29, v5, vcc_lo
	v_mul_f64 v[22:23], s[38:39], v[72:73]
	v_add_co_u32 v30, vcc_lo, v48, s2
	v_add_co_ci_u32_e64 v31, null, s3, v49, vcc_lo
	flat_store_dwordx4 v[6:7], v[0:3] offset:768
	flat_load_dwordx4 v[0:3], v[8:9]
	v_mul_f64 v[6:7], s[40:41], v[72:73]
	v_fma_f64 v[22:23], s[40:41], v[70:71], v[22:23]
	v_fma_f64 v[6:7], s[38:39], v[70:71], -v[6:7]
	s_waitcnt vmcnt(0) lgkmcnt(0)
	v_mul_f64 v[24:25], s[16:17], v[2:3]
	v_mul_f64 v[2:3], s[14:15], v[2:3]
	v_fma_f64 v[24:25], s[14:15], v[0:1], -v[24:25]
	v_fma_f64 v[2:3], s[16:17], v[0:1], v[2:3]
	v_add_f64 v[0:1], v[6:7], v[24:25]
	v_add_f64 v[2:3], v[22:23], v[2:3]
	v_add_co_u32 v6, vcc_lo, v30, v4
	v_add_co_ci_u32_e64 v7, null, v31, v5, vcc_lo
	v_mul_f64 v[22:23], s[40:41], v[64:65]
	v_mul_f64 v[24:25], s[38:39], v[64:65]
	v_add_co_u32 v28, vcc_lo, v28, s0
	v_add_co_ci_u32_e64 v29, null, s1, v29, vcc_lo
	flat_store_dwordx4 v[6:7], v[0:3]
	flat_load_dwordx4 v[0:3], v[8:9] offset:256
	v_fma_f64 v[22:23], s[38:39], v[62:63], -v[22:23]
	v_fma_f64 v[24:25], s[40:41], v[62:63], v[24:25]
	s_waitcnt vmcnt(0) lgkmcnt(0)
	v_mul_f64 v[26:27], s[16:17], v[2:3]
	v_mul_f64 v[2:3], s[14:15], v[2:3]
	v_fma_f64 v[26:27], s[14:15], v[0:1], -v[26:27]
	v_fma_f64 v[2:3], s[16:17], v[0:1], v[2:3]
	v_add_f64 v[0:1], v[22:23], v[26:27]
	v_add_f64 v[2:3], v[24:25], v[2:3]
	v_mul_f64 v[22:23], s[40:41], v[58:59]
	v_mul_f64 v[24:25], s[38:39], v[58:59]
	flat_store_dwordx4 v[6:7], v[0:3] offset:256
	flat_load_dwordx4 v[0:3], v[8:9] offset:512
	v_fma_f64 v[22:23], s[38:39], v[54:55], -v[22:23]
	v_fma_f64 v[24:25], s[40:41], v[54:55], v[24:25]
	s_waitcnt vmcnt(0) lgkmcnt(0)
	v_mul_f64 v[26:27], s[16:17], v[2:3]
	v_mul_f64 v[2:3], s[14:15], v[2:3]
	v_fma_f64 v[26:27], s[14:15], v[0:1], -v[26:27]
	v_fma_f64 v[2:3], s[16:17], v[0:1], v[2:3]
	v_add_f64 v[0:1], v[22:23], v[26:27]
	v_add_f64 v[2:3], v[24:25], v[2:3]
	v_mul_f64 v[22:23], s[38:39], v[46:47]
	flat_store_dwordx4 v[6:7], v[0:3] offset:512
	flat_load_dwordx4 v[0:3], v[8:9] offset:768
	v_mul_f64 v[8:9], s[40:41], v[46:47]
	v_fma_f64 v[22:23], s[40:41], v[42:43], v[22:23]
	v_fma_f64 v[8:9], s[38:39], v[42:43], -v[8:9]
	s_waitcnt vmcnt(0) lgkmcnt(0)
	v_mul_f64 v[24:25], s[16:17], v[2:3]
	v_mul_f64 v[2:3], s[14:15], v[2:3]
	v_fma_f64 v[24:25], s[14:15], v[0:1], -v[24:25]
	v_fma_f64 v[2:3], s[16:17], v[0:1], v[2:3]
	v_add_f64 v[0:1], v[8:9], v[24:25]
	v_add_f64 v[2:3], v[22:23], v[2:3]
	v_add_co_u32 v8, vcc_lo, v28, v4
	v_add_co_ci_u32_e64 v9, null, v29, v5, vcc_lo
	v_mul_f64 v[22:23], s[38:39], v[68:69]
	v_add_co_u32 v30, vcc_lo, v30, s2
	v_add_co_ci_u32_e64 v31, null, s3, v31, vcc_lo
	flat_store_dwordx4 v[6:7], v[0:3] offset:768
	flat_load_dwordx4 v[0:3], v[8:9]
	v_mul_f64 v[6:7], s[40:41], v[68:69]
	v_fma_f64 v[22:23], s[40:41], v[66:67], v[22:23]
	v_fma_f64 v[6:7], s[38:39], v[66:67], -v[6:7]
	s_waitcnt vmcnt(0) lgkmcnt(0)
	v_mul_f64 v[24:25], s[16:17], v[2:3]
	v_mul_f64 v[2:3], s[14:15], v[2:3]
	v_fma_f64 v[24:25], s[14:15], v[0:1], -v[24:25]
	v_fma_f64 v[2:3], s[16:17], v[0:1], v[2:3]
	v_add_f64 v[0:1], v[6:7], v[24:25]
	v_add_f64 v[2:3], v[22:23], v[2:3]
	v_add_co_u32 v6, vcc_lo, v30, v4
	v_add_co_ci_u32_e64 v7, null, v31, v5, vcc_lo
	v_mul_f64 v[22:23], s[40:41], v[60:61]
	v_mul_f64 v[24:25], s[38:39], v[60:61]
	flat_store_dwordx4 v[6:7], v[0:3]
	flat_load_dwordx4 v[0:3], v[8:9] offset:256
	v_fma_f64 v[22:23], s[38:39], v[56:57], -v[22:23]
	v_fma_f64 v[24:25], s[40:41], v[56:57], v[24:25]
	s_waitcnt vmcnt(0) lgkmcnt(0)
	v_mul_f64 v[26:27], s[16:17], v[2:3]
	v_mul_f64 v[2:3], s[14:15], v[2:3]
	v_fma_f64 v[26:27], s[14:15], v[0:1], -v[26:27]
	v_fma_f64 v[2:3], s[16:17], v[0:1], v[2:3]
	v_add_f64 v[0:1], v[22:23], v[26:27]
	v_add_f64 v[2:3], v[24:25], v[2:3]
	v_mul_f64 v[22:23], s[40:41], v[50:51]
	v_mul_f64 v[24:25], s[38:39], v[50:51]
	flat_store_dwordx4 v[6:7], v[0:3] offset:256
	flat_load_dwordx4 v[0:3], v[8:9] offset:512
	v_fma_f64 v[22:23], s[38:39], v[44:45], -v[22:23]
	v_fma_f64 v[24:25], s[40:41], v[44:45], v[24:25]
	s_waitcnt vmcnt(0) lgkmcnt(0)
	v_mul_f64 v[26:27], s[16:17], v[2:3]
	v_mul_f64 v[2:3], s[14:15], v[2:3]
	v_fma_f64 v[26:27], s[14:15], v[0:1], -v[26:27]
	v_fma_f64 v[2:3], s[16:17], v[0:1], v[2:3]
	v_add_f64 v[0:1], v[22:23], v[26:27]
	v_add_f64 v[2:3], v[24:25], v[2:3]
	v_mul_f64 v[22:23], s[38:39], v[40:41]
	flat_store_dwordx4 v[6:7], v[0:3] offset:512
	flat_load_dwordx4 v[0:3], v[8:9] offset:768
	v_mul_f64 v[8:9], s[40:41], v[40:41]
	v_fma_f64 v[22:23], s[40:41], v[38:39], v[22:23]
	v_fma_f64 v[8:9], s[38:39], v[38:39], -v[8:9]
	s_waitcnt vmcnt(0) lgkmcnt(0)
	v_mul_f64 v[24:25], s[16:17], v[2:3]
	v_mul_f64 v[2:3], s[14:15], v[2:3]
	v_fma_f64 v[24:25], s[14:15], v[0:1], -v[24:25]
	v_fma_f64 v[2:3], s[16:17], v[0:1], v[2:3]
	v_add_f64 v[0:1], v[8:9], v[24:25]
	v_add_f64 v[2:3], v[22:23], v[2:3]
	v_add_co_u32 v8, vcc_lo, v28, s0
	v_add_co_ci_u32_e64 v9, null, s1, v29, vcc_lo
	v_add_co_u32 v8, vcc_lo, v8, v4
	v_add_co_ci_u32_e64 v9, null, v9, v5, vcc_lo
	flat_store_dwordx4 v[6:7], v[0:3] offset:768
	flat_load_dwordx4 v[0:3], v[8:9]
	v_mul_f64 v[6:7], s[40:41], v[20:21]
	v_mul_f64 v[20:21], s[38:39], v[20:21]
	v_fma_f64 v[6:7], s[38:39], v[18:19], -v[6:7]
	v_fma_f64 v[18:19], s[40:41], v[18:19], v[20:21]
	s_waitcnt vmcnt(0) lgkmcnt(0)
	v_mul_f64 v[22:23], s[16:17], v[2:3]
	v_mul_f64 v[2:3], s[14:15], v[2:3]
	v_fma_f64 v[20:21], s[14:15], v[0:1], -v[22:23]
	v_fma_f64 v[2:3], s[16:17], v[0:1], v[2:3]
	v_add_f64 v[0:1], v[6:7], v[20:21]
	v_add_f64 v[2:3], v[18:19], v[2:3]
	v_add_co_u32 v6, vcc_lo, v30, s2
	v_add_co_ci_u32_e64 v7, null, s3, v31, vcc_lo
	v_add_co_u32 v6, vcc_lo, v6, v4
	v_add_co_ci_u32_e64 v7, null, v7, v5, vcc_lo
	v_mul_f64 v[4:5], s[40:41], v[16:17]
	v_mul_f64 v[16:17], s[38:39], v[16:17]
	flat_store_dwordx4 v[6:7], v[0:3]
	flat_load_dwordx4 v[0:3], v[8:9] offset:256
	v_fma_f64 v[4:5], s[38:39], v[14:15], -v[4:5]
	v_fma_f64 v[14:15], s[40:41], v[14:15], v[16:17]
	s_waitcnt vmcnt(0) lgkmcnt(0)
	v_mul_f64 v[18:19], s[16:17], v[2:3]
	v_mul_f64 v[2:3], s[14:15], v[2:3]
	v_fma_f64 v[16:17], s[14:15], v[0:1], -v[18:19]
	v_fma_f64 v[2:3], s[16:17], v[0:1], v[2:3]
	v_add_f64 v[0:1], v[4:5], v[16:17]
	v_add_f64 v[2:3], v[14:15], v[2:3]
	v_mul_f64 v[4:5], s[40:41], v[12:13]
	v_mul_f64 v[12:13], s[38:39], v[12:13]
	flat_store_dwordx4 v[6:7], v[0:3] offset:256
	flat_load_dwordx4 v[0:3], v[8:9] offset:512
	v_fma_f64 v[4:5], s[38:39], v[10:11], -v[4:5]
	v_fma_f64 v[10:11], s[40:41], v[10:11], v[12:13]
	s_waitcnt vmcnt(0) lgkmcnt(0)
	v_mul_f64 v[14:15], s[16:17], v[2:3]
	v_mul_f64 v[2:3], s[14:15], v[2:3]
	v_fma_f64 v[12:13], s[14:15], v[0:1], -v[14:15]
	v_fma_f64 v[2:3], s[16:17], v[0:1], v[2:3]
	v_add_f64 v[0:1], v[4:5], v[12:13]
	v_add_f64 v[2:3], v[10:11], v[2:3]
	v_mul_f64 v[4:5], s[40:41], v[76:77]
	flat_store_dwordx4 v[6:7], v[0:3] offset:512
	flat_load_dwordx4 v[0:3], v[8:9] offset:768
	v_mul_f64 v[8:9], s[38:39], v[76:77]
	v_fma_f64 v[4:5], s[38:39], v[74:75], -v[4:5]
	v_fma_f64 v[8:9], s[40:41], v[74:75], v[8:9]
	s_waitcnt vmcnt(0) lgkmcnt(0)
	v_mul_f64 v[10:11], s[16:17], v[2:3]
	v_mul_f64 v[2:3], s[14:15], v[2:3]
	v_fma_f64 v[10:11], s[14:15], v[0:1], -v[10:11]
	v_fma_f64 v[0:1], s[16:17], v[0:1], v[2:3]
	v_add_f64 v[10:11], v[4:5], v[10:11]
	v_add_f64 v[2:3], v[8:9], v[0:1]
	v_add_co_u32 v4, vcc_lo, 0x300, v6
	v_add_co_ci_u32_e64 v5, null, 0, v7, vcc_lo
	flat_store_dwordx2 v[6:7], v[10:11] offset:768
.LBB268_8:
	flat_store_dwordx2 v[4:5], v[2:3] offset:8
	s_endpgm
	.section	.rodata,"a",@progbits
	.p2align	6, 0x0
	.amdhsa_kernel _ZN12_GLOBAL__N_127rocblas_gemm_batched_kernelI19rocblas_complex_numIdELi16ELi16ELi64ELi64ELi4ELi64ELi4ELi4ELi64ELc67ELc78EKPKS2_S5_KPS2_EEvlllT_PT11_llSA_llS8_PT12_llPT13_lli
		.amdhsa_group_segment_fixed_size 8192
		.amdhsa_private_segment_fixed_size 0
		.amdhsa_kernarg_size 156
		.amdhsa_user_sgpr_count 6
		.amdhsa_user_sgpr_private_segment_buffer 1
		.amdhsa_user_sgpr_dispatch_ptr 0
		.amdhsa_user_sgpr_queue_ptr 0
		.amdhsa_user_sgpr_kernarg_segment_ptr 1
		.amdhsa_user_sgpr_dispatch_id 0
		.amdhsa_user_sgpr_flat_scratch_init 0
		.amdhsa_user_sgpr_private_segment_size 0
		.amdhsa_wavefront_size32 1
		.amdhsa_uses_dynamic_stack 0
		.amdhsa_system_sgpr_private_segment_wavefront_offset 0
		.amdhsa_system_sgpr_workgroup_id_x 1
		.amdhsa_system_sgpr_workgroup_id_y 1
		.amdhsa_system_sgpr_workgroup_id_z 1
		.amdhsa_system_sgpr_workgroup_info 0
		.amdhsa_system_vgpr_workitem_id 1
		.amdhsa_next_free_vgpr 138
		.amdhsa_next_free_sgpr 52
		.amdhsa_reserve_vcc 1
		.amdhsa_reserve_flat_scratch 0
		.amdhsa_float_round_mode_32 0
		.amdhsa_float_round_mode_16_64 0
		.amdhsa_float_denorm_mode_32 3
		.amdhsa_float_denorm_mode_16_64 3
		.amdhsa_dx10_clamp 1
		.amdhsa_ieee_mode 1
		.amdhsa_fp16_overflow 0
		.amdhsa_workgroup_processor_mode 1
		.amdhsa_memory_ordered 1
		.amdhsa_forward_progress 1
		.amdhsa_shared_vgpr_count 0
		.amdhsa_exception_fp_ieee_invalid_op 0
		.amdhsa_exception_fp_denorm_src 0
		.amdhsa_exception_fp_ieee_div_zero 0
		.amdhsa_exception_fp_ieee_overflow 0
		.amdhsa_exception_fp_ieee_underflow 0
		.amdhsa_exception_fp_ieee_inexact 0
		.amdhsa_exception_int_div_zero 0
	.end_amdhsa_kernel
	.section	.text._ZN12_GLOBAL__N_127rocblas_gemm_batched_kernelI19rocblas_complex_numIdELi16ELi16ELi64ELi64ELi4ELi64ELi4ELi4ELi64ELc67ELc78EKPKS2_S5_KPS2_EEvlllT_PT11_llSA_llS8_PT12_llPT13_lli,"axG",@progbits,_ZN12_GLOBAL__N_127rocblas_gemm_batched_kernelI19rocblas_complex_numIdELi16ELi16ELi64ELi64ELi4ELi64ELi4ELi4ELi64ELc67ELc78EKPKS2_S5_KPS2_EEvlllT_PT11_llSA_llS8_PT12_llPT13_lli,comdat
.Lfunc_end268:
	.size	_ZN12_GLOBAL__N_127rocblas_gemm_batched_kernelI19rocblas_complex_numIdELi16ELi16ELi64ELi64ELi4ELi64ELi4ELi4ELi64ELc67ELc78EKPKS2_S5_KPS2_EEvlllT_PT11_llSA_llS8_PT12_llPT13_lli, .Lfunc_end268-_ZN12_GLOBAL__N_127rocblas_gemm_batched_kernelI19rocblas_complex_numIdELi16ELi16ELi64ELi64ELi4ELi64ELi4ELi4ELi64ELc67ELc78EKPKS2_S5_KPS2_EEvlllT_PT11_llSA_llS8_PT12_llPT13_lli
                                        ; -- End function
	.set _ZN12_GLOBAL__N_127rocblas_gemm_batched_kernelI19rocblas_complex_numIdELi16ELi16ELi64ELi64ELi4ELi64ELi4ELi4ELi64ELc67ELc78EKPKS2_S5_KPS2_EEvlllT_PT11_llSA_llS8_PT12_llPT13_lli.num_vgpr, 138
	.set _ZN12_GLOBAL__N_127rocblas_gemm_batched_kernelI19rocblas_complex_numIdELi16ELi16ELi64ELi64ELi4ELi64ELi4ELi4ELi64ELc67ELc78EKPKS2_S5_KPS2_EEvlllT_PT11_llSA_llS8_PT12_llPT13_lli.num_agpr, 0
	.set _ZN12_GLOBAL__N_127rocblas_gemm_batched_kernelI19rocblas_complex_numIdELi16ELi16ELi64ELi64ELi4ELi64ELi4ELi4ELi64ELc67ELc78EKPKS2_S5_KPS2_EEvlllT_PT11_llSA_llS8_PT12_llPT13_lli.numbered_sgpr, 52
	.set _ZN12_GLOBAL__N_127rocblas_gemm_batched_kernelI19rocblas_complex_numIdELi16ELi16ELi64ELi64ELi4ELi64ELi4ELi4ELi64ELc67ELc78EKPKS2_S5_KPS2_EEvlllT_PT11_llSA_llS8_PT12_llPT13_lli.num_named_barrier, 0
	.set _ZN12_GLOBAL__N_127rocblas_gemm_batched_kernelI19rocblas_complex_numIdELi16ELi16ELi64ELi64ELi4ELi64ELi4ELi4ELi64ELc67ELc78EKPKS2_S5_KPS2_EEvlllT_PT11_llSA_llS8_PT12_llPT13_lli.private_seg_size, 0
	.set _ZN12_GLOBAL__N_127rocblas_gemm_batched_kernelI19rocblas_complex_numIdELi16ELi16ELi64ELi64ELi4ELi64ELi4ELi4ELi64ELc67ELc78EKPKS2_S5_KPS2_EEvlllT_PT11_llSA_llS8_PT12_llPT13_lli.uses_vcc, 1
	.set _ZN12_GLOBAL__N_127rocblas_gemm_batched_kernelI19rocblas_complex_numIdELi16ELi16ELi64ELi64ELi4ELi64ELi4ELi4ELi64ELc67ELc78EKPKS2_S5_KPS2_EEvlllT_PT11_llSA_llS8_PT12_llPT13_lli.uses_flat_scratch, 0
	.set _ZN12_GLOBAL__N_127rocblas_gemm_batched_kernelI19rocblas_complex_numIdELi16ELi16ELi64ELi64ELi4ELi64ELi4ELi4ELi64ELc67ELc78EKPKS2_S5_KPS2_EEvlllT_PT11_llSA_llS8_PT12_llPT13_lli.has_dyn_sized_stack, 0
	.set _ZN12_GLOBAL__N_127rocblas_gemm_batched_kernelI19rocblas_complex_numIdELi16ELi16ELi64ELi64ELi4ELi64ELi4ELi4ELi64ELc67ELc78EKPKS2_S5_KPS2_EEvlllT_PT11_llSA_llS8_PT12_llPT13_lli.has_recursion, 0
	.set _ZN12_GLOBAL__N_127rocblas_gemm_batched_kernelI19rocblas_complex_numIdELi16ELi16ELi64ELi64ELi4ELi64ELi4ELi4ELi64ELc67ELc78EKPKS2_S5_KPS2_EEvlllT_PT11_llSA_llS8_PT12_llPT13_lli.has_indirect_call, 0
	.section	.AMDGPU.csdata,"",@progbits
; Kernel info:
; codeLenInByte = 7436
; TotalNumSgprs: 54
; NumVgprs: 138
; ScratchSize: 0
; MemoryBound: 0
; FloatMode: 240
; IeeeMode: 1
; LDSByteSize: 8192 bytes/workgroup (compile time only)
; SGPRBlocks: 0
; VGPRBlocks: 17
; NumSGPRsForWavesPerEU: 54
; NumVGPRsForWavesPerEU: 138
; Occupancy: 7
; WaveLimiterHint : 1
; COMPUTE_PGM_RSRC2:SCRATCH_EN: 0
; COMPUTE_PGM_RSRC2:USER_SGPR: 6
; COMPUTE_PGM_RSRC2:TRAP_HANDLER: 0
; COMPUTE_PGM_RSRC2:TGID_X_EN: 1
; COMPUTE_PGM_RSRC2:TGID_Y_EN: 1
; COMPUTE_PGM_RSRC2:TGID_Z_EN: 1
; COMPUTE_PGM_RSRC2:TIDIG_COMP_CNT: 1
	.section	.text._ZN12_GLOBAL__N_127rocblas_gemm_batched_kernelI19rocblas_complex_numIdELi16ELi16ELi64ELi64ELi4ELi64ELi4ELi4ELi64ELc67ELc84EKPKS2_S5_KPS2_EEvlllT_PT11_llSA_llS8_PT12_llPT13_lli,"axG",@progbits,_ZN12_GLOBAL__N_127rocblas_gemm_batched_kernelI19rocblas_complex_numIdELi16ELi16ELi64ELi64ELi4ELi64ELi4ELi4ELi64ELc67ELc84EKPKS2_S5_KPS2_EEvlllT_PT11_llSA_llS8_PT12_llPT13_lli,comdat
	.globl	_ZN12_GLOBAL__N_127rocblas_gemm_batched_kernelI19rocblas_complex_numIdELi16ELi16ELi64ELi64ELi4ELi64ELi4ELi4ELi64ELc67ELc84EKPKS2_S5_KPS2_EEvlllT_PT11_llSA_llS8_PT12_llPT13_lli ; -- Begin function _ZN12_GLOBAL__N_127rocblas_gemm_batched_kernelI19rocblas_complex_numIdELi16ELi16ELi64ELi64ELi4ELi64ELi4ELi4ELi64ELc67ELc84EKPKS2_S5_KPS2_EEvlllT_PT11_llSA_llS8_PT12_llPT13_lli
	.p2align	8
	.type	_ZN12_GLOBAL__N_127rocblas_gemm_batched_kernelI19rocblas_complex_numIdELi16ELi16ELi64ELi64ELi4ELi64ELi4ELi4ELi64ELc67ELc84EKPKS2_S5_KPS2_EEvlllT_PT11_llSA_llS8_PT12_llPT13_lli,@function
_ZN12_GLOBAL__N_127rocblas_gemm_batched_kernelI19rocblas_complex_numIdELi16ELi16ELi64ELi64ELi4ELi64ELi4ELi4ELi64ELc67ELc84EKPKS2_S5_KPS2_EEvlllT_PT11_llSA_llS8_PT12_llPT13_lli: ; @_ZN12_GLOBAL__N_127rocblas_gemm_batched_kernelI19rocblas_complex_numIdELi16ELi16ELi64ELi64ELi4ELi64ELi4ELi4ELi64ELc67ELc84EKPKS2_S5_KPS2_EEvlllT_PT11_llSA_llS8_PT12_llPT13_lli
; %bb.0:
	s_clause 0x1
	s_load_dwordx16 s[12:27], s[4:5], 0x50
	s_load_dwordx16 s[36:51], s[4:5], 0x10
	s_mov_b32 s9, 0
	s_mov_b32 s28, s7
	s_lshl_b64 s[10:11], s[8:9], 3
	s_waitcnt lgkmcnt(0)
	s_add_u32 s0, s18, s10
	s_addc_u32 s1, s19, s11
	s_add_u32 s2, s24, s10
	s_addc_u32 s3, s25, s11
	s_load_dwordx2 s[0:1], s[0:1], 0x0
	s_load_dwordx2 s[2:3], s[2:3], 0x0
	v_cmp_lt_i64_e64 s8, s[36:37], 1
	s_ashr_i32 s7, s6, 31
	s_ashr_i32 s29, s28, 31
	s_lshl_b64 s[6:7], s[6:7], 6
	s_and_b32 vcc_lo, exec_lo, s8
	s_lshl_b64 s[8:9], s[28:29], 6
	s_cbranch_vccnz .LBB269_3
; %bb.1:
	v_lshl_add_u32 v6, v1, 4, v0
	v_and_b32_e32 v7, 3, v0
	v_mov_b32_e32 v76, 0
	v_mov_b32_e32 v74, 0
	;; [unrolled: 1-line block ×3, first 2 shown]
	v_lshrrev_b32_e32 v8, 2, v6
	v_and_b32_e32 v9, 63, v6
	v_lshrrev_b32_e32 v12, 6, v6
	v_lshlrev_b32_e32 v13, 4, v7
	v_mov_b32_e32 v14, 0
	v_add_co_u32 v2, s18, v8, s8
	v_add_co_ci_u32_e64 v3, null, 0, s9, s18
	v_add_co_u32 v4, s18, s6, v9
	v_add_co_ci_u32_e64 v5, null, s7, 0, s18
	v_mad_u64_u32 v[2:3], null, s50, v7, v[2:3]
	v_mul_lo_u32 v10, s45, v4
	v_mul_lo_u32 v11, s44, v5
	v_mad_u64_u32 v[4:5], null, s44, v4, 0
	s_add_u32 s18, s42, s10
	s_addc_u32 s19, s43, s11
	s_add_u32 s10, s48, s10
	s_addc_u32 s11, s49, s11
	s_load_dwordx2 s[18:19], s[18:19], 0x0
	s_load_dwordx2 s[10:11], s[10:11], 0x0
	v_add3_u32 v5, v5, v11, v10
	v_mad_u64_u32 v[6:7], null, s51, v7, v[3:4]
	v_lshlrev_b32_e32 v3, 4, v9
	s_lshl_b64 s[24:25], s[46:47], 4
	v_lshlrev_b64 v[4:5], 4, v[4:5]
	s_lshl_b64 s[12:13], s[12:13], 4
	v_lshl_or_b32 v7, v8, 6, v13
	v_lshl_or_b32 v90, v12, 10, v3
	v_mov_b32_e32 v3, v6
	v_lshlrev_b32_e32 v6, 4, v12
	v_add_co_u32 v4, vcc_lo, v4, s24
	v_add_co_ci_u32_e64 v5, null, s25, v5, vcc_lo
	v_lshlrev_b64 v[2:3], 4, v[2:3]
	v_add_co_u32 v4, vcc_lo, v4, v6
	v_add_co_ci_u32_e64 v5, null, 0, v5, vcc_lo
	s_waitcnt lgkmcnt(0)
	s_add_u32 s10, s10, s12
	v_add_co_u32 v26, vcc_lo, s18, v4
	v_add_co_ci_u32_e64 v27, null, s19, v5, vcc_lo
	s_addc_u32 s11, s11, s13
	v_add_co_u32 v28, vcc_lo, s10, v2
	v_mov_b32_e32 v12, 0
	v_mov_b32_e32 v10, 0
	v_mov_b32_e32 v20, 0
	v_mov_b32_e32 v18, 0
	v_mov_b32_e32 v40, 0
	v_mov_b32_e32 v38, 0
	v_mov_b32_e32 v50, 0
	v_mov_b32_e32 v44, 0
	v_mov_b32_e32 v60, 0
	v_mov_b32_e32 v56, 0
	v_mov_b32_e32 v68, 0
	v_mov_b32_e32 v66, 0
	v_mov_b32_e32 v46, 0
	v_mov_b32_e32 v42, 0
	v_mov_b32_e32 v58, 0
	v_mov_b32_e32 v54, 0
	v_mov_b32_e32 v64, 0
	v_mov_b32_e32 v62, 0
	v_mov_b32_e32 v72, 0
	v_mov_b32_e32 v70, 0
	v_mov_b32_e32 v24, 0
	v_mov_b32_e32 v22, 0
	v_mov_b32_e32 v32, 0
	v_mov_b32_e32 v30, 0
	v_mov_b32_e32 v36, 0
	v_mov_b32_e32 v34, 0
	v_mov_b32_e32 v52, 0
	v_mov_b32_e32 v48, 0
	v_add_nc_u32_e32 v91, 0x1000, v7
	v_lshlrev_b32_e32 v92, 4, v0
	v_lshl_add_u32 v93, v1, 6, 0x1000
	v_mov_b32_e32 v77, 0
	v_mov_b32_e32 v75, 0
	;; [unrolled: 1-line block ×32, first 2 shown]
	v_add_co_ci_u32_e64 v29, null, s11, v3, vcc_lo
	s_lshl_b64 s[10:11], s[50:51], 6
	s_mov_b64 s[12:13], 0
.LBB269_2:                              ; =>This Inner Loop Header: Depth=1
	flat_load_dwordx4 v[2:5], v[26:27]
	s_add_u32 s12, s12, 4
	s_addc_u32 s13, s13, 0
	v_add_co_u32 v26, vcc_lo, v26, 64
	v_cmp_lt_i64_e64 s18, s[12:13], s[36:37]
	v_add_co_ci_u32_e64 v27, null, 0, v27, vcc_lo
	s_waitcnt vmcnt(0) lgkmcnt(0)
	v_xor_b32_e32 v5, 0x80000000, v5
	ds_write_b128 v90, v[2:5]
	flat_load_dwordx4 v[2:5], v[28:29]
	v_add_co_u32 v28, vcc_lo, v28, s10
	v_add_co_ci_u32_e64 v29, null, s11, v29, vcc_lo
	s_and_b32 vcc_lo, exec_lo, s18
	s_waitcnt vmcnt(0) lgkmcnt(0)
	ds_write2_b64 v91, v[2:3], v[4:5] offset1:1
	s_waitcnt lgkmcnt(0)
	s_barrier
	buffer_gl0_inv
	ds_read_b128 v[78:81], v93
	ds_read_b128 v[82:85], v93 offset:16
	ds_read_b128 v[6:9], v93 offset:32
	;; [unrolled: 1-line block ×3, first 2 shown]
	ds_read_b128 v[86:89], v92
	s_waitcnt lgkmcnt(0)
	v_mul_f64 v[94:95], v[80:81], v[88:89]
	v_mul_f64 v[96:97], v[78:79], v[88:89]
	v_fma_f64 v[94:95], v[78:79], v[86:87], -v[94:95]
	v_fma_f64 v[96:97], v[80:81], v[86:87], v[96:97]
	v_add_f64 v[98:99], v[48:49], v[94:95]
	v_add_f64 v[100:101], v[96:97], v[52:53]
	ds_read_b128 v[94:97], v92 offset:256
	s_waitcnt lgkmcnt(0)
	v_mul_f64 v[48:49], v[80:81], v[96:97]
	v_mul_f64 v[52:53], v[78:79], v[96:97]
	v_fma_f64 v[48:49], v[78:79], v[94:95], -v[48:49]
	v_fma_f64 v[52:53], v[80:81], v[94:95], v[52:53]
	v_add_f64 v[102:103], v[34:35], v[48:49]
	v_add_f64 v[104:105], v[52:53], v[36:37]
	ds_read_b128 v[34:37], v92 offset:512
	;; [unrolled: 8-line block ×4, first 2 shown]
	s_waitcnt lgkmcnt(0)
	v_mul_f64 v[48:49], v[24:25], v[88:89]
	v_mul_f64 v[52:53], v[22:23], v[88:89]
	v_fma_f64 v[48:49], v[22:23], v[86:87], -v[48:49]
	v_fma_f64 v[52:53], v[24:25], v[86:87], v[52:53]
	v_add_f64 v[70:71], v[70:71], v[48:49]
	v_mul_f64 v[48:49], v[24:25], v[96:97]
	v_add_f64 v[72:73], v[52:53], v[72:73]
	v_mul_f64 v[52:53], v[22:23], v[96:97]
	v_fma_f64 v[48:49], v[22:23], v[94:95], -v[48:49]
	v_fma_f64 v[52:53], v[24:25], v[94:95], v[52:53]
	v_add_f64 v[110:111], v[62:63], v[48:49]
	v_mul_f64 v[48:49], v[24:25], v[36:37]
	v_add_f64 v[112:113], v[52:53], v[64:65]
	;; [unrolled: 6-line block ×3, first 2 shown]
	v_fma_f64 v[48:49], v[22:23], v[30:31], -v[48:49]
	v_mul_f64 v[22:23], v[22:23], v[32:33]
	v_add_f64 v[118:119], v[42:43], v[48:49]
	v_fma_f64 v[22:23], v[24:25], v[30:31], v[22:23]
	v_add_f64 v[120:121], v[22:23], v[46:47]
	ds_read_b128 v[22:25], v93 offset:2048
	s_waitcnt lgkmcnt(0)
	v_mul_f64 v[42:43], v[24:25], v[88:89]
	v_mul_f64 v[46:47], v[22:23], v[88:89]
	v_fma_f64 v[42:43], v[22:23], v[86:87], -v[42:43]
	v_fma_f64 v[46:47], v[24:25], v[86:87], v[46:47]
	v_add_f64 v[122:123], v[66:67], v[42:43]
	v_mul_f64 v[42:43], v[24:25], v[96:97]
	v_add_f64 v[124:125], v[46:47], v[68:69]
	v_mul_f64 v[46:47], v[22:23], v[96:97]
	v_fma_f64 v[42:43], v[22:23], v[94:95], -v[42:43]
	v_fma_f64 v[46:47], v[24:25], v[94:95], v[46:47]
	v_add_f64 v[126:127], v[56:57], v[42:43]
	v_mul_f64 v[42:43], v[24:25], v[36:37]
	v_add_f64 v[128:129], v[46:47], v[60:61]
	;; [unrolled: 6-line block ×3, first 2 shown]
	v_fma_f64 v[42:43], v[22:23], v[30:31], -v[42:43]
	v_mul_f64 v[22:23], v[22:23], v[32:33]
	v_add_f64 v[134:135], v[38:39], v[42:43]
	v_fma_f64 v[22:23], v[24:25], v[30:31], v[22:23]
	v_add_f64 v[136:137], v[22:23], v[40:41]
	ds_read_b128 v[22:25], v93 offset:3072
	s_waitcnt lgkmcnt(0)
	v_mul_f64 v[38:39], v[24:25], v[88:89]
	v_mul_f64 v[40:41], v[22:23], v[88:89]
	v_fma_f64 v[38:39], v[22:23], v[86:87], -v[38:39]
	v_fma_f64 v[40:41], v[24:25], v[86:87], v[40:41]
	v_add_f64 v[58:59], v[18:19], v[38:39]
	v_add_f64 v[60:61], v[40:41], v[20:21]
	v_mul_f64 v[18:19], v[24:25], v[96:97]
	v_mul_f64 v[20:21], v[22:23], v[96:97]
	v_fma_f64 v[18:19], v[22:23], v[94:95], -v[18:19]
	v_fma_f64 v[20:21], v[24:25], v[94:95], v[20:21]
	v_add_f64 v[54:55], v[14:15], v[18:19]
	v_add_f64 v[56:57], v[20:21], v[16:17]
	v_mul_f64 v[14:15], v[24:25], v[36:37]
	v_mul_f64 v[16:17], v[22:23], v[36:37]
	ds_read_b128 v[18:21], v92 offset:1280
	v_fma_f64 v[14:15], v[22:23], v[34:35], -v[14:15]
	v_fma_f64 v[16:17], v[24:25], v[34:35], v[16:17]
	v_add_f64 v[50:51], v[10:11], v[14:15]
	v_add_f64 v[52:53], v[16:17], v[12:13]
	v_mul_f64 v[10:11], v[24:25], v[32:33]
	v_mul_f64 v[12:13], v[22:23], v[32:33]
	ds_read_b128 v[14:17], v92 offset:1536
	v_fma_f64 v[10:11], v[22:23], v[30:31], -v[10:11]
	v_fma_f64 v[12:13], v[24:25], v[30:31], v[12:13]
	ds_read_b128 v[22:25], v92 offset:1024
	v_add_f64 v[46:47], v[74:75], v[10:11]
	v_add_f64 v[48:49], v[12:13], v[76:77]
	s_waitcnt lgkmcnt(0)
	v_mul_f64 v[10:11], v[84:85], v[24:25]
	v_mul_f64 v[12:13], v[82:83], v[24:25]
	ds_read_b128 v[74:77], v93 offset:1040
	v_fma_f64 v[10:11], v[82:83], v[22:23], -v[10:11]
	v_fma_f64 v[12:13], v[84:85], v[22:23], v[12:13]
	s_waitcnt lgkmcnt(0)
	v_mul_f64 v[62:63], v[76:77], v[24:25]
	v_mul_f64 v[64:65], v[74:75], v[24:25]
	;; [unrolled: 1-line block ×4, first 2 shown]
	v_add_f64 v[42:43], v[98:99], v[10:11]
	v_add_f64 v[44:45], v[12:13], v[100:101]
	v_mul_f64 v[10:11], v[84:85], v[20:21]
	v_mul_f64 v[12:13], v[82:83], v[20:21]
	v_fma_f64 v[62:63], v[74:75], v[22:23], -v[62:63]
	v_fma_f64 v[64:65], v[76:77], v[22:23], v[64:65]
	v_fma_f64 v[66:67], v[74:75], v[18:19], -v[66:67]
	v_fma_f64 v[68:69], v[76:77], v[18:19], v[68:69]
	;; [unrolled: 2-line block ×3, first 2 shown]
	v_add_f64 v[62:63], v[70:71], v[62:63]
	v_mul_f64 v[70:71], v[76:77], v[16:17]
	v_add_f64 v[64:65], v[64:65], v[72:73]
	v_mul_f64 v[72:73], v[74:75], v[16:17]
	v_add_f64 v[66:67], v[110:111], v[66:67]
	v_add_f64 v[68:69], v[68:69], v[112:113]
	;; [unrolled: 1-line block ×4, first 2 shown]
	v_mul_f64 v[10:11], v[84:85], v[16:17]
	v_mul_f64 v[12:13], v[82:83], v[16:17]
	v_fma_f64 v[70:71], v[74:75], v[14:15], -v[70:71]
	v_fma_f64 v[72:73], v[76:77], v[14:15], v[72:73]
	v_fma_f64 v[10:11], v[82:83], v[14:15], -v[10:11]
	v_fma_f64 v[12:13], v[84:85], v[14:15], v[12:13]
	v_add_f64 v[70:71], v[114:115], v[70:71]
	v_add_f64 v[72:73], v[72:73], v[116:117]
	v_add_f64 v[34:35], v[106:107], v[10:11]
	v_add_f64 v[36:37], v[12:13], v[108:109]
	ds_read_b128 v[10:13], v92 offset:1792
	s_waitcnt lgkmcnt(0)
	v_mul_f64 v[30:31], v[84:85], v[12:13]
	v_mul_f64 v[32:33], v[82:83], v[12:13]
	v_fma_f64 v[30:31], v[82:83], v[10:11], -v[30:31]
	v_fma_f64 v[32:33], v[84:85], v[10:11], v[32:33]
	v_add_f64 v[30:31], v[78:79], v[30:31]
	v_mul_f64 v[78:79], v[76:77], v[12:13]
	v_add_f64 v[32:33], v[32:33], v[80:81]
	v_fma_f64 v[78:79], v[74:75], v[10:11], -v[78:79]
	v_mul_f64 v[74:75], v[74:75], v[12:13]
	v_fma_f64 v[76:77], v[76:77], v[10:11], v[74:75]
	v_add_f64 v[74:75], v[118:119], v[78:79]
	ds_read_b128 v[78:81], v93 offset:2064
	s_waitcnt lgkmcnt(0)
	v_mul_f64 v[82:83], v[80:81], v[24:25]
	v_mul_f64 v[86:87], v[80:81], v[20:21]
	;; [unrolled: 1-line block ×7, first 2 shown]
	v_add_f64 v[76:77], v[76:77], v[120:121]
	v_fma_f64 v[82:83], v[78:79], v[22:23], -v[82:83]
	v_fma_f64 v[86:87], v[78:79], v[18:19], -v[86:87]
	;; [unrolled: 1-line block ×4, first 2 shown]
	v_mul_f64 v[78:79], v[78:79], v[12:13]
	v_fma_f64 v[84:85], v[80:81], v[22:23], v[84:85]
	v_fma_f64 v[88:89], v[80:81], v[18:19], v[88:89]
	;; [unrolled: 1-line block ×3, first 2 shown]
	v_add_f64 v[82:83], v[122:123], v[82:83]
	v_add_f64 v[86:87], v[126:127], v[86:87]
	v_add_f64 v[94:95], v[130:131], v[94:95]
	v_add_f64 v[98:99], v[134:135], v[98:99]
	v_fma_f64 v[78:79], v[80:81], v[10:11], v[78:79]
	v_add_f64 v[84:85], v[84:85], v[124:125]
	v_add_f64 v[88:89], v[88:89], v[128:129]
	;; [unrolled: 1-line block ×4, first 2 shown]
	ds_read_b128 v[78:81], v93 offset:3088
	s_waitcnt lgkmcnt(0)
	v_mul_f64 v[102:103], v[80:81], v[24:25]
	v_mul_f64 v[24:25], v[78:79], v[24:25]
	v_fma_f64 v[102:103], v[78:79], v[22:23], -v[102:103]
	v_fma_f64 v[22:23], v[80:81], v[22:23], v[24:25]
	v_add_f64 v[58:59], v[58:59], v[102:103]
	v_add_f64 v[60:61], v[22:23], v[60:61]
	v_mul_f64 v[22:23], v[80:81], v[20:21]
	v_mul_f64 v[20:21], v[78:79], v[20:21]
	v_fma_f64 v[22:23], v[78:79], v[18:19], -v[22:23]
	v_fma_f64 v[18:19], v[80:81], v[18:19], v[20:21]
	v_add_f64 v[54:55], v[54:55], v[22:23]
	v_add_f64 v[56:57], v[18:19], v[56:57]
	v_mul_f64 v[18:19], v[80:81], v[16:17]
	v_mul_f64 v[16:17], v[78:79], v[16:17]
	v_fma_f64 v[18:19], v[78:79], v[14:15], -v[18:19]
	v_fma_f64 v[14:15], v[80:81], v[14:15], v[16:17]
	v_add_f64 v[50:51], v[50:51], v[18:19]
	v_add_f64 v[52:53], v[14:15], v[52:53]
	v_mul_f64 v[14:15], v[80:81], v[12:13]
	v_mul_f64 v[12:13], v[78:79], v[12:13]
	v_fma_f64 v[14:15], v[78:79], v[10:11], -v[14:15]
	v_fma_f64 v[10:11], v[80:81], v[10:11], v[12:13]
	v_add_f64 v[46:47], v[46:47], v[14:15]
	v_add_f64 v[48:49], v[10:11], v[48:49]
	ds_read_b128 v[10:13], v92 offset:2048
	s_waitcnt lgkmcnt(0)
	v_mul_f64 v[14:15], v[8:9], v[12:13]
	v_mul_f64 v[16:17], v[6:7], v[12:13]
	v_fma_f64 v[14:15], v[6:7], v[10:11], -v[14:15]
	v_fma_f64 v[16:17], v[8:9], v[10:11], v[16:17]
	v_add_f64 v[42:43], v[42:43], v[14:15]
	v_add_f64 v[44:45], v[16:17], v[44:45]
	ds_read_b128 v[14:17], v92 offset:2304
	s_waitcnt lgkmcnt(0)
	v_mul_f64 v[18:19], v[8:9], v[16:17]
	v_mul_f64 v[20:21], v[6:7], v[16:17]
	v_fma_f64 v[18:19], v[6:7], v[14:15], -v[18:19]
	v_fma_f64 v[20:21], v[8:9], v[14:15], v[20:21]
	v_add_f64 v[38:39], v[38:39], v[18:19]
	v_add_f64 v[40:41], v[20:21], v[40:41]
	;; [unrolled: 8-line block ×3, first 2 shown]
	ds_read_b128 v[22:25], v92 offset:2816
	s_waitcnt lgkmcnt(0)
	v_mul_f64 v[34:35], v[8:9], v[24:25]
	v_fma_f64 v[34:35], v[6:7], v[22:23], -v[34:35]
	v_mul_f64 v[6:7], v[6:7], v[24:25]
	v_add_f64 v[106:107], v[30:31], v[34:35]
	v_fma_f64 v[6:7], v[8:9], v[22:23], v[6:7]
	v_add_f64 v[108:109], v[6:7], v[32:33]
	ds_read_b128 v[6:9], v93 offset:1056
	s_waitcnt lgkmcnt(0)
	v_mul_f64 v[30:31], v[8:9], v[12:13]
	v_mul_f64 v[32:33], v[6:7], v[12:13]
	v_fma_f64 v[30:31], v[6:7], v[10:11], -v[30:31]
	v_fma_f64 v[32:33], v[8:9], v[10:11], v[32:33]
	v_add_f64 v[62:63], v[62:63], v[30:31]
	v_mul_f64 v[30:31], v[8:9], v[16:17]
	v_add_f64 v[64:65], v[32:33], v[64:65]
	v_mul_f64 v[32:33], v[6:7], v[16:17]
	v_fma_f64 v[30:31], v[6:7], v[14:15], -v[30:31]
	v_fma_f64 v[32:33], v[8:9], v[14:15], v[32:33]
	v_add_f64 v[66:67], v[66:67], v[30:31]
	v_mul_f64 v[30:31], v[8:9], v[20:21]
	v_add_f64 v[68:69], v[32:33], v[68:69]
	;; [unrolled: 6-line block ×3, first 2 shown]
	v_fma_f64 v[30:31], v[6:7], v[22:23], -v[30:31]
	v_mul_f64 v[6:7], v[6:7], v[24:25]
	v_add_f64 v[114:115], v[74:75], v[30:31]
	v_fma_f64 v[6:7], v[8:9], v[22:23], v[6:7]
	v_add_f64 v[116:117], v[6:7], v[76:77]
	ds_read_b128 v[6:9], v93 offset:2080
	s_waitcnt lgkmcnt(0)
	v_mul_f64 v[30:31], v[8:9], v[12:13]
	v_mul_f64 v[32:33], v[6:7], v[12:13]
	v_fma_f64 v[30:31], v[6:7], v[10:11], -v[30:31]
	v_fma_f64 v[32:33], v[8:9], v[10:11], v[32:33]
	v_add_f64 v[118:119], v[82:83], v[30:31]
	v_mul_f64 v[30:31], v[8:9], v[16:17]
	v_add_f64 v[120:121], v[32:33], v[84:85]
	v_mul_f64 v[32:33], v[6:7], v[16:17]
	v_fma_f64 v[30:31], v[6:7], v[14:15], -v[30:31]
	v_fma_f64 v[32:33], v[8:9], v[14:15], v[32:33]
	v_add_f64 v[122:123], v[86:87], v[30:31]
	v_mul_f64 v[30:31], v[8:9], v[20:21]
	v_add_f64 v[124:125], v[32:33], v[88:89]
	;; [unrolled: 6-line block ×3, first 2 shown]
	v_fma_f64 v[30:31], v[6:7], v[22:23], -v[30:31]
	v_mul_f64 v[6:7], v[6:7], v[24:25]
	v_add_f64 v[98:99], v[98:99], v[30:31]
	v_fma_f64 v[6:7], v[8:9], v[22:23], v[6:7]
	v_add_f64 v[100:101], v[6:7], v[100:101]
	ds_read_b128 v[6:9], v93 offset:3104
	s_waitcnt lgkmcnt(0)
	v_mul_f64 v[30:31], v[8:9], v[12:13]
	v_mul_f64 v[12:13], v[6:7], v[12:13]
	v_fma_f64 v[30:31], v[6:7], v[10:11], -v[30:31]
	v_fma_f64 v[10:11], v[8:9], v[10:11], v[12:13]
	v_mul_f64 v[12:13], v[6:7], v[16:17]
	v_add_f64 v[86:87], v[58:59], v[30:31]
	v_add_f64 v[88:89], v[10:11], v[60:61]
	v_mul_f64 v[10:11], v[8:9], v[16:17]
	v_fma_f64 v[12:13], v[8:9], v[14:15], v[12:13]
	v_fma_f64 v[10:11], v[6:7], v[14:15], -v[10:11]
	v_add_f64 v[84:85], v[12:13], v[56:57]
	v_mul_f64 v[12:13], v[6:7], v[20:21]
	ds_read_b128 v[14:17], v92 offset:3328
	v_add_f64 v[82:83], v[54:55], v[10:11]
	v_mul_f64 v[10:11], v[8:9], v[20:21]
	v_fma_f64 v[12:13], v[8:9], v[18:19], v[12:13]
	v_fma_f64 v[10:11], v[6:7], v[18:19], -v[10:11]
	ds_read_b128 v[18:21], v92 offset:3072
	v_add_f64 v[80:81], v[12:13], v[52:53]
	v_add_f64 v[78:79], v[50:51], v[10:11]
	v_mul_f64 v[10:11], v[8:9], v[24:25]
	v_fma_f64 v[10:11], v[6:7], v[22:23], -v[10:11]
	v_mul_f64 v[6:7], v[6:7], v[24:25]
	v_add_f64 v[74:75], v[46:47], v[10:11]
	v_fma_f64 v[6:7], v[8:9], v[22:23], v[6:7]
	s_waitcnt lgkmcnt(0)
	v_mul_f64 v[8:9], v[2:3], v[20:21]
	ds_read_b128 v[10:13], v92 offset:3584
	v_add_f64 v[76:77], v[6:7], v[48:49]
	v_mul_f64 v[6:7], v[4:5], v[20:21]
	v_fma_f64 v[8:9], v[4:5], v[18:19], v[8:9]
	v_fma_f64 v[6:7], v[2:3], v[18:19], -v[6:7]
	v_add_f64 v[52:53], v[8:9], v[44:45]
	v_mul_f64 v[8:9], v[2:3], v[16:17]
	v_add_f64 v[48:49], v[42:43], v[6:7]
	v_mul_f64 v[6:7], v[4:5], v[16:17]
	v_fma_f64 v[8:9], v[4:5], v[14:15], v[8:9]
	v_fma_f64 v[6:7], v[2:3], v[14:15], -v[6:7]
	v_add_f64 v[36:37], v[8:9], v[40:41]
	s_waitcnt lgkmcnt(0)
	v_mul_f64 v[8:9], v[2:3], v[12:13]
	v_add_f64 v[34:35], v[38:39], v[6:7]
	v_mul_f64 v[6:7], v[4:5], v[12:13]
	v_fma_f64 v[8:9], v[4:5], v[10:11], v[8:9]
	v_fma_f64 v[6:7], v[2:3], v[10:11], -v[6:7]
	v_add_f64 v[32:33], v[8:9], v[104:105]
	v_add_f64 v[30:31], v[102:103], v[6:7]
	ds_read_b128 v[6:9], v92 offset:3840
	s_waitcnt lgkmcnt(0)
	v_mul_f64 v[22:23], v[4:5], v[8:9]
	v_fma_f64 v[22:23], v[2:3], v[6:7], -v[22:23]
	v_mul_f64 v[2:3], v[2:3], v[8:9]
	v_add_f64 v[22:23], v[106:107], v[22:23]
	v_fma_f64 v[2:3], v[4:5], v[6:7], v[2:3]
	v_add_f64 v[24:25], v[2:3], v[108:109]
	ds_read_b128 v[2:5], v93 offset:1072
	s_waitcnt lgkmcnt(0)
	v_mul_f64 v[38:39], v[4:5], v[20:21]
	v_mul_f64 v[40:41], v[2:3], v[20:21]
	v_fma_f64 v[38:39], v[2:3], v[18:19], -v[38:39]
	v_fma_f64 v[40:41], v[4:5], v[18:19], v[40:41]
	v_add_f64 v[70:71], v[62:63], v[38:39]
	v_mul_f64 v[38:39], v[4:5], v[16:17]
	v_add_f64 v[72:73], v[40:41], v[64:65]
	v_mul_f64 v[40:41], v[2:3], v[16:17]
	v_fma_f64 v[38:39], v[2:3], v[14:15], -v[38:39]
	v_fma_f64 v[40:41], v[4:5], v[14:15], v[40:41]
	v_add_f64 v[62:63], v[66:67], v[38:39]
	v_mul_f64 v[38:39], v[4:5], v[12:13]
	v_add_f64 v[64:65], v[40:41], v[68:69]
	;; [unrolled: 6-line block ×3, first 2 shown]
	v_fma_f64 v[38:39], v[2:3], v[6:7], -v[38:39]
	v_mul_f64 v[2:3], v[2:3], v[8:9]
	v_add_f64 v[42:43], v[114:115], v[38:39]
	v_fma_f64 v[2:3], v[4:5], v[6:7], v[2:3]
	v_add_f64 v[46:47], v[2:3], v[116:117]
	ds_read_b128 v[2:5], v93 offset:2096
	s_waitcnt lgkmcnt(0)
	v_mul_f64 v[38:39], v[4:5], v[20:21]
	v_mul_f64 v[40:41], v[2:3], v[20:21]
	v_fma_f64 v[38:39], v[2:3], v[18:19], -v[38:39]
	v_fma_f64 v[40:41], v[4:5], v[18:19], v[40:41]
	v_add_f64 v[66:67], v[118:119], v[38:39]
	v_mul_f64 v[38:39], v[4:5], v[16:17]
	v_add_f64 v[68:69], v[40:41], v[120:121]
	v_mul_f64 v[40:41], v[2:3], v[16:17]
	v_fma_f64 v[38:39], v[2:3], v[14:15], -v[38:39]
	v_fma_f64 v[40:41], v[4:5], v[14:15], v[40:41]
	v_add_f64 v[56:57], v[122:123], v[38:39]
	v_mul_f64 v[38:39], v[4:5], v[12:13]
	v_add_f64 v[60:61], v[40:41], v[124:125]
	;; [unrolled: 6-line block ×3, first 2 shown]
	v_fma_f64 v[38:39], v[2:3], v[6:7], -v[38:39]
	v_mul_f64 v[2:3], v[2:3], v[8:9]
	v_add_f64 v[38:39], v[98:99], v[38:39]
	v_fma_f64 v[2:3], v[4:5], v[6:7], v[2:3]
	v_add_f64 v[40:41], v[2:3], v[100:101]
	ds_read_b128 v[2:5], v93 offset:3120
	s_waitcnt lgkmcnt(0)
	s_barrier
	buffer_gl0_inv
	v_mul_f64 v[94:95], v[4:5], v[20:21]
	v_mul_f64 v[20:21], v[2:3], v[20:21]
	v_fma_f64 v[94:95], v[2:3], v[18:19], -v[94:95]
	v_fma_f64 v[20:21], v[4:5], v[18:19], v[20:21]
	v_add_f64 v[18:19], v[86:87], v[94:95]
	v_mul_f64 v[86:87], v[4:5], v[16:17]
	v_mul_f64 v[16:17], v[2:3], v[16:17]
	v_add_f64 v[20:21], v[20:21], v[88:89]
	v_fma_f64 v[86:87], v[2:3], v[14:15], -v[86:87]
	v_fma_f64 v[16:17], v[4:5], v[14:15], v[16:17]
	v_add_f64 v[14:15], v[82:83], v[86:87]
	v_mul_f64 v[82:83], v[4:5], v[12:13]
	v_mul_f64 v[12:13], v[2:3], v[12:13]
	v_add_f64 v[16:17], v[16:17], v[84:85]
	v_fma_f64 v[82:83], v[2:3], v[10:11], -v[82:83]
	v_fma_f64 v[12:13], v[4:5], v[10:11], v[12:13]
	v_add_f64 v[10:11], v[78:79], v[82:83]
	v_mul_f64 v[78:79], v[4:5], v[8:9]
	v_add_f64 v[12:13], v[12:13], v[80:81]
	v_fma_f64 v[78:79], v[2:3], v[6:7], -v[78:79]
	v_mul_f64 v[2:3], v[2:3], v[8:9]
	v_add_f64 v[74:75], v[74:75], v[78:79]
	v_fma_f64 v[2:3], v[4:5], v[6:7], v[2:3]
	v_add_f64 v[76:77], v[2:3], v[76:77]
	s_cbranch_vccnz .LBB269_2
	s_branch .LBB269_4
.LBB269_3:
	v_mov_b32_e32 v48, 0
	v_mov_b32_e32 v52, 0
	;; [unrolled: 1-line block ×64, first 2 shown]
.LBB269_4:
	s_load_dwordx2 s[4:5], s[4:5], 0x90
	v_cmp_neq_f64_e64 s10, s[14:15], 0
	v_cmp_neq_f64_e64 s11, s[16:17], 0
	v_add_co_u32 v6, s8, s8, v1
	v_add_co_ci_u32_e64 v7, null, s9, 0, s8
	s_waitcnt lgkmcnt(0)
	s_lshl_b64 s[4:5], s[4:5], 4
	s_add_u32 s4, s2, s4
	s_addc_u32 s5, s3, s5
	v_add_co_u32 v0, s3, s6, v0
	v_add_co_ci_u32_e64 v1, null, s7, 0, s3
	s_or_b32 s2, s10, s11
	s_and_b32 vcc_lo, exec_lo, s2
	s_cbranch_vccnz .LBB269_6
; %bb.5:
	v_mul_f64 v[4:5], s[40:41], v[52:53]
	v_mul_f64 v[8:9], s[38:39], v[52:53]
	v_mul_lo_u32 v78, v7, s26
	v_mul_lo_u32 v79, v6, s27
	v_mad_u64_u32 v[2:3], null, v6, s26, 0
	v_mul_f64 v[26:27], s[40:41], v[36:37]
	v_mul_f64 v[28:29], s[38:39], v[36:37]
	;; [unrolled: 1-line block ×6, first 2 shown]
	v_add3_u32 v3, v3, v79, v78
	v_mul_f64 v[78:79], s[40:41], v[32:33]
	v_mul_f64 v[88:89], s[38:39], v[72:73]
	;; [unrolled: 1-line block ×4, first 2 shown]
	v_lshlrev_b64 v[2:3], 4, v[2:3]
	v_mul_f64 v[94:95], s[40:41], v[58:59]
	v_mul_f64 v[96:97], s[38:39], v[58:59]
	;; [unrolled: 1-line block ×4, first 2 shown]
	s_lshl_b64 s[2:3], s[26:27], 8
	v_add_co_u32 v104, vcc_lo, s4, v2
	v_add_co_ci_u32_e64 v105, null, s5, v3, vcc_lo
	v_fma_f64 v[2:3], s[38:39], v[48:49], -v[4:5]
	v_fma_f64 v[4:5], s[40:41], v[48:49], v[8:9]
	v_lshlrev_b64 v[8:9], 4, v[0:1]
	v_fma_f64 v[26:27], s[38:39], v[34:35], -v[26:27]
	v_fma_f64 v[28:29], s[40:41], v[34:35], v[28:29]
	v_fma_f64 v[80:81], s[40:41], v[30:31], v[80:81]
	v_fma_f64 v[82:83], s[38:39], v[22:23], -v[82:83]
	v_fma_f64 v[84:85], s[40:41], v[22:23], v[84:85]
	v_add_co_u32 v102, vcc_lo, v104, v8
	v_fma_f64 v[78:79], s[38:39], v[30:31], -v[78:79]
	v_add_co_ci_u32_e64 v103, null, v105, v9, vcc_lo
	v_fma_f64 v[86:87], s[38:39], v[70:71], -v[86:87]
	v_fma_f64 v[88:89], s[40:41], v[70:71], v[88:89]
	v_fma_f64 v[90:91], s[38:39], v[62:63], -v[90:91]
	v_fma_f64 v[92:93], s[40:41], v[62:63], v[92:93]
	;; [unrolled: 2-line block ×3, first 2 shown]
	v_add_co_u32 v106, vcc_lo, v104, s2
	v_add_co_ci_u32_e64 v107, null, s3, v105, vcc_lo
	flat_store_dwordx4 v[102:103], v[2:5]
	v_fma_f64 v[2:3], s[38:39], v[42:43], -v[98:99]
	v_fma_f64 v[4:5], s[40:41], v[42:43], v[100:101]
	v_add_co_u32 v104, vcc_lo, v106, v8
	v_add_co_ci_u32_e64 v105, null, v107, v9, vcc_lo
	flat_store_dwordx4 v[102:103], v[26:29] offset:256
	flat_store_dwordx4 v[102:103], v[78:81] offset:512
	;; [unrolled: 1-line block ×3, first 2 shown]
	flat_store_dwordx4 v[104:105], v[86:89]
	flat_store_dwordx4 v[104:105], v[90:93] offset:256
	flat_store_dwordx4 v[104:105], v[94:97] offset:512
	v_mul_f64 v[26:27], s[40:41], v[68:69]
	v_mul_f64 v[28:29], s[38:39], v[68:69]
	;; [unrolled: 1-line block ×12, first 2 shown]
	flat_store_dwordx4 v[104:105], v[2:5] offset:768
	v_mul_f64 v[2:3], s[40:41], v[76:77]
	v_mul_f64 v[4:5], s[38:39], v[76:77]
	;; [unrolled: 1-line block ×4, first 2 shown]
	v_add_co_u32 v104, vcc_lo, v106, s2
	v_add_co_ci_u32_e64 v105, null, s3, v107, vcc_lo
	v_fma_f64 v[26:27], s[38:39], v[66:67], -v[26:27]
	v_fma_f64 v[28:29], s[40:41], v[66:67], v[28:29]
	v_fma_f64 v[78:79], s[38:39], v[56:57], -v[78:79]
	v_fma_f64 v[80:81], s[40:41], v[56:57], v[80:81]
	;; [unrolled: 2-line block ×6, first 2 shown]
	v_add_co_u32 v106, vcc_lo, v104, s2
	v_fma_f64 v[102:103], s[38:39], v[74:75], -v[2:3]
	v_fma_f64 v[2:3], s[40:41], v[74:75], v[4:5]
	v_fma_f64 v[98:99], s[38:39], v[10:11], -v[98:99]
	v_fma_f64 v[100:101], s[40:41], v[10:11], v[100:101]
	v_add_co_ci_u32_e64 v107, null, s3, v105, vcc_lo
	v_add_co_u32 v4, vcc_lo, v104, v8
	v_add_co_ci_u32_e64 v5, null, v105, v9, vcc_lo
	v_add_co_u32 v8, vcc_lo, v106, v8
	v_add_co_ci_u32_e64 v9, null, v107, v9, vcc_lo
	flat_store_dwordx4 v[4:5], v[26:29]
	flat_store_dwordx4 v[4:5], v[78:81] offset:256
	flat_store_dwordx4 v[4:5], v[82:85] offset:512
	;; [unrolled: 1-line block ×3, first 2 shown]
	flat_store_dwordx4 v[8:9], v[90:93]
	v_add_co_u32 v4, vcc_lo, 0x300, v8
	v_add_co_ci_u32_e64 v5, null, 0, v9, vcc_lo
	flat_store_dwordx4 v[8:9], v[94:97] offset:256
	flat_store_dwordx4 v[8:9], v[98:101] offset:512
	flat_store_dwordx2 v[8:9], v[102:103] offset:768
	s_cbranch_execz .LBB269_7
	s_branch .LBB269_8
.LBB269_6:
                                        ; implicit-def: $vgpr2_vgpr3
                                        ; implicit-def: $vgpr4_vgpr5
.LBB269_7:
	v_mul_lo_u32 v4, v7, s20
	v_mul_lo_u32 v5, v6, s21
	v_mad_u64_u32 v[2:3], null, v6, s20, 0
	s_lshl_b64 s[2:3], s[22:23], 4
	v_mul_f64 v[26:27], s[40:41], v[52:53]
	s_add_u32 s0, s0, s2
	s_addc_u32 s1, s1, s3
	v_mul_f64 v[28:29], s[38:39], v[52:53]
	s_lshl_b64 s[2:3], s[26:27], 8
	v_add3_u32 v3, v3, v5, v4
	v_lshlrev_b64 v[4:5], 4, v[0:1]
	v_lshlrev_b64 v[2:3], 4, v[2:3]
	v_add_co_u32 v78, vcc_lo, s0, v2
	v_add_co_ci_u32_e64 v79, null, s1, v3, vcc_lo
	s_lshl_b64 s[0:1], s[20:21], 8
	v_add_co_u32 v8, vcc_lo, v78, v4
	v_add_co_ci_u32_e64 v9, null, v79, v5, vcc_lo
	v_fma_f64 v[26:27], s[38:39], v[48:49], -v[26:27]
	v_fma_f64 v[28:29], s[40:41], v[48:49], v[28:29]
	flat_load_dwordx4 v[0:3], v[8:9]
	s_waitcnt vmcnt(0) lgkmcnt(0)
	v_mul_f64 v[52:53], s[16:17], v[2:3]
	v_mul_f64 v[2:3], s[14:15], v[2:3]
	v_fma_f64 v[48:49], s[14:15], v[0:1], -v[52:53]
	v_fma_f64 v[2:3], s[16:17], v[0:1], v[2:3]
	v_mul_lo_u32 v0, v7, s26
	v_mul_lo_u32 v1, v6, s27
	v_mad_u64_u32 v[6:7], null, v6, s26, 0
	v_add3_u32 v7, v7, v1, v0
	v_lshlrev_b64 v[6:7], 4, v[6:7]
	v_add_f64 v[0:1], v[26:27], v[48:49]
	v_add_f64 v[2:3], v[28:29], v[2:3]
	v_add_co_u32 v48, vcc_lo, s4, v6
	v_add_co_ci_u32_e64 v49, null, s5, v7, vcc_lo
	v_mul_f64 v[26:27], s[40:41], v[36:37]
	v_add_co_u32 v6, vcc_lo, v48, v4
	v_add_co_ci_u32_e64 v7, null, v49, v5, vcc_lo
	v_mul_f64 v[28:29], s[38:39], v[36:37]
	flat_store_dwordx4 v[6:7], v[0:3]
	flat_load_dwordx4 v[0:3], v[8:9] offset:256
	v_fma_f64 v[26:27], s[38:39], v[34:35], -v[26:27]
	v_fma_f64 v[28:29], s[40:41], v[34:35], v[28:29]
	s_waitcnt vmcnt(0) lgkmcnt(0)
	v_mul_f64 v[36:37], s[16:17], v[2:3]
	v_mul_f64 v[2:3], s[14:15], v[2:3]
	v_fma_f64 v[34:35], s[14:15], v[0:1], -v[36:37]
	v_fma_f64 v[2:3], s[16:17], v[0:1], v[2:3]
	v_add_f64 v[0:1], v[26:27], v[34:35]
	v_add_f64 v[2:3], v[28:29], v[2:3]
	v_mul_f64 v[26:27], s[40:41], v[32:33]
	v_mul_f64 v[28:29], s[38:39], v[32:33]
	flat_store_dwordx4 v[6:7], v[0:3] offset:256
	flat_load_dwordx4 v[0:3], v[8:9] offset:512
	v_fma_f64 v[26:27], s[38:39], v[30:31], -v[26:27]
	v_fma_f64 v[28:29], s[40:41], v[30:31], v[28:29]
	s_waitcnt vmcnt(0) lgkmcnt(0)
	v_mul_f64 v[32:33], s[16:17], v[2:3]
	v_mul_f64 v[2:3], s[14:15], v[2:3]
	v_fma_f64 v[30:31], s[14:15], v[0:1], -v[32:33]
	v_fma_f64 v[2:3], s[16:17], v[0:1], v[2:3]
	v_add_f64 v[0:1], v[26:27], v[30:31]
	v_add_f64 v[2:3], v[28:29], v[2:3]
	v_add_co_u32 v28, vcc_lo, v78, s0
	v_add_co_ci_u32_e64 v29, null, s1, v79, vcc_lo
	flat_store_dwordx4 v[6:7], v[0:3] offset:512
	flat_load_dwordx4 v[0:3], v[8:9] offset:768
	v_mul_f64 v[8:9], s[40:41], v[24:25]
	v_mul_f64 v[24:25], s[38:39], v[24:25]
	v_fma_f64 v[8:9], s[38:39], v[22:23], -v[8:9]
	v_fma_f64 v[22:23], s[40:41], v[22:23], v[24:25]
	s_waitcnt vmcnt(0) lgkmcnt(0)
	v_mul_f64 v[26:27], s[16:17], v[2:3]
	v_mul_f64 v[2:3], s[14:15], v[2:3]
	v_fma_f64 v[24:25], s[14:15], v[0:1], -v[26:27]
	v_fma_f64 v[2:3], s[16:17], v[0:1], v[2:3]
	v_add_f64 v[0:1], v[8:9], v[24:25]
	v_add_f64 v[2:3], v[22:23], v[2:3]
	v_add_co_u32 v8, vcc_lo, v28, v4
	v_add_co_ci_u32_e64 v9, null, v29, v5, vcc_lo
	v_mul_f64 v[22:23], s[38:39], v[72:73]
	v_add_co_u32 v30, vcc_lo, v48, s2
	v_add_co_ci_u32_e64 v31, null, s3, v49, vcc_lo
	flat_store_dwordx4 v[6:7], v[0:3] offset:768
	flat_load_dwordx4 v[0:3], v[8:9]
	v_mul_f64 v[6:7], s[40:41], v[72:73]
	v_fma_f64 v[22:23], s[40:41], v[70:71], v[22:23]
	v_fma_f64 v[6:7], s[38:39], v[70:71], -v[6:7]
	s_waitcnt vmcnt(0) lgkmcnt(0)
	v_mul_f64 v[24:25], s[16:17], v[2:3]
	v_mul_f64 v[2:3], s[14:15], v[2:3]
	v_fma_f64 v[24:25], s[14:15], v[0:1], -v[24:25]
	v_fma_f64 v[2:3], s[16:17], v[0:1], v[2:3]
	v_add_f64 v[0:1], v[6:7], v[24:25]
	v_add_f64 v[2:3], v[22:23], v[2:3]
	v_add_co_u32 v6, vcc_lo, v30, v4
	v_add_co_ci_u32_e64 v7, null, v31, v5, vcc_lo
	v_mul_f64 v[22:23], s[40:41], v[64:65]
	v_mul_f64 v[24:25], s[38:39], v[64:65]
	v_add_co_u32 v28, vcc_lo, v28, s0
	v_add_co_ci_u32_e64 v29, null, s1, v29, vcc_lo
	flat_store_dwordx4 v[6:7], v[0:3]
	flat_load_dwordx4 v[0:3], v[8:9] offset:256
	v_fma_f64 v[22:23], s[38:39], v[62:63], -v[22:23]
	v_fma_f64 v[24:25], s[40:41], v[62:63], v[24:25]
	s_waitcnt vmcnt(0) lgkmcnt(0)
	v_mul_f64 v[26:27], s[16:17], v[2:3]
	v_mul_f64 v[2:3], s[14:15], v[2:3]
	v_fma_f64 v[26:27], s[14:15], v[0:1], -v[26:27]
	v_fma_f64 v[2:3], s[16:17], v[0:1], v[2:3]
	v_add_f64 v[0:1], v[22:23], v[26:27]
	v_add_f64 v[2:3], v[24:25], v[2:3]
	v_mul_f64 v[22:23], s[40:41], v[58:59]
	v_mul_f64 v[24:25], s[38:39], v[58:59]
	flat_store_dwordx4 v[6:7], v[0:3] offset:256
	flat_load_dwordx4 v[0:3], v[8:9] offset:512
	v_fma_f64 v[22:23], s[38:39], v[54:55], -v[22:23]
	v_fma_f64 v[24:25], s[40:41], v[54:55], v[24:25]
	s_waitcnt vmcnt(0) lgkmcnt(0)
	v_mul_f64 v[26:27], s[16:17], v[2:3]
	v_mul_f64 v[2:3], s[14:15], v[2:3]
	v_fma_f64 v[26:27], s[14:15], v[0:1], -v[26:27]
	v_fma_f64 v[2:3], s[16:17], v[0:1], v[2:3]
	v_add_f64 v[0:1], v[22:23], v[26:27]
	v_add_f64 v[2:3], v[24:25], v[2:3]
	v_mul_f64 v[22:23], s[38:39], v[46:47]
	flat_store_dwordx4 v[6:7], v[0:3] offset:512
	flat_load_dwordx4 v[0:3], v[8:9] offset:768
	v_mul_f64 v[8:9], s[40:41], v[46:47]
	v_fma_f64 v[22:23], s[40:41], v[42:43], v[22:23]
	v_fma_f64 v[8:9], s[38:39], v[42:43], -v[8:9]
	s_waitcnt vmcnt(0) lgkmcnt(0)
	v_mul_f64 v[24:25], s[16:17], v[2:3]
	v_mul_f64 v[2:3], s[14:15], v[2:3]
	v_fma_f64 v[24:25], s[14:15], v[0:1], -v[24:25]
	v_fma_f64 v[2:3], s[16:17], v[0:1], v[2:3]
	v_add_f64 v[0:1], v[8:9], v[24:25]
	v_add_f64 v[2:3], v[22:23], v[2:3]
	v_add_co_u32 v8, vcc_lo, v28, v4
	v_add_co_ci_u32_e64 v9, null, v29, v5, vcc_lo
	v_mul_f64 v[22:23], s[38:39], v[68:69]
	v_add_co_u32 v30, vcc_lo, v30, s2
	v_add_co_ci_u32_e64 v31, null, s3, v31, vcc_lo
	flat_store_dwordx4 v[6:7], v[0:3] offset:768
	flat_load_dwordx4 v[0:3], v[8:9]
	v_mul_f64 v[6:7], s[40:41], v[68:69]
	v_fma_f64 v[22:23], s[40:41], v[66:67], v[22:23]
	v_fma_f64 v[6:7], s[38:39], v[66:67], -v[6:7]
	s_waitcnt vmcnt(0) lgkmcnt(0)
	v_mul_f64 v[24:25], s[16:17], v[2:3]
	v_mul_f64 v[2:3], s[14:15], v[2:3]
	v_fma_f64 v[24:25], s[14:15], v[0:1], -v[24:25]
	v_fma_f64 v[2:3], s[16:17], v[0:1], v[2:3]
	v_add_f64 v[0:1], v[6:7], v[24:25]
	v_add_f64 v[2:3], v[22:23], v[2:3]
	v_add_co_u32 v6, vcc_lo, v30, v4
	v_add_co_ci_u32_e64 v7, null, v31, v5, vcc_lo
	v_mul_f64 v[22:23], s[40:41], v[60:61]
	v_mul_f64 v[24:25], s[38:39], v[60:61]
	flat_store_dwordx4 v[6:7], v[0:3]
	flat_load_dwordx4 v[0:3], v[8:9] offset:256
	v_fma_f64 v[22:23], s[38:39], v[56:57], -v[22:23]
	v_fma_f64 v[24:25], s[40:41], v[56:57], v[24:25]
	s_waitcnt vmcnt(0) lgkmcnt(0)
	v_mul_f64 v[26:27], s[16:17], v[2:3]
	v_mul_f64 v[2:3], s[14:15], v[2:3]
	v_fma_f64 v[26:27], s[14:15], v[0:1], -v[26:27]
	v_fma_f64 v[2:3], s[16:17], v[0:1], v[2:3]
	v_add_f64 v[0:1], v[22:23], v[26:27]
	v_add_f64 v[2:3], v[24:25], v[2:3]
	v_mul_f64 v[22:23], s[40:41], v[50:51]
	v_mul_f64 v[24:25], s[38:39], v[50:51]
	flat_store_dwordx4 v[6:7], v[0:3] offset:256
	flat_load_dwordx4 v[0:3], v[8:9] offset:512
	v_fma_f64 v[22:23], s[38:39], v[44:45], -v[22:23]
	v_fma_f64 v[24:25], s[40:41], v[44:45], v[24:25]
	s_waitcnt vmcnt(0) lgkmcnt(0)
	v_mul_f64 v[26:27], s[16:17], v[2:3]
	v_mul_f64 v[2:3], s[14:15], v[2:3]
	v_fma_f64 v[26:27], s[14:15], v[0:1], -v[26:27]
	v_fma_f64 v[2:3], s[16:17], v[0:1], v[2:3]
	v_add_f64 v[0:1], v[22:23], v[26:27]
	v_add_f64 v[2:3], v[24:25], v[2:3]
	v_mul_f64 v[22:23], s[38:39], v[40:41]
	flat_store_dwordx4 v[6:7], v[0:3] offset:512
	flat_load_dwordx4 v[0:3], v[8:9] offset:768
	v_mul_f64 v[8:9], s[40:41], v[40:41]
	v_fma_f64 v[22:23], s[40:41], v[38:39], v[22:23]
	v_fma_f64 v[8:9], s[38:39], v[38:39], -v[8:9]
	s_waitcnt vmcnt(0) lgkmcnt(0)
	v_mul_f64 v[24:25], s[16:17], v[2:3]
	v_mul_f64 v[2:3], s[14:15], v[2:3]
	v_fma_f64 v[24:25], s[14:15], v[0:1], -v[24:25]
	v_fma_f64 v[2:3], s[16:17], v[0:1], v[2:3]
	v_add_f64 v[0:1], v[8:9], v[24:25]
	v_add_f64 v[2:3], v[22:23], v[2:3]
	v_add_co_u32 v8, vcc_lo, v28, s0
	v_add_co_ci_u32_e64 v9, null, s1, v29, vcc_lo
	v_add_co_u32 v8, vcc_lo, v8, v4
	v_add_co_ci_u32_e64 v9, null, v9, v5, vcc_lo
	flat_store_dwordx4 v[6:7], v[0:3] offset:768
	flat_load_dwordx4 v[0:3], v[8:9]
	v_mul_f64 v[6:7], s[40:41], v[20:21]
	v_mul_f64 v[20:21], s[38:39], v[20:21]
	v_fma_f64 v[6:7], s[38:39], v[18:19], -v[6:7]
	v_fma_f64 v[18:19], s[40:41], v[18:19], v[20:21]
	s_waitcnt vmcnt(0) lgkmcnt(0)
	v_mul_f64 v[22:23], s[16:17], v[2:3]
	v_mul_f64 v[2:3], s[14:15], v[2:3]
	v_fma_f64 v[20:21], s[14:15], v[0:1], -v[22:23]
	v_fma_f64 v[2:3], s[16:17], v[0:1], v[2:3]
	v_add_f64 v[0:1], v[6:7], v[20:21]
	v_add_f64 v[2:3], v[18:19], v[2:3]
	v_add_co_u32 v6, vcc_lo, v30, s2
	v_add_co_ci_u32_e64 v7, null, s3, v31, vcc_lo
	v_add_co_u32 v6, vcc_lo, v6, v4
	v_add_co_ci_u32_e64 v7, null, v7, v5, vcc_lo
	v_mul_f64 v[4:5], s[40:41], v[16:17]
	v_mul_f64 v[16:17], s[38:39], v[16:17]
	flat_store_dwordx4 v[6:7], v[0:3]
	flat_load_dwordx4 v[0:3], v[8:9] offset:256
	v_fma_f64 v[4:5], s[38:39], v[14:15], -v[4:5]
	v_fma_f64 v[14:15], s[40:41], v[14:15], v[16:17]
	s_waitcnt vmcnt(0) lgkmcnt(0)
	v_mul_f64 v[18:19], s[16:17], v[2:3]
	v_mul_f64 v[2:3], s[14:15], v[2:3]
	v_fma_f64 v[16:17], s[14:15], v[0:1], -v[18:19]
	v_fma_f64 v[2:3], s[16:17], v[0:1], v[2:3]
	v_add_f64 v[0:1], v[4:5], v[16:17]
	v_add_f64 v[2:3], v[14:15], v[2:3]
	v_mul_f64 v[4:5], s[40:41], v[12:13]
	v_mul_f64 v[12:13], s[38:39], v[12:13]
	flat_store_dwordx4 v[6:7], v[0:3] offset:256
	flat_load_dwordx4 v[0:3], v[8:9] offset:512
	v_fma_f64 v[4:5], s[38:39], v[10:11], -v[4:5]
	v_fma_f64 v[10:11], s[40:41], v[10:11], v[12:13]
	s_waitcnt vmcnt(0) lgkmcnt(0)
	v_mul_f64 v[14:15], s[16:17], v[2:3]
	v_mul_f64 v[2:3], s[14:15], v[2:3]
	v_fma_f64 v[12:13], s[14:15], v[0:1], -v[14:15]
	v_fma_f64 v[2:3], s[16:17], v[0:1], v[2:3]
	v_add_f64 v[0:1], v[4:5], v[12:13]
	v_add_f64 v[2:3], v[10:11], v[2:3]
	v_mul_f64 v[4:5], s[40:41], v[76:77]
	flat_store_dwordx4 v[6:7], v[0:3] offset:512
	flat_load_dwordx4 v[0:3], v[8:9] offset:768
	v_mul_f64 v[8:9], s[38:39], v[76:77]
	v_fma_f64 v[4:5], s[38:39], v[74:75], -v[4:5]
	v_fma_f64 v[8:9], s[40:41], v[74:75], v[8:9]
	s_waitcnt vmcnt(0) lgkmcnt(0)
	v_mul_f64 v[10:11], s[16:17], v[2:3]
	v_mul_f64 v[2:3], s[14:15], v[2:3]
	v_fma_f64 v[10:11], s[14:15], v[0:1], -v[10:11]
	v_fma_f64 v[0:1], s[16:17], v[0:1], v[2:3]
	v_add_f64 v[10:11], v[4:5], v[10:11]
	v_add_f64 v[2:3], v[8:9], v[0:1]
	v_add_co_u32 v4, vcc_lo, 0x300, v6
	v_add_co_ci_u32_e64 v5, null, 0, v7, vcc_lo
	flat_store_dwordx2 v[6:7], v[10:11] offset:768
.LBB269_8:
	flat_store_dwordx2 v[4:5], v[2:3] offset:8
	s_endpgm
	.section	.rodata,"a",@progbits
	.p2align	6, 0x0
	.amdhsa_kernel _ZN12_GLOBAL__N_127rocblas_gemm_batched_kernelI19rocblas_complex_numIdELi16ELi16ELi64ELi64ELi4ELi64ELi4ELi4ELi64ELc67ELc84EKPKS2_S5_KPS2_EEvlllT_PT11_llSA_llS8_PT12_llPT13_lli
		.amdhsa_group_segment_fixed_size 8192
		.amdhsa_private_segment_fixed_size 0
		.amdhsa_kernarg_size 156
		.amdhsa_user_sgpr_count 6
		.amdhsa_user_sgpr_private_segment_buffer 1
		.amdhsa_user_sgpr_dispatch_ptr 0
		.amdhsa_user_sgpr_queue_ptr 0
		.amdhsa_user_sgpr_kernarg_segment_ptr 1
		.amdhsa_user_sgpr_dispatch_id 0
		.amdhsa_user_sgpr_flat_scratch_init 0
		.amdhsa_user_sgpr_private_segment_size 0
		.amdhsa_wavefront_size32 1
		.amdhsa_uses_dynamic_stack 0
		.amdhsa_system_sgpr_private_segment_wavefront_offset 0
		.amdhsa_system_sgpr_workgroup_id_x 1
		.amdhsa_system_sgpr_workgroup_id_y 1
		.amdhsa_system_sgpr_workgroup_id_z 1
		.amdhsa_system_sgpr_workgroup_info 0
		.amdhsa_system_vgpr_workitem_id 1
		.amdhsa_next_free_vgpr 138
		.amdhsa_next_free_sgpr 52
		.amdhsa_reserve_vcc 1
		.amdhsa_reserve_flat_scratch 0
		.amdhsa_float_round_mode_32 0
		.amdhsa_float_round_mode_16_64 0
		.amdhsa_float_denorm_mode_32 3
		.amdhsa_float_denorm_mode_16_64 3
		.amdhsa_dx10_clamp 1
		.amdhsa_ieee_mode 1
		.amdhsa_fp16_overflow 0
		.amdhsa_workgroup_processor_mode 1
		.amdhsa_memory_ordered 1
		.amdhsa_forward_progress 1
		.amdhsa_shared_vgpr_count 0
		.amdhsa_exception_fp_ieee_invalid_op 0
		.amdhsa_exception_fp_denorm_src 0
		.amdhsa_exception_fp_ieee_div_zero 0
		.amdhsa_exception_fp_ieee_overflow 0
		.amdhsa_exception_fp_ieee_underflow 0
		.amdhsa_exception_fp_ieee_inexact 0
		.amdhsa_exception_int_div_zero 0
	.end_amdhsa_kernel
	.section	.text._ZN12_GLOBAL__N_127rocblas_gemm_batched_kernelI19rocblas_complex_numIdELi16ELi16ELi64ELi64ELi4ELi64ELi4ELi4ELi64ELc67ELc84EKPKS2_S5_KPS2_EEvlllT_PT11_llSA_llS8_PT12_llPT13_lli,"axG",@progbits,_ZN12_GLOBAL__N_127rocblas_gemm_batched_kernelI19rocblas_complex_numIdELi16ELi16ELi64ELi64ELi4ELi64ELi4ELi4ELi64ELc67ELc84EKPKS2_S5_KPS2_EEvlllT_PT11_llSA_llS8_PT12_llPT13_lli,comdat
.Lfunc_end269:
	.size	_ZN12_GLOBAL__N_127rocblas_gemm_batched_kernelI19rocblas_complex_numIdELi16ELi16ELi64ELi64ELi4ELi64ELi4ELi4ELi64ELc67ELc84EKPKS2_S5_KPS2_EEvlllT_PT11_llSA_llS8_PT12_llPT13_lli, .Lfunc_end269-_ZN12_GLOBAL__N_127rocblas_gemm_batched_kernelI19rocblas_complex_numIdELi16ELi16ELi64ELi64ELi4ELi64ELi4ELi4ELi64ELc67ELc84EKPKS2_S5_KPS2_EEvlllT_PT11_llSA_llS8_PT12_llPT13_lli
                                        ; -- End function
	.set _ZN12_GLOBAL__N_127rocblas_gemm_batched_kernelI19rocblas_complex_numIdELi16ELi16ELi64ELi64ELi4ELi64ELi4ELi4ELi64ELc67ELc84EKPKS2_S5_KPS2_EEvlllT_PT11_llSA_llS8_PT12_llPT13_lli.num_vgpr, 138
	.set _ZN12_GLOBAL__N_127rocblas_gemm_batched_kernelI19rocblas_complex_numIdELi16ELi16ELi64ELi64ELi4ELi64ELi4ELi4ELi64ELc67ELc84EKPKS2_S5_KPS2_EEvlllT_PT11_llSA_llS8_PT12_llPT13_lli.num_agpr, 0
	.set _ZN12_GLOBAL__N_127rocblas_gemm_batched_kernelI19rocblas_complex_numIdELi16ELi16ELi64ELi64ELi4ELi64ELi4ELi4ELi64ELc67ELc84EKPKS2_S5_KPS2_EEvlllT_PT11_llSA_llS8_PT12_llPT13_lli.numbered_sgpr, 52
	.set _ZN12_GLOBAL__N_127rocblas_gemm_batched_kernelI19rocblas_complex_numIdELi16ELi16ELi64ELi64ELi4ELi64ELi4ELi4ELi64ELc67ELc84EKPKS2_S5_KPS2_EEvlllT_PT11_llSA_llS8_PT12_llPT13_lli.num_named_barrier, 0
	.set _ZN12_GLOBAL__N_127rocblas_gemm_batched_kernelI19rocblas_complex_numIdELi16ELi16ELi64ELi64ELi4ELi64ELi4ELi4ELi64ELc67ELc84EKPKS2_S5_KPS2_EEvlllT_PT11_llSA_llS8_PT12_llPT13_lli.private_seg_size, 0
	.set _ZN12_GLOBAL__N_127rocblas_gemm_batched_kernelI19rocblas_complex_numIdELi16ELi16ELi64ELi64ELi4ELi64ELi4ELi4ELi64ELc67ELc84EKPKS2_S5_KPS2_EEvlllT_PT11_llSA_llS8_PT12_llPT13_lli.uses_vcc, 1
	.set _ZN12_GLOBAL__N_127rocblas_gemm_batched_kernelI19rocblas_complex_numIdELi16ELi16ELi64ELi64ELi4ELi64ELi4ELi4ELi64ELc67ELc84EKPKS2_S5_KPS2_EEvlllT_PT11_llSA_llS8_PT12_llPT13_lli.uses_flat_scratch, 0
	.set _ZN12_GLOBAL__N_127rocblas_gemm_batched_kernelI19rocblas_complex_numIdELi16ELi16ELi64ELi64ELi4ELi64ELi4ELi4ELi64ELc67ELc84EKPKS2_S5_KPS2_EEvlllT_PT11_llSA_llS8_PT12_llPT13_lli.has_dyn_sized_stack, 0
	.set _ZN12_GLOBAL__N_127rocblas_gemm_batched_kernelI19rocblas_complex_numIdELi16ELi16ELi64ELi64ELi4ELi64ELi4ELi4ELi64ELc67ELc84EKPKS2_S5_KPS2_EEvlllT_PT11_llSA_llS8_PT12_llPT13_lli.has_recursion, 0
	.set _ZN12_GLOBAL__N_127rocblas_gemm_batched_kernelI19rocblas_complex_numIdELi16ELi16ELi64ELi64ELi4ELi64ELi4ELi4ELi64ELc67ELc84EKPKS2_S5_KPS2_EEvlllT_PT11_llSA_llS8_PT12_llPT13_lli.has_indirect_call, 0
	.section	.AMDGPU.csdata,"",@progbits
; Kernel info:
; codeLenInByte = 7404
; TotalNumSgprs: 54
; NumVgprs: 138
; ScratchSize: 0
; MemoryBound: 0
; FloatMode: 240
; IeeeMode: 1
; LDSByteSize: 8192 bytes/workgroup (compile time only)
; SGPRBlocks: 0
; VGPRBlocks: 17
; NumSGPRsForWavesPerEU: 54
; NumVGPRsForWavesPerEU: 138
; Occupancy: 7
; WaveLimiterHint : 1
; COMPUTE_PGM_RSRC2:SCRATCH_EN: 0
; COMPUTE_PGM_RSRC2:USER_SGPR: 6
; COMPUTE_PGM_RSRC2:TRAP_HANDLER: 0
; COMPUTE_PGM_RSRC2:TGID_X_EN: 1
; COMPUTE_PGM_RSRC2:TGID_Y_EN: 1
; COMPUTE_PGM_RSRC2:TGID_Z_EN: 1
; COMPUTE_PGM_RSRC2:TIDIG_COMP_CNT: 1
	.section	.text._ZN12_GLOBAL__N_127rocblas_gemm_batched_kernelI19rocblas_complex_numIdELi16ELi16ELi64ELi64ELi4ELi64ELi4ELi4ELi64ELc78ELc67EKPKS2_S5_KPS2_EEvlllT_PT11_llSA_llS8_PT12_llPT13_lli,"axG",@progbits,_ZN12_GLOBAL__N_127rocblas_gemm_batched_kernelI19rocblas_complex_numIdELi16ELi16ELi64ELi64ELi4ELi64ELi4ELi4ELi64ELc78ELc67EKPKS2_S5_KPS2_EEvlllT_PT11_llSA_llS8_PT12_llPT13_lli,comdat
	.globl	_ZN12_GLOBAL__N_127rocblas_gemm_batched_kernelI19rocblas_complex_numIdELi16ELi16ELi64ELi64ELi4ELi64ELi4ELi4ELi64ELc78ELc67EKPKS2_S5_KPS2_EEvlllT_PT11_llSA_llS8_PT12_llPT13_lli ; -- Begin function _ZN12_GLOBAL__N_127rocblas_gemm_batched_kernelI19rocblas_complex_numIdELi16ELi16ELi64ELi64ELi4ELi64ELi4ELi4ELi64ELc78ELc67EKPKS2_S5_KPS2_EEvlllT_PT11_llSA_llS8_PT12_llPT13_lli
	.p2align	8
	.type	_ZN12_GLOBAL__N_127rocblas_gemm_batched_kernelI19rocblas_complex_numIdELi16ELi16ELi64ELi64ELi4ELi64ELi4ELi4ELi64ELc78ELc67EKPKS2_S5_KPS2_EEvlllT_PT11_llSA_llS8_PT12_llPT13_lli,@function
_ZN12_GLOBAL__N_127rocblas_gemm_batched_kernelI19rocblas_complex_numIdELi16ELi16ELi64ELi64ELi4ELi64ELi4ELi4ELi64ELc78ELc67EKPKS2_S5_KPS2_EEvlllT_PT11_llSA_llS8_PT12_llPT13_lli: ; @_ZN12_GLOBAL__N_127rocblas_gemm_batched_kernelI19rocblas_complex_numIdELi16ELi16ELi64ELi64ELi4ELi64ELi4ELi4ELi64ELc78ELc67EKPKS2_S5_KPS2_EEvlllT_PT11_llSA_llS8_PT12_llPT13_lli
; %bb.0:
	s_clause 0x1
	s_load_dwordx16 s[12:27], s[4:5], 0x50
	s_load_dwordx16 s[36:51], s[4:5], 0x10
	s_mov_b32 s9, 0
	s_mov_b32 s28, s7
	s_lshl_b64 s[10:11], s[8:9], 3
	s_waitcnt lgkmcnt(0)
	s_add_u32 s0, s18, s10
	s_addc_u32 s1, s19, s11
	s_add_u32 s2, s24, s10
	s_addc_u32 s3, s25, s11
	s_load_dwordx2 s[0:1], s[0:1], 0x0
	s_load_dwordx2 s[2:3], s[2:3], 0x0
	v_cmp_lt_i64_e64 s8, s[36:37], 1
	s_ashr_i32 s7, s6, 31
	s_ashr_i32 s29, s28, 31
	s_lshl_b64 s[6:7], s[6:7], 6
	s_and_b32 vcc_lo, exec_lo, s8
	s_lshl_b64 s[8:9], s[28:29], 6
	s_cbranch_vccnz .LBB270_3
; %bb.1:
	v_lshl_add_u32 v6, v1, 4, v0
	v_and_b32_e32 v8, 3, v0
	s_add_u32 s18, s42, s10
	s_addc_u32 s19, s43, s11
	s_add_u32 s10, s48, s10
	v_lshrrev_b32_e32 v10, 2, v6
	v_lshrrev_b32_e32 v9, 6, v6
	s_load_dwordx2 s[18:19], s[18:19], 0x0
	s_addc_u32 s11, s49, s11
	v_and_b32_e32 v11, 63, v6
	v_add_co_u32 v4, s24, v10, s8
	v_add_co_ci_u32_e64 v5, null, 0, s9, s24
	v_mad_u64_u32 v[2:3], null, s44, v9, s[6:7]
	s_load_dwordx2 s[24:25], s[10:11], 0x0
	v_mad_u64_u32 v[4:5], null, s50, v8, v[4:5]
	v_lshlrev_b32_e32 v12, 4, v8
	s_lshl_b64 s[10:11], s[46:47], 4
	v_mov_b32_e32 v76, 0
	v_mov_b32_e32 v74, 0
	;; [unrolled: 1-line block ×3, first 2 shown]
	v_lshl_or_b32 v10, v10, 6, v12
	v_mad_u64_u32 v[6:7], null, s45, v9, v[3:4]
	v_mov_b32_e32 v3, v5
	v_add_co_u32 v5, vcc_lo, v2, v11
	v_lshlrev_b32_e32 v7, 4, v11
	s_waitcnt lgkmcnt(0)
	s_add_u32 s10, s18, s10
	v_mad_u64_u32 v[2:3], null, s51, v8, v[3:4]
	v_add_co_ci_u32_e64 v6, null, 0, v6, vcc_lo
	v_lshl_or_b32 v92, v9, 10, v7
	s_addc_u32 s11, s19, s11
	s_lshl_b64 s[12:13], s[12:13], 4
	v_lshlrev_b64 v[6:7], 4, v[5:6]
	v_mov_b32_e32 v5, v2
	v_add_nc_u32_e32 v93, 0x1000, v10
	v_mov_b32_e32 v12, 0
	v_mov_b32_e32 v10, 0
	;; [unrolled: 1-line block ×3, first 2 shown]
	v_lshlrev_b64 v[2:3], 4, v[4:5]
	v_add_co_u32 v26, vcc_lo, s10, v6
	v_add_co_ci_u32_e64 v27, null, s11, v7, vcc_lo
	s_lshl_b64 s[10:11], s[44:45], 6
	s_add_u32 s12, s24, s12
	s_addc_u32 s13, s25, s13
	v_add_co_u32 v28, vcc_lo, s12, v2
	v_mov_b32_e32 v20, 0
	v_mov_b32_e32 v18, 0
	;; [unrolled: 1-line block ×26, first 2 shown]
	v_lshlrev_b32_e32 v90, 4, v0
	v_lshl_add_u32 v91, v1, 6, 0x1000
	v_mov_b32_e32 v77, 0
	v_mov_b32_e32 v75, 0
	;; [unrolled: 1-line block ×32, first 2 shown]
	v_add_co_ci_u32_e64 v29, null, s13, v3, vcc_lo
	s_lshl_b64 s[12:13], s[50:51], 6
	s_mov_b64 s[18:19], 0
.LBB270_2:                              ; =>This Inner Loop Header: Depth=1
	flat_load_dwordx4 v[2:5], v[26:27]
	s_add_u32 s18, s18, 4
	s_addc_u32 s19, s19, 0
	v_add_co_u32 v26, vcc_lo, v26, s10
	v_cmp_lt_i64_e64 s24, s[18:19], s[36:37]
	v_add_co_ci_u32_e64 v27, null, s11, v27, vcc_lo
	s_waitcnt vmcnt(0) lgkmcnt(0)
	ds_write2_b64 v92, v[2:3], v[4:5] offset1:1
	flat_load_dwordx4 v[2:5], v[28:29]
	v_add_co_u32 v28, vcc_lo, v28, s12
	v_add_co_ci_u32_e64 v29, null, s13, v29, vcc_lo
	s_and_b32 vcc_lo, exec_lo, s24
	s_waitcnt vmcnt(0) lgkmcnt(0)
	v_xor_b32_e32 v5, 0x80000000, v5
	ds_write_b128 v93, v[2:5]
	s_waitcnt lgkmcnt(0)
	s_barrier
	buffer_gl0_inv
	ds_read_b128 v[78:81], v91
	ds_read_b128 v[82:85], v91 offset:16
	ds_read_b128 v[6:9], v91 offset:32
	;; [unrolled: 1-line block ×3, first 2 shown]
	ds_read_b128 v[86:89], v90
	s_waitcnt lgkmcnt(0)
	v_mul_f64 v[94:95], v[80:81], v[88:89]
	v_mul_f64 v[96:97], v[78:79], v[88:89]
	v_fma_f64 v[94:95], v[78:79], v[86:87], -v[94:95]
	v_fma_f64 v[96:97], v[80:81], v[86:87], v[96:97]
	v_add_f64 v[98:99], v[48:49], v[94:95]
	v_add_f64 v[100:101], v[96:97], v[52:53]
	ds_read_b128 v[94:97], v90 offset:256
	s_waitcnt lgkmcnt(0)
	v_mul_f64 v[48:49], v[80:81], v[96:97]
	v_mul_f64 v[52:53], v[78:79], v[96:97]
	v_fma_f64 v[48:49], v[78:79], v[94:95], -v[48:49]
	v_fma_f64 v[52:53], v[80:81], v[94:95], v[52:53]
	v_add_f64 v[102:103], v[34:35], v[48:49]
	v_add_f64 v[104:105], v[52:53], v[36:37]
	ds_read_b128 v[34:37], v90 offset:512
	;; [unrolled: 8-line block ×4, first 2 shown]
	s_waitcnt lgkmcnt(0)
	v_mul_f64 v[48:49], v[24:25], v[88:89]
	v_mul_f64 v[52:53], v[22:23], v[88:89]
	v_fma_f64 v[48:49], v[22:23], v[86:87], -v[48:49]
	v_fma_f64 v[52:53], v[24:25], v[86:87], v[52:53]
	v_add_f64 v[70:71], v[70:71], v[48:49]
	v_mul_f64 v[48:49], v[24:25], v[96:97]
	v_add_f64 v[72:73], v[52:53], v[72:73]
	v_mul_f64 v[52:53], v[22:23], v[96:97]
	v_fma_f64 v[48:49], v[22:23], v[94:95], -v[48:49]
	v_fma_f64 v[52:53], v[24:25], v[94:95], v[52:53]
	v_add_f64 v[110:111], v[62:63], v[48:49]
	v_mul_f64 v[48:49], v[24:25], v[36:37]
	v_add_f64 v[112:113], v[52:53], v[64:65]
	;; [unrolled: 6-line block ×3, first 2 shown]
	v_fma_f64 v[48:49], v[22:23], v[30:31], -v[48:49]
	v_mul_f64 v[22:23], v[22:23], v[32:33]
	v_add_f64 v[118:119], v[42:43], v[48:49]
	v_fma_f64 v[22:23], v[24:25], v[30:31], v[22:23]
	v_add_f64 v[120:121], v[22:23], v[46:47]
	ds_read_b128 v[22:25], v91 offset:2048
	s_waitcnt lgkmcnt(0)
	v_mul_f64 v[42:43], v[24:25], v[88:89]
	v_mul_f64 v[46:47], v[22:23], v[88:89]
	v_fma_f64 v[42:43], v[22:23], v[86:87], -v[42:43]
	v_fma_f64 v[46:47], v[24:25], v[86:87], v[46:47]
	v_add_f64 v[122:123], v[66:67], v[42:43]
	v_mul_f64 v[42:43], v[24:25], v[96:97]
	v_add_f64 v[124:125], v[46:47], v[68:69]
	v_mul_f64 v[46:47], v[22:23], v[96:97]
	v_fma_f64 v[42:43], v[22:23], v[94:95], -v[42:43]
	v_fma_f64 v[46:47], v[24:25], v[94:95], v[46:47]
	v_add_f64 v[126:127], v[56:57], v[42:43]
	v_mul_f64 v[42:43], v[24:25], v[36:37]
	v_add_f64 v[128:129], v[46:47], v[60:61]
	;; [unrolled: 6-line block ×3, first 2 shown]
	v_fma_f64 v[42:43], v[22:23], v[30:31], -v[42:43]
	v_mul_f64 v[22:23], v[22:23], v[32:33]
	v_add_f64 v[134:135], v[38:39], v[42:43]
	v_fma_f64 v[22:23], v[24:25], v[30:31], v[22:23]
	v_add_f64 v[136:137], v[22:23], v[40:41]
	ds_read_b128 v[22:25], v91 offset:3072
	s_waitcnt lgkmcnt(0)
	v_mul_f64 v[38:39], v[24:25], v[88:89]
	v_mul_f64 v[40:41], v[22:23], v[88:89]
	v_fma_f64 v[38:39], v[22:23], v[86:87], -v[38:39]
	v_fma_f64 v[40:41], v[24:25], v[86:87], v[40:41]
	v_add_f64 v[58:59], v[18:19], v[38:39]
	v_add_f64 v[60:61], v[40:41], v[20:21]
	v_mul_f64 v[18:19], v[24:25], v[96:97]
	v_mul_f64 v[20:21], v[22:23], v[96:97]
	v_fma_f64 v[18:19], v[22:23], v[94:95], -v[18:19]
	v_fma_f64 v[20:21], v[24:25], v[94:95], v[20:21]
	v_add_f64 v[54:55], v[14:15], v[18:19]
	v_add_f64 v[56:57], v[20:21], v[16:17]
	v_mul_f64 v[14:15], v[24:25], v[36:37]
	v_mul_f64 v[16:17], v[22:23], v[36:37]
	ds_read_b128 v[18:21], v90 offset:1280
	v_fma_f64 v[14:15], v[22:23], v[34:35], -v[14:15]
	v_fma_f64 v[16:17], v[24:25], v[34:35], v[16:17]
	v_add_f64 v[50:51], v[10:11], v[14:15]
	v_add_f64 v[52:53], v[16:17], v[12:13]
	v_mul_f64 v[10:11], v[24:25], v[32:33]
	v_mul_f64 v[12:13], v[22:23], v[32:33]
	ds_read_b128 v[14:17], v90 offset:1536
	v_fma_f64 v[10:11], v[22:23], v[30:31], -v[10:11]
	v_fma_f64 v[12:13], v[24:25], v[30:31], v[12:13]
	ds_read_b128 v[22:25], v90 offset:1024
	v_add_f64 v[46:47], v[74:75], v[10:11]
	v_add_f64 v[48:49], v[12:13], v[76:77]
	s_waitcnt lgkmcnt(0)
	v_mul_f64 v[10:11], v[84:85], v[24:25]
	v_mul_f64 v[12:13], v[82:83], v[24:25]
	ds_read_b128 v[74:77], v91 offset:1040
	v_fma_f64 v[10:11], v[82:83], v[22:23], -v[10:11]
	v_fma_f64 v[12:13], v[84:85], v[22:23], v[12:13]
	s_waitcnt lgkmcnt(0)
	v_mul_f64 v[62:63], v[76:77], v[24:25]
	v_mul_f64 v[64:65], v[74:75], v[24:25]
	;; [unrolled: 1-line block ×4, first 2 shown]
	v_add_f64 v[42:43], v[98:99], v[10:11]
	v_add_f64 v[44:45], v[12:13], v[100:101]
	v_mul_f64 v[10:11], v[84:85], v[20:21]
	v_mul_f64 v[12:13], v[82:83], v[20:21]
	v_fma_f64 v[62:63], v[74:75], v[22:23], -v[62:63]
	v_fma_f64 v[64:65], v[76:77], v[22:23], v[64:65]
	v_fma_f64 v[66:67], v[74:75], v[18:19], -v[66:67]
	v_fma_f64 v[68:69], v[76:77], v[18:19], v[68:69]
	;; [unrolled: 2-line block ×3, first 2 shown]
	v_add_f64 v[62:63], v[70:71], v[62:63]
	v_mul_f64 v[70:71], v[76:77], v[16:17]
	v_add_f64 v[64:65], v[64:65], v[72:73]
	v_mul_f64 v[72:73], v[74:75], v[16:17]
	v_add_f64 v[66:67], v[110:111], v[66:67]
	v_add_f64 v[68:69], v[68:69], v[112:113]
	v_add_f64 v[38:39], v[102:103], v[10:11]
	v_add_f64 v[40:41], v[12:13], v[104:105]
	v_mul_f64 v[10:11], v[84:85], v[16:17]
	v_mul_f64 v[12:13], v[82:83], v[16:17]
	v_fma_f64 v[70:71], v[74:75], v[14:15], -v[70:71]
	v_fma_f64 v[72:73], v[76:77], v[14:15], v[72:73]
	v_fma_f64 v[10:11], v[82:83], v[14:15], -v[10:11]
	v_fma_f64 v[12:13], v[84:85], v[14:15], v[12:13]
	v_add_f64 v[70:71], v[114:115], v[70:71]
	v_add_f64 v[72:73], v[72:73], v[116:117]
	;; [unrolled: 1-line block ×4, first 2 shown]
	ds_read_b128 v[10:13], v90 offset:1792
	s_waitcnt lgkmcnt(0)
	v_mul_f64 v[30:31], v[84:85], v[12:13]
	v_mul_f64 v[32:33], v[82:83], v[12:13]
	v_fma_f64 v[30:31], v[82:83], v[10:11], -v[30:31]
	v_fma_f64 v[32:33], v[84:85], v[10:11], v[32:33]
	v_add_f64 v[30:31], v[78:79], v[30:31]
	v_mul_f64 v[78:79], v[76:77], v[12:13]
	v_add_f64 v[32:33], v[32:33], v[80:81]
	v_fma_f64 v[78:79], v[74:75], v[10:11], -v[78:79]
	v_mul_f64 v[74:75], v[74:75], v[12:13]
	v_fma_f64 v[76:77], v[76:77], v[10:11], v[74:75]
	v_add_f64 v[74:75], v[118:119], v[78:79]
	ds_read_b128 v[78:81], v91 offset:2064
	s_waitcnt lgkmcnt(0)
	v_mul_f64 v[82:83], v[80:81], v[24:25]
	v_mul_f64 v[86:87], v[80:81], v[20:21]
	;; [unrolled: 1-line block ×7, first 2 shown]
	v_add_f64 v[76:77], v[76:77], v[120:121]
	v_fma_f64 v[82:83], v[78:79], v[22:23], -v[82:83]
	v_fma_f64 v[86:87], v[78:79], v[18:19], -v[86:87]
	;; [unrolled: 1-line block ×4, first 2 shown]
	v_mul_f64 v[78:79], v[78:79], v[12:13]
	v_fma_f64 v[84:85], v[80:81], v[22:23], v[84:85]
	v_fma_f64 v[88:89], v[80:81], v[18:19], v[88:89]
	v_fma_f64 v[96:97], v[80:81], v[14:15], v[96:97]
	v_add_f64 v[82:83], v[122:123], v[82:83]
	v_add_f64 v[86:87], v[126:127], v[86:87]
	;; [unrolled: 1-line block ×4, first 2 shown]
	v_fma_f64 v[78:79], v[80:81], v[10:11], v[78:79]
	v_add_f64 v[84:85], v[84:85], v[124:125]
	v_add_f64 v[88:89], v[88:89], v[128:129]
	;; [unrolled: 1-line block ×4, first 2 shown]
	ds_read_b128 v[78:81], v91 offset:3088
	s_waitcnt lgkmcnt(0)
	v_mul_f64 v[102:103], v[80:81], v[24:25]
	v_mul_f64 v[24:25], v[78:79], v[24:25]
	v_fma_f64 v[102:103], v[78:79], v[22:23], -v[102:103]
	v_fma_f64 v[22:23], v[80:81], v[22:23], v[24:25]
	v_add_f64 v[58:59], v[58:59], v[102:103]
	v_add_f64 v[60:61], v[22:23], v[60:61]
	v_mul_f64 v[22:23], v[80:81], v[20:21]
	v_mul_f64 v[20:21], v[78:79], v[20:21]
	v_fma_f64 v[22:23], v[78:79], v[18:19], -v[22:23]
	v_fma_f64 v[18:19], v[80:81], v[18:19], v[20:21]
	v_add_f64 v[54:55], v[54:55], v[22:23]
	v_add_f64 v[56:57], v[18:19], v[56:57]
	;; [unrolled: 6-line block ×4, first 2 shown]
	ds_read_b128 v[10:13], v90 offset:2048
	s_waitcnt lgkmcnt(0)
	v_mul_f64 v[14:15], v[8:9], v[12:13]
	v_mul_f64 v[16:17], v[6:7], v[12:13]
	v_fma_f64 v[14:15], v[6:7], v[10:11], -v[14:15]
	v_fma_f64 v[16:17], v[8:9], v[10:11], v[16:17]
	v_add_f64 v[42:43], v[42:43], v[14:15]
	v_add_f64 v[44:45], v[16:17], v[44:45]
	ds_read_b128 v[14:17], v90 offset:2304
	s_waitcnt lgkmcnt(0)
	v_mul_f64 v[18:19], v[8:9], v[16:17]
	v_mul_f64 v[20:21], v[6:7], v[16:17]
	v_fma_f64 v[18:19], v[6:7], v[14:15], -v[18:19]
	v_fma_f64 v[20:21], v[8:9], v[14:15], v[20:21]
	v_add_f64 v[38:39], v[38:39], v[18:19]
	v_add_f64 v[40:41], v[20:21], v[40:41]
	;; [unrolled: 8-line block ×3, first 2 shown]
	ds_read_b128 v[22:25], v90 offset:2816
	s_waitcnt lgkmcnt(0)
	v_mul_f64 v[34:35], v[8:9], v[24:25]
	v_fma_f64 v[34:35], v[6:7], v[22:23], -v[34:35]
	v_mul_f64 v[6:7], v[6:7], v[24:25]
	v_add_f64 v[106:107], v[30:31], v[34:35]
	v_fma_f64 v[6:7], v[8:9], v[22:23], v[6:7]
	v_add_f64 v[108:109], v[6:7], v[32:33]
	ds_read_b128 v[6:9], v91 offset:1056
	s_waitcnt lgkmcnt(0)
	v_mul_f64 v[30:31], v[8:9], v[12:13]
	v_mul_f64 v[32:33], v[6:7], v[12:13]
	v_fma_f64 v[30:31], v[6:7], v[10:11], -v[30:31]
	v_fma_f64 v[32:33], v[8:9], v[10:11], v[32:33]
	v_add_f64 v[62:63], v[62:63], v[30:31]
	v_mul_f64 v[30:31], v[8:9], v[16:17]
	v_add_f64 v[64:65], v[32:33], v[64:65]
	v_mul_f64 v[32:33], v[6:7], v[16:17]
	v_fma_f64 v[30:31], v[6:7], v[14:15], -v[30:31]
	v_fma_f64 v[32:33], v[8:9], v[14:15], v[32:33]
	v_add_f64 v[66:67], v[66:67], v[30:31]
	v_mul_f64 v[30:31], v[8:9], v[20:21]
	v_add_f64 v[68:69], v[32:33], v[68:69]
	;; [unrolled: 6-line block ×3, first 2 shown]
	v_fma_f64 v[30:31], v[6:7], v[22:23], -v[30:31]
	v_mul_f64 v[6:7], v[6:7], v[24:25]
	v_add_f64 v[114:115], v[74:75], v[30:31]
	v_fma_f64 v[6:7], v[8:9], v[22:23], v[6:7]
	v_add_f64 v[116:117], v[6:7], v[76:77]
	ds_read_b128 v[6:9], v91 offset:2080
	s_waitcnt lgkmcnt(0)
	v_mul_f64 v[30:31], v[8:9], v[12:13]
	v_mul_f64 v[32:33], v[6:7], v[12:13]
	v_fma_f64 v[30:31], v[6:7], v[10:11], -v[30:31]
	v_fma_f64 v[32:33], v[8:9], v[10:11], v[32:33]
	v_add_f64 v[118:119], v[82:83], v[30:31]
	v_mul_f64 v[30:31], v[8:9], v[16:17]
	v_add_f64 v[120:121], v[32:33], v[84:85]
	v_mul_f64 v[32:33], v[6:7], v[16:17]
	v_fma_f64 v[30:31], v[6:7], v[14:15], -v[30:31]
	v_fma_f64 v[32:33], v[8:9], v[14:15], v[32:33]
	v_add_f64 v[122:123], v[86:87], v[30:31]
	v_mul_f64 v[30:31], v[8:9], v[20:21]
	v_add_f64 v[124:125], v[32:33], v[88:89]
	;; [unrolled: 6-line block ×3, first 2 shown]
	v_fma_f64 v[30:31], v[6:7], v[22:23], -v[30:31]
	v_mul_f64 v[6:7], v[6:7], v[24:25]
	v_add_f64 v[98:99], v[98:99], v[30:31]
	v_fma_f64 v[6:7], v[8:9], v[22:23], v[6:7]
	v_add_f64 v[100:101], v[6:7], v[100:101]
	ds_read_b128 v[6:9], v91 offset:3104
	s_waitcnt lgkmcnt(0)
	v_mul_f64 v[30:31], v[8:9], v[12:13]
	v_mul_f64 v[12:13], v[6:7], v[12:13]
	v_fma_f64 v[30:31], v[6:7], v[10:11], -v[30:31]
	v_fma_f64 v[10:11], v[8:9], v[10:11], v[12:13]
	v_mul_f64 v[12:13], v[6:7], v[16:17]
	v_add_f64 v[86:87], v[58:59], v[30:31]
	v_add_f64 v[88:89], v[10:11], v[60:61]
	v_mul_f64 v[10:11], v[8:9], v[16:17]
	v_fma_f64 v[12:13], v[8:9], v[14:15], v[12:13]
	v_fma_f64 v[10:11], v[6:7], v[14:15], -v[10:11]
	v_add_f64 v[84:85], v[12:13], v[56:57]
	v_mul_f64 v[12:13], v[6:7], v[20:21]
	ds_read_b128 v[14:17], v90 offset:3328
	v_add_f64 v[82:83], v[54:55], v[10:11]
	v_mul_f64 v[10:11], v[8:9], v[20:21]
	v_fma_f64 v[12:13], v[8:9], v[18:19], v[12:13]
	v_fma_f64 v[10:11], v[6:7], v[18:19], -v[10:11]
	ds_read_b128 v[18:21], v90 offset:3072
	v_add_f64 v[80:81], v[12:13], v[52:53]
	v_add_f64 v[78:79], v[50:51], v[10:11]
	v_mul_f64 v[10:11], v[8:9], v[24:25]
	v_fma_f64 v[10:11], v[6:7], v[22:23], -v[10:11]
	v_mul_f64 v[6:7], v[6:7], v[24:25]
	v_add_f64 v[74:75], v[46:47], v[10:11]
	v_fma_f64 v[6:7], v[8:9], v[22:23], v[6:7]
	s_waitcnt lgkmcnt(0)
	v_mul_f64 v[8:9], v[2:3], v[20:21]
	ds_read_b128 v[10:13], v90 offset:3584
	v_add_f64 v[76:77], v[6:7], v[48:49]
	v_mul_f64 v[6:7], v[4:5], v[20:21]
	v_fma_f64 v[8:9], v[4:5], v[18:19], v[8:9]
	v_fma_f64 v[6:7], v[2:3], v[18:19], -v[6:7]
	v_add_f64 v[52:53], v[8:9], v[44:45]
	v_mul_f64 v[8:9], v[2:3], v[16:17]
	v_add_f64 v[48:49], v[42:43], v[6:7]
	v_mul_f64 v[6:7], v[4:5], v[16:17]
	v_fma_f64 v[8:9], v[4:5], v[14:15], v[8:9]
	v_fma_f64 v[6:7], v[2:3], v[14:15], -v[6:7]
	v_add_f64 v[36:37], v[8:9], v[40:41]
	s_waitcnt lgkmcnt(0)
	v_mul_f64 v[8:9], v[2:3], v[12:13]
	v_add_f64 v[34:35], v[38:39], v[6:7]
	v_mul_f64 v[6:7], v[4:5], v[12:13]
	v_fma_f64 v[8:9], v[4:5], v[10:11], v[8:9]
	v_fma_f64 v[6:7], v[2:3], v[10:11], -v[6:7]
	v_add_f64 v[32:33], v[8:9], v[104:105]
	v_add_f64 v[30:31], v[102:103], v[6:7]
	ds_read_b128 v[6:9], v90 offset:3840
	s_waitcnt lgkmcnt(0)
	v_mul_f64 v[22:23], v[4:5], v[8:9]
	v_fma_f64 v[22:23], v[2:3], v[6:7], -v[22:23]
	v_mul_f64 v[2:3], v[2:3], v[8:9]
	v_add_f64 v[22:23], v[106:107], v[22:23]
	v_fma_f64 v[2:3], v[4:5], v[6:7], v[2:3]
	v_add_f64 v[24:25], v[2:3], v[108:109]
	ds_read_b128 v[2:5], v91 offset:1072
	s_waitcnt lgkmcnt(0)
	v_mul_f64 v[38:39], v[4:5], v[20:21]
	v_mul_f64 v[40:41], v[2:3], v[20:21]
	v_fma_f64 v[38:39], v[2:3], v[18:19], -v[38:39]
	v_fma_f64 v[40:41], v[4:5], v[18:19], v[40:41]
	v_add_f64 v[70:71], v[62:63], v[38:39]
	v_mul_f64 v[38:39], v[4:5], v[16:17]
	v_add_f64 v[72:73], v[40:41], v[64:65]
	v_mul_f64 v[40:41], v[2:3], v[16:17]
	v_fma_f64 v[38:39], v[2:3], v[14:15], -v[38:39]
	v_fma_f64 v[40:41], v[4:5], v[14:15], v[40:41]
	v_add_f64 v[62:63], v[66:67], v[38:39]
	v_mul_f64 v[38:39], v[4:5], v[12:13]
	v_add_f64 v[64:65], v[40:41], v[68:69]
	;; [unrolled: 6-line block ×3, first 2 shown]
	v_fma_f64 v[38:39], v[2:3], v[6:7], -v[38:39]
	v_mul_f64 v[2:3], v[2:3], v[8:9]
	v_add_f64 v[42:43], v[114:115], v[38:39]
	v_fma_f64 v[2:3], v[4:5], v[6:7], v[2:3]
	v_add_f64 v[46:47], v[2:3], v[116:117]
	ds_read_b128 v[2:5], v91 offset:2096
	s_waitcnt lgkmcnt(0)
	v_mul_f64 v[38:39], v[4:5], v[20:21]
	v_mul_f64 v[40:41], v[2:3], v[20:21]
	v_fma_f64 v[38:39], v[2:3], v[18:19], -v[38:39]
	v_fma_f64 v[40:41], v[4:5], v[18:19], v[40:41]
	v_add_f64 v[66:67], v[118:119], v[38:39]
	v_mul_f64 v[38:39], v[4:5], v[16:17]
	v_add_f64 v[68:69], v[40:41], v[120:121]
	v_mul_f64 v[40:41], v[2:3], v[16:17]
	v_fma_f64 v[38:39], v[2:3], v[14:15], -v[38:39]
	v_fma_f64 v[40:41], v[4:5], v[14:15], v[40:41]
	v_add_f64 v[56:57], v[122:123], v[38:39]
	v_mul_f64 v[38:39], v[4:5], v[12:13]
	v_add_f64 v[60:61], v[40:41], v[124:125]
	;; [unrolled: 6-line block ×3, first 2 shown]
	v_fma_f64 v[38:39], v[2:3], v[6:7], -v[38:39]
	v_mul_f64 v[2:3], v[2:3], v[8:9]
	v_add_f64 v[38:39], v[98:99], v[38:39]
	v_fma_f64 v[2:3], v[4:5], v[6:7], v[2:3]
	v_add_f64 v[40:41], v[2:3], v[100:101]
	ds_read_b128 v[2:5], v91 offset:3120
	s_waitcnt lgkmcnt(0)
	s_barrier
	buffer_gl0_inv
	v_mul_f64 v[94:95], v[4:5], v[20:21]
	v_mul_f64 v[20:21], v[2:3], v[20:21]
	v_fma_f64 v[94:95], v[2:3], v[18:19], -v[94:95]
	v_fma_f64 v[20:21], v[4:5], v[18:19], v[20:21]
	v_add_f64 v[18:19], v[86:87], v[94:95]
	v_mul_f64 v[86:87], v[4:5], v[16:17]
	v_mul_f64 v[16:17], v[2:3], v[16:17]
	v_add_f64 v[20:21], v[20:21], v[88:89]
	v_fma_f64 v[86:87], v[2:3], v[14:15], -v[86:87]
	v_fma_f64 v[16:17], v[4:5], v[14:15], v[16:17]
	v_add_f64 v[14:15], v[82:83], v[86:87]
	v_mul_f64 v[82:83], v[4:5], v[12:13]
	v_mul_f64 v[12:13], v[2:3], v[12:13]
	v_add_f64 v[16:17], v[16:17], v[84:85]
	v_fma_f64 v[82:83], v[2:3], v[10:11], -v[82:83]
	v_fma_f64 v[12:13], v[4:5], v[10:11], v[12:13]
	v_add_f64 v[10:11], v[78:79], v[82:83]
	v_mul_f64 v[78:79], v[4:5], v[8:9]
	v_add_f64 v[12:13], v[12:13], v[80:81]
	v_fma_f64 v[78:79], v[2:3], v[6:7], -v[78:79]
	v_mul_f64 v[2:3], v[2:3], v[8:9]
	v_add_f64 v[74:75], v[74:75], v[78:79]
	v_fma_f64 v[2:3], v[4:5], v[6:7], v[2:3]
	v_add_f64 v[76:77], v[2:3], v[76:77]
	s_cbranch_vccnz .LBB270_2
	s_branch .LBB270_4
.LBB270_3:
	v_mov_b32_e32 v48, 0
	v_mov_b32_e32 v52, 0
	;; [unrolled: 1-line block ×64, first 2 shown]
.LBB270_4:
	s_load_dwordx2 s[4:5], s[4:5], 0x90
	v_cmp_neq_f64_e64 s10, s[14:15], 0
	v_cmp_neq_f64_e64 s11, s[16:17], 0
	v_add_co_u32 v6, s8, s8, v1
	v_add_co_ci_u32_e64 v7, null, s9, 0, s8
	s_waitcnt lgkmcnt(0)
	s_lshl_b64 s[4:5], s[4:5], 4
	s_add_u32 s4, s2, s4
	s_addc_u32 s5, s3, s5
	v_add_co_u32 v0, s3, s6, v0
	v_add_co_ci_u32_e64 v1, null, s7, 0, s3
	s_or_b32 s2, s10, s11
	s_and_b32 vcc_lo, exec_lo, s2
	s_cbranch_vccnz .LBB270_6
; %bb.5:
	v_mul_f64 v[4:5], s[40:41], v[52:53]
	v_mul_f64 v[8:9], s[38:39], v[52:53]
	v_mul_lo_u32 v78, v7, s26
	v_mul_lo_u32 v79, v6, s27
	v_mad_u64_u32 v[2:3], null, v6, s26, 0
	v_mul_f64 v[26:27], s[40:41], v[36:37]
	v_mul_f64 v[28:29], s[38:39], v[36:37]
	;; [unrolled: 1-line block ×6, first 2 shown]
	v_add3_u32 v3, v3, v79, v78
	v_mul_f64 v[78:79], s[40:41], v[32:33]
	v_mul_f64 v[88:89], s[38:39], v[72:73]
	;; [unrolled: 1-line block ×4, first 2 shown]
	v_lshlrev_b64 v[2:3], 4, v[2:3]
	v_mul_f64 v[94:95], s[40:41], v[58:59]
	v_mul_f64 v[96:97], s[38:39], v[58:59]
	;; [unrolled: 1-line block ×4, first 2 shown]
	s_lshl_b64 s[2:3], s[26:27], 8
	v_add_co_u32 v104, vcc_lo, s4, v2
	v_add_co_ci_u32_e64 v105, null, s5, v3, vcc_lo
	v_fma_f64 v[2:3], s[38:39], v[48:49], -v[4:5]
	v_fma_f64 v[4:5], s[40:41], v[48:49], v[8:9]
	v_lshlrev_b64 v[8:9], 4, v[0:1]
	v_fma_f64 v[26:27], s[38:39], v[34:35], -v[26:27]
	v_fma_f64 v[28:29], s[40:41], v[34:35], v[28:29]
	v_fma_f64 v[80:81], s[40:41], v[30:31], v[80:81]
	v_fma_f64 v[82:83], s[38:39], v[22:23], -v[82:83]
	v_fma_f64 v[84:85], s[40:41], v[22:23], v[84:85]
	v_add_co_u32 v102, vcc_lo, v104, v8
	v_fma_f64 v[78:79], s[38:39], v[30:31], -v[78:79]
	v_add_co_ci_u32_e64 v103, null, v105, v9, vcc_lo
	v_fma_f64 v[86:87], s[38:39], v[70:71], -v[86:87]
	v_fma_f64 v[88:89], s[40:41], v[70:71], v[88:89]
	v_fma_f64 v[90:91], s[38:39], v[62:63], -v[90:91]
	v_fma_f64 v[92:93], s[40:41], v[62:63], v[92:93]
	;; [unrolled: 2-line block ×3, first 2 shown]
	v_add_co_u32 v106, vcc_lo, v104, s2
	v_add_co_ci_u32_e64 v107, null, s3, v105, vcc_lo
	flat_store_dwordx4 v[102:103], v[2:5]
	v_fma_f64 v[2:3], s[38:39], v[42:43], -v[98:99]
	v_fma_f64 v[4:5], s[40:41], v[42:43], v[100:101]
	v_add_co_u32 v104, vcc_lo, v106, v8
	v_add_co_ci_u32_e64 v105, null, v107, v9, vcc_lo
	flat_store_dwordx4 v[102:103], v[26:29] offset:256
	flat_store_dwordx4 v[102:103], v[78:81] offset:512
	;; [unrolled: 1-line block ×3, first 2 shown]
	flat_store_dwordx4 v[104:105], v[86:89]
	flat_store_dwordx4 v[104:105], v[90:93] offset:256
	flat_store_dwordx4 v[104:105], v[94:97] offset:512
	v_mul_f64 v[26:27], s[40:41], v[68:69]
	v_mul_f64 v[28:29], s[38:39], v[68:69]
	;; [unrolled: 1-line block ×12, first 2 shown]
	flat_store_dwordx4 v[104:105], v[2:5] offset:768
	v_mul_f64 v[2:3], s[40:41], v[76:77]
	v_mul_f64 v[4:5], s[38:39], v[76:77]
	;; [unrolled: 1-line block ×4, first 2 shown]
	v_add_co_u32 v104, vcc_lo, v106, s2
	v_add_co_ci_u32_e64 v105, null, s3, v107, vcc_lo
	v_fma_f64 v[26:27], s[38:39], v[66:67], -v[26:27]
	v_fma_f64 v[28:29], s[40:41], v[66:67], v[28:29]
	v_fma_f64 v[78:79], s[38:39], v[56:57], -v[78:79]
	v_fma_f64 v[80:81], s[40:41], v[56:57], v[80:81]
	;; [unrolled: 2-line block ×6, first 2 shown]
	v_add_co_u32 v106, vcc_lo, v104, s2
	v_fma_f64 v[102:103], s[38:39], v[74:75], -v[2:3]
	v_fma_f64 v[2:3], s[40:41], v[74:75], v[4:5]
	v_fma_f64 v[98:99], s[38:39], v[10:11], -v[98:99]
	v_fma_f64 v[100:101], s[40:41], v[10:11], v[100:101]
	v_add_co_ci_u32_e64 v107, null, s3, v105, vcc_lo
	v_add_co_u32 v4, vcc_lo, v104, v8
	v_add_co_ci_u32_e64 v5, null, v105, v9, vcc_lo
	v_add_co_u32 v8, vcc_lo, v106, v8
	v_add_co_ci_u32_e64 v9, null, v107, v9, vcc_lo
	flat_store_dwordx4 v[4:5], v[26:29]
	flat_store_dwordx4 v[4:5], v[78:81] offset:256
	flat_store_dwordx4 v[4:5], v[82:85] offset:512
	;; [unrolled: 1-line block ×3, first 2 shown]
	flat_store_dwordx4 v[8:9], v[90:93]
	v_add_co_u32 v4, vcc_lo, 0x300, v8
	v_add_co_ci_u32_e64 v5, null, 0, v9, vcc_lo
	flat_store_dwordx4 v[8:9], v[94:97] offset:256
	flat_store_dwordx4 v[8:9], v[98:101] offset:512
	flat_store_dwordx2 v[8:9], v[102:103] offset:768
	s_cbranch_execz .LBB270_7
	s_branch .LBB270_8
.LBB270_6:
                                        ; implicit-def: $vgpr2_vgpr3
                                        ; implicit-def: $vgpr4_vgpr5
.LBB270_7:
	v_mul_lo_u32 v4, v7, s20
	v_mul_lo_u32 v5, v6, s21
	v_mad_u64_u32 v[2:3], null, v6, s20, 0
	s_lshl_b64 s[2:3], s[22:23], 4
	v_mul_f64 v[26:27], s[40:41], v[52:53]
	s_add_u32 s0, s0, s2
	s_addc_u32 s1, s1, s3
	v_mul_f64 v[28:29], s[38:39], v[52:53]
	s_lshl_b64 s[2:3], s[26:27], 8
	v_add3_u32 v3, v3, v5, v4
	v_lshlrev_b64 v[4:5], 4, v[0:1]
	v_lshlrev_b64 v[2:3], 4, v[2:3]
	v_add_co_u32 v78, vcc_lo, s0, v2
	v_add_co_ci_u32_e64 v79, null, s1, v3, vcc_lo
	s_lshl_b64 s[0:1], s[20:21], 8
	v_add_co_u32 v8, vcc_lo, v78, v4
	v_add_co_ci_u32_e64 v9, null, v79, v5, vcc_lo
	v_fma_f64 v[26:27], s[38:39], v[48:49], -v[26:27]
	v_fma_f64 v[28:29], s[40:41], v[48:49], v[28:29]
	flat_load_dwordx4 v[0:3], v[8:9]
	s_waitcnt vmcnt(0) lgkmcnt(0)
	v_mul_f64 v[52:53], s[16:17], v[2:3]
	v_mul_f64 v[2:3], s[14:15], v[2:3]
	v_fma_f64 v[48:49], s[14:15], v[0:1], -v[52:53]
	v_fma_f64 v[2:3], s[16:17], v[0:1], v[2:3]
	v_mul_lo_u32 v0, v7, s26
	v_mul_lo_u32 v1, v6, s27
	v_mad_u64_u32 v[6:7], null, v6, s26, 0
	v_add3_u32 v7, v7, v1, v0
	v_lshlrev_b64 v[6:7], 4, v[6:7]
	v_add_f64 v[0:1], v[26:27], v[48:49]
	v_add_f64 v[2:3], v[28:29], v[2:3]
	v_add_co_u32 v48, vcc_lo, s4, v6
	v_add_co_ci_u32_e64 v49, null, s5, v7, vcc_lo
	v_mul_f64 v[26:27], s[40:41], v[36:37]
	v_add_co_u32 v6, vcc_lo, v48, v4
	v_add_co_ci_u32_e64 v7, null, v49, v5, vcc_lo
	v_mul_f64 v[28:29], s[38:39], v[36:37]
	flat_store_dwordx4 v[6:7], v[0:3]
	flat_load_dwordx4 v[0:3], v[8:9] offset:256
	v_fma_f64 v[26:27], s[38:39], v[34:35], -v[26:27]
	v_fma_f64 v[28:29], s[40:41], v[34:35], v[28:29]
	s_waitcnt vmcnt(0) lgkmcnt(0)
	v_mul_f64 v[36:37], s[16:17], v[2:3]
	v_mul_f64 v[2:3], s[14:15], v[2:3]
	v_fma_f64 v[34:35], s[14:15], v[0:1], -v[36:37]
	v_fma_f64 v[2:3], s[16:17], v[0:1], v[2:3]
	v_add_f64 v[0:1], v[26:27], v[34:35]
	v_add_f64 v[2:3], v[28:29], v[2:3]
	v_mul_f64 v[26:27], s[40:41], v[32:33]
	v_mul_f64 v[28:29], s[38:39], v[32:33]
	flat_store_dwordx4 v[6:7], v[0:3] offset:256
	flat_load_dwordx4 v[0:3], v[8:9] offset:512
	v_fma_f64 v[26:27], s[38:39], v[30:31], -v[26:27]
	v_fma_f64 v[28:29], s[40:41], v[30:31], v[28:29]
	s_waitcnt vmcnt(0) lgkmcnt(0)
	v_mul_f64 v[32:33], s[16:17], v[2:3]
	v_mul_f64 v[2:3], s[14:15], v[2:3]
	v_fma_f64 v[30:31], s[14:15], v[0:1], -v[32:33]
	v_fma_f64 v[2:3], s[16:17], v[0:1], v[2:3]
	v_add_f64 v[0:1], v[26:27], v[30:31]
	v_add_f64 v[2:3], v[28:29], v[2:3]
	v_add_co_u32 v28, vcc_lo, v78, s0
	v_add_co_ci_u32_e64 v29, null, s1, v79, vcc_lo
	flat_store_dwordx4 v[6:7], v[0:3] offset:512
	flat_load_dwordx4 v[0:3], v[8:9] offset:768
	v_mul_f64 v[8:9], s[40:41], v[24:25]
	v_mul_f64 v[24:25], s[38:39], v[24:25]
	v_fma_f64 v[8:9], s[38:39], v[22:23], -v[8:9]
	v_fma_f64 v[22:23], s[40:41], v[22:23], v[24:25]
	s_waitcnt vmcnt(0) lgkmcnt(0)
	v_mul_f64 v[26:27], s[16:17], v[2:3]
	v_mul_f64 v[2:3], s[14:15], v[2:3]
	v_fma_f64 v[24:25], s[14:15], v[0:1], -v[26:27]
	v_fma_f64 v[2:3], s[16:17], v[0:1], v[2:3]
	v_add_f64 v[0:1], v[8:9], v[24:25]
	v_add_f64 v[2:3], v[22:23], v[2:3]
	v_add_co_u32 v8, vcc_lo, v28, v4
	v_add_co_ci_u32_e64 v9, null, v29, v5, vcc_lo
	v_mul_f64 v[22:23], s[38:39], v[72:73]
	v_add_co_u32 v30, vcc_lo, v48, s2
	v_add_co_ci_u32_e64 v31, null, s3, v49, vcc_lo
	flat_store_dwordx4 v[6:7], v[0:3] offset:768
	flat_load_dwordx4 v[0:3], v[8:9]
	v_mul_f64 v[6:7], s[40:41], v[72:73]
	v_fma_f64 v[22:23], s[40:41], v[70:71], v[22:23]
	v_fma_f64 v[6:7], s[38:39], v[70:71], -v[6:7]
	s_waitcnt vmcnt(0) lgkmcnt(0)
	v_mul_f64 v[24:25], s[16:17], v[2:3]
	v_mul_f64 v[2:3], s[14:15], v[2:3]
	v_fma_f64 v[24:25], s[14:15], v[0:1], -v[24:25]
	v_fma_f64 v[2:3], s[16:17], v[0:1], v[2:3]
	v_add_f64 v[0:1], v[6:7], v[24:25]
	v_add_f64 v[2:3], v[22:23], v[2:3]
	v_add_co_u32 v6, vcc_lo, v30, v4
	v_add_co_ci_u32_e64 v7, null, v31, v5, vcc_lo
	v_mul_f64 v[22:23], s[40:41], v[64:65]
	v_mul_f64 v[24:25], s[38:39], v[64:65]
	v_add_co_u32 v28, vcc_lo, v28, s0
	v_add_co_ci_u32_e64 v29, null, s1, v29, vcc_lo
	flat_store_dwordx4 v[6:7], v[0:3]
	flat_load_dwordx4 v[0:3], v[8:9] offset:256
	v_fma_f64 v[22:23], s[38:39], v[62:63], -v[22:23]
	v_fma_f64 v[24:25], s[40:41], v[62:63], v[24:25]
	s_waitcnt vmcnt(0) lgkmcnt(0)
	v_mul_f64 v[26:27], s[16:17], v[2:3]
	v_mul_f64 v[2:3], s[14:15], v[2:3]
	v_fma_f64 v[26:27], s[14:15], v[0:1], -v[26:27]
	v_fma_f64 v[2:3], s[16:17], v[0:1], v[2:3]
	v_add_f64 v[0:1], v[22:23], v[26:27]
	v_add_f64 v[2:3], v[24:25], v[2:3]
	v_mul_f64 v[22:23], s[40:41], v[58:59]
	v_mul_f64 v[24:25], s[38:39], v[58:59]
	flat_store_dwordx4 v[6:7], v[0:3] offset:256
	flat_load_dwordx4 v[0:3], v[8:9] offset:512
	v_fma_f64 v[22:23], s[38:39], v[54:55], -v[22:23]
	v_fma_f64 v[24:25], s[40:41], v[54:55], v[24:25]
	s_waitcnt vmcnt(0) lgkmcnt(0)
	v_mul_f64 v[26:27], s[16:17], v[2:3]
	v_mul_f64 v[2:3], s[14:15], v[2:3]
	v_fma_f64 v[26:27], s[14:15], v[0:1], -v[26:27]
	v_fma_f64 v[2:3], s[16:17], v[0:1], v[2:3]
	v_add_f64 v[0:1], v[22:23], v[26:27]
	v_add_f64 v[2:3], v[24:25], v[2:3]
	v_mul_f64 v[22:23], s[38:39], v[46:47]
	flat_store_dwordx4 v[6:7], v[0:3] offset:512
	flat_load_dwordx4 v[0:3], v[8:9] offset:768
	v_mul_f64 v[8:9], s[40:41], v[46:47]
	v_fma_f64 v[22:23], s[40:41], v[42:43], v[22:23]
	v_fma_f64 v[8:9], s[38:39], v[42:43], -v[8:9]
	s_waitcnt vmcnt(0) lgkmcnt(0)
	v_mul_f64 v[24:25], s[16:17], v[2:3]
	v_mul_f64 v[2:3], s[14:15], v[2:3]
	v_fma_f64 v[24:25], s[14:15], v[0:1], -v[24:25]
	v_fma_f64 v[2:3], s[16:17], v[0:1], v[2:3]
	v_add_f64 v[0:1], v[8:9], v[24:25]
	v_add_f64 v[2:3], v[22:23], v[2:3]
	v_add_co_u32 v8, vcc_lo, v28, v4
	v_add_co_ci_u32_e64 v9, null, v29, v5, vcc_lo
	v_mul_f64 v[22:23], s[38:39], v[68:69]
	v_add_co_u32 v30, vcc_lo, v30, s2
	v_add_co_ci_u32_e64 v31, null, s3, v31, vcc_lo
	flat_store_dwordx4 v[6:7], v[0:3] offset:768
	flat_load_dwordx4 v[0:3], v[8:9]
	v_mul_f64 v[6:7], s[40:41], v[68:69]
	v_fma_f64 v[22:23], s[40:41], v[66:67], v[22:23]
	v_fma_f64 v[6:7], s[38:39], v[66:67], -v[6:7]
	s_waitcnt vmcnt(0) lgkmcnt(0)
	v_mul_f64 v[24:25], s[16:17], v[2:3]
	v_mul_f64 v[2:3], s[14:15], v[2:3]
	v_fma_f64 v[24:25], s[14:15], v[0:1], -v[24:25]
	v_fma_f64 v[2:3], s[16:17], v[0:1], v[2:3]
	v_add_f64 v[0:1], v[6:7], v[24:25]
	v_add_f64 v[2:3], v[22:23], v[2:3]
	v_add_co_u32 v6, vcc_lo, v30, v4
	v_add_co_ci_u32_e64 v7, null, v31, v5, vcc_lo
	v_mul_f64 v[22:23], s[40:41], v[60:61]
	v_mul_f64 v[24:25], s[38:39], v[60:61]
	flat_store_dwordx4 v[6:7], v[0:3]
	flat_load_dwordx4 v[0:3], v[8:9] offset:256
	v_fma_f64 v[22:23], s[38:39], v[56:57], -v[22:23]
	v_fma_f64 v[24:25], s[40:41], v[56:57], v[24:25]
	s_waitcnt vmcnt(0) lgkmcnt(0)
	v_mul_f64 v[26:27], s[16:17], v[2:3]
	v_mul_f64 v[2:3], s[14:15], v[2:3]
	v_fma_f64 v[26:27], s[14:15], v[0:1], -v[26:27]
	v_fma_f64 v[2:3], s[16:17], v[0:1], v[2:3]
	v_add_f64 v[0:1], v[22:23], v[26:27]
	v_add_f64 v[2:3], v[24:25], v[2:3]
	v_mul_f64 v[22:23], s[40:41], v[50:51]
	v_mul_f64 v[24:25], s[38:39], v[50:51]
	flat_store_dwordx4 v[6:7], v[0:3] offset:256
	flat_load_dwordx4 v[0:3], v[8:9] offset:512
	v_fma_f64 v[22:23], s[38:39], v[44:45], -v[22:23]
	v_fma_f64 v[24:25], s[40:41], v[44:45], v[24:25]
	s_waitcnt vmcnt(0) lgkmcnt(0)
	v_mul_f64 v[26:27], s[16:17], v[2:3]
	v_mul_f64 v[2:3], s[14:15], v[2:3]
	v_fma_f64 v[26:27], s[14:15], v[0:1], -v[26:27]
	v_fma_f64 v[2:3], s[16:17], v[0:1], v[2:3]
	v_add_f64 v[0:1], v[22:23], v[26:27]
	v_add_f64 v[2:3], v[24:25], v[2:3]
	v_mul_f64 v[22:23], s[38:39], v[40:41]
	flat_store_dwordx4 v[6:7], v[0:3] offset:512
	flat_load_dwordx4 v[0:3], v[8:9] offset:768
	v_mul_f64 v[8:9], s[40:41], v[40:41]
	v_fma_f64 v[22:23], s[40:41], v[38:39], v[22:23]
	v_fma_f64 v[8:9], s[38:39], v[38:39], -v[8:9]
	s_waitcnt vmcnt(0) lgkmcnt(0)
	v_mul_f64 v[24:25], s[16:17], v[2:3]
	v_mul_f64 v[2:3], s[14:15], v[2:3]
	v_fma_f64 v[24:25], s[14:15], v[0:1], -v[24:25]
	v_fma_f64 v[2:3], s[16:17], v[0:1], v[2:3]
	v_add_f64 v[0:1], v[8:9], v[24:25]
	v_add_f64 v[2:3], v[22:23], v[2:3]
	v_add_co_u32 v8, vcc_lo, v28, s0
	v_add_co_ci_u32_e64 v9, null, s1, v29, vcc_lo
	v_add_co_u32 v8, vcc_lo, v8, v4
	v_add_co_ci_u32_e64 v9, null, v9, v5, vcc_lo
	flat_store_dwordx4 v[6:7], v[0:3] offset:768
	flat_load_dwordx4 v[0:3], v[8:9]
	v_mul_f64 v[6:7], s[40:41], v[20:21]
	v_mul_f64 v[20:21], s[38:39], v[20:21]
	v_fma_f64 v[6:7], s[38:39], v[18:19], -v[6:7]
	v_fma_f64 v[18:19], s[40:41], v[18:19], v[20:21]
	s_waitcnt vmcnt(0) lgkmcnt(0)
	v_mul_f64 v[22:23], s[16:17], v[2:3]
	v_mul_f64 v[2:3], s[14:15], v[2:3]
	v_fma_f64 v[20:21], s[14:15], v[0:1], -v[22:23]
	v_fma_f64 v[2:3], s[16:17], v[0:1], v[2:3]
	v_add_f64 v[0:1], v[6:7], v[20:21]
	v_add_f64 v[2:3], v[18:19], v[2:3]
	v_add_co_u32 v6, vcc_lo, v30, s2
	v_add_co_ci_u32_e64 v7, null, s3, v31, vcc_lo
	v_add_co_u32 v6, vcc_lo, v6, v4
	v_add_co_ci_u32_e64 v7, null, v7, v5, vcc_lo
	v_mul_f64 v[4:5], s[40:41], v[16:17]
	v_mul_f64 v[16:17], s[38:39], v[16:17]
	flat_store_dwordx4 v[6:7], v[0:3]
	flat_load_dwordx4 v[0:3], v[8:9] offset:256
	v_fma_f64 v[4:5], s[38:39], v[14:15], -v[4:5]
	v_fma_f64 v[14:15], s[40:41], v[14:15], v[16:17]
	s_waitcnt vmcnt(0) lgkmcnt(0)
	v_mul_f64 v[18:19], s[16:17], v[2:3]
	v_mul_f64 v[2:3], s[14:15], v[2:3]
	v_fma_f64 v[16:17], s[14:15], v[0:1], -v[18:19]
	v_fma_f64 v[2:3], s[16:17], v[0:1], v[2:3]
	v_add_f64 v[0:1], v[4:5], v[16:17]
	v_add_f64 v[2:3], v[14:15], v[2:3]
	v_mul_f64 v[4:5], s[40:41], v[12:13]
	v_mul_f64 v[12:13], s[38:39], v[12:13]
	flat_store_dwordx4 v[6:7], v[0:3] offset:256
	flat_load_dwordx4 v[0:3], v[8:9] offset:512
	v_fma_f64 v[4:5], s[38:39], v[10:11], -v[4:5]
	v_fma_f64 v[10:11], s[40:41], v[10:11], v[12:13]
	s_waitcnt vmcnt(0) lgkmcnt(0)
	v_mul_f64 v[14:15], s[16:17], v[2:3]
	v_mul_f64 v[2:3], s[14:15], v[2:3]
	v_fma_f64 v[12:13], s[14:15], v[0:1], -v[14:15]
	v_fma_f64 v[2:3], s[16:17], v[0:1], v[2:3]
	v_add_f64 v[0:1], v[4:5], v[12:13]
	v_add_f64 v[2:3], v[10:11], v[2:3]
	v_mul_f64 v[4:5], s[40:41], v[76:77]
	flat_store_dwordx4 v[6:7], v[0:3] offset:512
	flat_load_dwordx4 v[0:3], v[8:9] offset:768
	v_mul_f64 v[8:9], s[38:39], v[76:77]
	v_fma_f64 v[4:5], s[38:39], v[74:75], -v[4:5]
	v_fma_f64 v[8:9], s[40:41], v[74:75], v[8:9]
	s_waitcnt vmcnt(0) lgkmcnt(0)
	v_mul_f64 v[10:11], s[16:17], v[2:3]
	v_mul_f64 v[2:3], s[14:15], v[2:3]
	v_fma_f64 v[10:11], s[14:15], v[0:1], -v[10:11]
	v_fma_f64 v[0:1], s[16:17], v[0:1], v[2:3]
	v_add_f64 v[10:11], v[4:5], v[10:11]
	v_add_f64 v[2:3], v[8:9], v[0:1]
	v_add_co_u32 v4, vcc_lo, 0x300, v6
	v_add_co_ci_u32_e64 v5, null, 0, v7, vcc_lo
	flat_store_dwordx2 v[6:7], v[10:11] offset:768
.LBB270_8:
	flat_store_dwordx2 v[4:5], v[2:3] offset:8
	s_endpgm
	.section	.rodata,"a",@progbits
	.p2align	6, 0x0
	.amdhsa_kernel _ZN12_GLOBAL__N_127rocblas_gemm_batched_kernelI19rocblas_complex_numIdELi16ELi16ELi64ELi64ELi4ELi64ELi4ELi4ELi64ELc78ELc67EKPKS2_S5_KPS2_EEvlllT_PT11_llSA_llS8_PT12_llPT13_lli
		.amdhsa_group_segment_fixed_size 8192
		.amdhsa_private_segment_fixed_size 0
		.amdhsa_kernarg_size 156
		.amdhsa_user_sgpr_count 6
		.amdhsa_user_sgpr_private_segment_buffer 1
		.amdhsa_user_sgpr_dispatch_ptr 0
		.amdhsa_user_sgpr_queue_ptr 0
		.amdhsa_user_sgpr_kernarg_segment_ptr 1
		.amdhsa_user_sgpr_dispatch_id 0
		.amdhsa_user_sgpr_flat_scratch_init 0
		.amdhsa_user_sgpr_private_segment_size 0
		.amdhsa_wavefront_size32 1
		.amdhsa_uses_dynamic_stack 0
		.amdhsa_system_sgpr_private_segment_wavefront_offset 0
		.amdhsa_system_sgpr_workgroup_id_x 1
		.amdhsa_system_sgpr_workgroup_id_y 1
		.amdhsa_system_sgpr_workgroup_id_z 1
		.amdhsa_system_sgpr_workgroup_info 0
		.amdhsa_system_vgpr_workitem_id 1
		.amdhsa_next_free_vgpr 138
		.amdhsa_next_free_sgpr 52
		.amdhsa_reserve_vcc 1
		.amdhsa_reserve_flat_scratch 0
		.amdhsa_float_round_mode_32 0
		.amdhsa_float_round_mode_16_64 0
		.amdhsa_float_denorm_mode_32 3
		.amdhsa_float_denorm_mode_16_64 3
		.amdhsa_dx10_clamp 1
		.amdhsa_ieee_mode 1
		.amdhsa_fp16_overflow 0
		.amdhsa_workgroup_processor_mode 1
		.amdhsa_memory_ordered 1
		.amdhsa_forward_progress 1
		.amdhsa_shared_vgpr_count 0
		.amdhsa_exception_fp_ieee_invalid_op 0
		.amdhsa_exception_fp_denorm_src 0
		.amdhsa_exception_fp_ieee_div_zero 0
		.amdhsa_exception_fp_ieee_overflow 0
		.amdhsa_exception_fp_ieee_underflow 0
		.amdhsa_exception_fp_ieee_inexact 0
		.amdhsa_exception_int_div_zero 0
	.end_amdhsa_kernel
	.section	.text._ZN12_GLOBAL__N_127rocblas_gemm_batched_kernelI19rocblas_complex_numIdELi16ELi16ELi64ELi64ELi4ELi64ELi4ELi4ELi64ELc78ELc67EKPKS2_S5_KPS2_EEvlllT_PT11_llSA_llS8_PT12_llPT13_lli,"axG",@progbits,_ZN12_GLOBAL__N_127rocblas_gemm_batched_kernelI19rocblas_complex_numIdELi16ELi16ELi64ELi64ELi4ELi64ELi4ELi4ELi64ELc78ELc67EKPKS2_S5_KPS2_EEvlllT_PT11_llSA_llS8_PT12_llPT13_lli,comdat
.Lfunc_end270:
	.size	_ZN12_GLOBAL__N_127rocblas_gemm_batched_kernelI19rocblas_complex_numIdELi16ELi16ELi64ELi64ELi4ELi64ELi4ELi4ELi64ELc78ELc67EKPKS2_S5_KPS2_EEvlllT_PT11_llSA_llS8_PT12_llPT13_lli, .Lfunc_end270-_ZN12_GLOBAL__N_127rocblas_gemm_batched_kernelI19rocblas_complex_numIdELi16ELi16ELi64ELi64ELi4ELi64ELi4ELi4ELi64ELc78ELc67EKPKS2_S5_KPS2_EEvlllT_PT11_llSA_llS8_PT12_llPT13_lli
                                        ; -- End function
	.set _ZN12_GLOBAL__N_127rocblas_gemm_batched_kernelI19rocblas_complex_numIdELi16ELi16ELi64ELi64ELi4ELi64ELi4ELi4ELi64ELc78ELc67EKPKS2_S5_KPS2_EEvlllT_PT11_llSA_llS8_PT12_llPT13_lli.num_vgpr, 138
	.set _ZN12_GLOBAL__N_127rocblas_gemm_batched_kernelI19rocblas_complex_numIdELi16ELi16ELi64ELi64ELi4ELi64ELi4ELi4ELi64ELc78ELc67EKPKS2_S5_KPS2_EEvlllT_PT11_llSA_llS8_PT12_llPT13_lli.num_agpr, 0
	.set _ZN12_GLOBAL__N_127rocblas_gemm_batched_kernelI19rocblas_complex_numIdELi16ELi16ELi64ELi64ELi4ELi64ELi4ELi4ELi64ELc78ELc67EKPKS2_S5_KPS2_EEvlllT_PT11_llSA_llS8_PT12_llPT13_lli.numbered_sgpr, 52
	.set _ZN12_GLOBAL__N_127rocblas_gemm_batched_kernelI19rocblas_complex_numIdELi16ELi16ELi64ELi64ELi4ELi64ELi4ELi4ELi64ELc78ELc67EKPKS2_S5_KPS2_EEvlllT_PT11_llSA_llS8_PT12_llPT13_lli.num_named_barrier, 0
	.set _ZN12_GLOBAL__N_127rocblas_gemm_batched_kernelI19rocblas_complex_numIdELi16ELi16ELi64ELi64ELi4ELi64ELi4ELi4ELi64ELc78ELc67EKPKS2_S5_KPS2_EEvlllT_PT11_llSA_llS8_PT12_llPT13_lli.private_seg_size, 0
	.set _ZN12_GLOBAL__N_127rocblas_gemm_batched_kernelI19rocblas_complex_numIdELi16ELi16ELi64ELi64ELi4ELi64ELi4ELi4ELi64ELc78ELc67EKPKS2_S5_KPS2_EEvlllT_PT11_llSA_llS8_PT12_llPT13_lli.uses_vcc, 1
	.set _ZN12_GLOBAL__N_127rocblas_gemm_batched_kernelI19rocblas_complex_numIdELi16ELi16ELi64ELi64ELi4ELi64ELi4ELi4ELi64ELc78ELc67EKPKS2_S5_KPS2_EEvlllT_PT11_llSA_llS8_PT12_llPT13_lli.uses_flat_scratch, 0
	.set _ZN12_GLOBAL__N_127rocblas_gemm_batched_kernelI19rocblas_complex_numIdELi16ELi16ELi64ELi64ELi4ELi64ELi4ELi4ELi64ELc78ELc67EKPKS2_S5_KPS2_EEvlllT_PT11_llSA_llS8_PT12_llPT13_lli.has_dyn_sized_stack, 0
	.set _ZN12_GLOBAL__N_127rocblas_gemm_batched_kernelI19rocblas_complex_numIdELi16ELi16ELi64ELi64ELi4ELi64ELi4ELi4ELi64ELc78ELc67EKPKS2_S5_KPS2_EEvlllT_PT11_llSA_llS8_PT12_llPT13_lli.has_recursion, 0
	.set _ZN12_GLOBAL__N_127rocblas_gemm_batched_kernelI19rocblas_complex_numIdELi16ELi16ELi64ELi64ELi4ELi64ELi4ELi4ELi64ELc78ELc67EKPKS2_S5_KPS2_EEvlllT_PT11_llSA_llS8_PT12_llPT13_lli.has_indirect_call, 0
	.section	.AMDGPU.csdata,"",@progbits
; Kernel info:
; codeLenInByte = 7368
; TotalNumSgprs: 54
; NumVgprs: 138
; ScratchSize: 0
; MemoryBound: 0
; FloatMode: 240
; IeeeMode: 1
; LDSByteSize: 8192 bytes/workgroup (compile time only)
; SGPRBlocks: 0
; VGPRBlocks: 17
; NumSGPRsForWavesPerEU: 54
; NumVGPRsForWavesPerEU: 138
; Occupancy: 7
; WaveLimiterHint : 1
; COMPUTE_PGM_RSRC2:SCRATCH_EN: 0
; COMPUTE_PGM_RSRC2:USER_SGPR: 6
; COMPUTE_PGM_RSRC2:TRAP_HANDLER: 0
; COMPUTE_PGM_RSRC2:TGID_X_EN: 1
; COMPUTE_PGM_RSRC2:TGID_Y_EN: 1
; COMPUTE_PGM_RSRC2:TGID_Z_EN: 1
; COMPUTE_PGM_RSRC2:TIDIG_COMP_CNT: 1
	.section	.text._ZN12_GLOBAL__N_127rocblas_gemm_batched_kernelI19rocblas_complex_numIdELi16ELi16ELi64ELi64ELi4ELi64ELi4ELi4ELi64ELc84ELc67EKPKS2_S5_KPS2_EEvlllT_PT11_llSA_llS8_PT12_llPT13_lli,"axG",@progbits,_ZN12_GLOBAL__N_127rocblas_gemm_batched_kernelI19rocblas_complex_numIdELi16ELi16ELi64ELi64ELi4ELi64ELi4ELi4ELi64ELc84ELc67EKPKS2_S5_KPS2_EEvlllT_PT11_llSA_llS8_PT12_llPT13_lli,comdat
	.globl	_ZN12_GLOBAL__N_127rocblas_gemm_batched_kernelI19rocblas_complex_numIdELi16ELi16ELi64ELi64ELi4ELi64ELi4ELi4ELi64ELc84ELc67EKPKS2_S5_KPS2_EEvlllT_PT11_llSA_llS8_PT12_llPT13_lli ; -- Begin function _ZN12_GLOBAL__N_127rocblas_gemm_batched_kernelI19rocblas_complex_numIdELi16ELi16ELi64ELi64ELi4ELi64ELi4ELi4ELi64ELc84ELc67EKPKS2_S5_KPS2_EEvlllT_PT11_llSA_llS8_PT12_llPT13_lli
	.p2align	8
	.type	_ZN12_GLOBAL__N_127rocblas_gemm_batched_kernelI19rocblas_complex_numIdELi16ELi16ELi64ELi64ELi4ELi64ELi4ELi4ELi64ELc84ELc67EKPKS2_S5_KPS2_EEvlllT_PT11_llSA_llS8_PT12_llPT13_lli,@function
_ZN12_GLOBAL__N_127rocblas_gemm_batched_kernelI19rocblas_complex_numIdELi16ELi16ELi64ELi64ELi4ELi64ELi4ELi4ELi64ELc84ELc67EKPKS2_S5_KPS2_EEvlllT_PT11_llSA_llS8_PT12_llPT13_lli: ; @_ZN12_GLOBAL__N_127rocblas_gemm_batched_kernelI19rocblas_complex_numIdELi16ELi16ELi64ELi64ELi4ELi64ELi4ELi4ELi64ELc84ELc67EKPKS2_S5_KPS2_EEvlllT_PT11_llSA_llS8_PT12_llPT13_lli
; %bb.0:
	s_clause 0x1
	s_load_dwordx16 s[12:27], s[4:5], 0x50
	s_load_dwordx16 s[36:51], s[4:5], 0x10
	s_mov_b32 s9, 0
	s_mov_b32 s28, s7
	s_lshl_b64 s[10:11], s[8:9], 3
	s_waitcnt lgkmcnt(0)
	s_add_u32 s0, s18, s10
	s_addc_u32 s1, s19, s11
	s_add_u32 s2, s24, s10
	s_addc_u32 s3, s25, s11
	s_load_dwordx2 s[0:1], s[0:1], 0x0
	s_load_dwordx2 s[2:3], s[2:3], 0x0
	v_cmp_lt_i64_e64 s8, s[36:37], 1
	s_ashr_i32 s7, s6, 31
	s_ashr_i32 s29, s28, 31
	s_lshl_b64 s[6:7], s[6:7], 6
	s_and_b32 vcc_lo, exec_lo, s8
	s_lshl_b64 s[8:9], s[28:29], 6
	s_cbranch_vccnz .LBB271_3
; %bb.1:
	v_lshl_add_u32 v6, v1, 4, v0
	v_and_b32_e32 v7, 3, v0
	v_mov_b32_e32 v76, 0
	v_mov_b32_e32 v74, 0
	;; [unrolled: 1-line block ×3, first 2 shown]
	v_lshrrev_b32_e32 v8, 2, v6
	v_and_b32_e32 v9, 63, v6
	v_lshrrev_b32_e32 v12, 6, v6
	v_lshlrev_b32_e32 v13, 4, v7
	v_mov_b32_e32 v14, 0
	v_add_co_u32 v2, s18, v8, s8
	v_add_co_ci_u32_e64 v3, null, 0, s9, s18
	v_add_co_u32 v4, s18, s6, v9
	v_add_co_ci_u32_e64 v5, null, s7, 0, s18
	v_mad_u64_u32 v[2:3], null, s50, v7, v[2:3]
	v_mul_lo_u32 v10, s45, v4
	v_mul_lo_u32 v11, s44, v5
	v_mad_u64_u32 v[4:5], null, s44, v4, 0
	s_add_u32 s18, s42, s10
	s_addc_u32 s19, s43, s11
	s_add_u32 s10, s48, s10
	s_addc_u32 s11, s49, s11
	s_load_dwordx2 s[18:19], s[18:19], 0x0
	s_load_dwordx2 s[10:11], s[10:11], 0x0
	v_add3_u32 v5, v5, v11, v10
	v_mad_u64_u32 v[6:7], null, s51, v7, v[3:4]
	v_lshlrev_b32_e32 v3, 4, v9
	s_lshl_b64 s[24:25], s[46:47], 4
	v_lshlrev_b64 v[4:5], 4, v[4:5]
	s_lshl_b64 s[12:13], s[12:13], 4
	v_lshl_or_b32 v7, v8, 6, v13
	v_lshl_or_b32 v90, v12, 10, v3
	v_mov_b32_e32 v3, v6
	v_lshlrev_b32_e32 v6, 4, v12
	v_add_co_u32 v4, vcc_lo, v4, s24
	v_add_co_ci_u32_e64 v5, null, s25, v5, vcc_lo
	v_lshlrev_b64 v[2:3], 4, v[2:3]
	v_add_co_u32 v4, vcc_lo, v4, v6
	v_add_co_ci_u32_e64 v5, null, 0, v5, vcc_lo
	s_waitcnt lgkmcnt(0)
	s_add_u32 s10, s10, s12
	v_add_co_u32 v26, vcc_lo, s18, v4
	v_add_co_ci_u32_e64 v27, null, s19, v5, vcc_lo
	s_addc_u32 s11, s11, s13
	v_add_co_u32 v28, vcc_lo, s10, v2
	v_mov_b32_e32 v12, 0
	v_mov_b32_e32 v10, 0
	;; [unrolled: 1-line block ×28, first 2 shown]
	v_add_nc_u32_e32 v91, 0x1000, v7
	v_lshlrev_b32_e32 v92, 4, v0
	v_lshl_add_u32 v93, v1, 6, 0x1000
	v_mov_b32_e32 v77, 0
	v_mov_b32_e32 v75, 0
	;; [unrolled: 1-line block ×32, first 2 shown]
	v_add_co_ci_u32_e64 v29, null, s11, v3, vcc_lo
	s_lshl_b64 s[10:11], s[50:51], 6
	s_mov_b64 s[12:13], 0
.LBB271_2:                              ; =>This Inner Loop Header: Depth=1
	flat_load_dwordx4 v[2:5], v[26:27]
	s_add_u32 s12, s12, 4
	s_addc_u32 s13, s13, 0
	v_add_co_u32 v26, vcc_lo, v26, 64
	v_cmp_lt_i64_e64 s18, s[12:13], s[36:37]
	v_add_co_ci_u32_e64 v27, null, 0, v27, vcc_lo
	s_waitcnt vmcnt(0) lgkmcnt(0)
	ds_write2_b64 v90, v[2:3], v[4:5] offset1:1
	flat_load_dwordx4 v[2:5], v[28:29]
	v_add_co_u32 v28, vcc_lo, v28, s10
	v_add_co_ci_u32_e64 v29, null, s11, v29, vcc_lo
	s_and_b32 vcc_lo, exec_lo, s18
	s_waitcnt vmcnt(0) lgkmcnt(0)
	v_xor_b32_e32 v5, 0x80000000, v5
	ds_write_b128 v91, v[2:5]
	s_waitcnt lgkmcnt(0)
	s_barrier
	buffer_gl0_inv
	ds_read_b128 v[78:81], v93
	ds_read_b128 v[82:85], v93 offset:16
	ds_read_b128 v[6:9], v93 offset:32
	;; [unrolled: 1-line block ×3, first 2 shown]
	ds_read_b128 v[86:89], v92
	s_waitcnt lgkmcnt(0)
	v_mul_f64 v[94:95], v[80:81], v[88:89]
	v_mul_f64 v[96:97], v[78:79], v[88:89]
	v_fma_f64 v[94:95], v[78:79], v[86:87], -v[94:95]
	v_fma_f64 v[96:97], v[80:81], v[86:87], v[96:97]
	v_add_f64 v[98:99], v[48:49], v[94:95]
	v_add_f64 v[100:101], v[96:97], v[52:53]
	ds_read_b128 v[94:97], v92 offset:256
	s_waitcnt lgkmcnt(0)
	v_mul_f64 v[48:49], v[80:81], v[96:97]
	v_mul_f64 v[52:53], v[78:79], v[96:97]
	v_fma_f64 v[48:49], v[78:79], v[94:95], -v[48:49]
	v_fma_f64 v[52:53], v[80:81], v[94:95], v[52:53]
	v_add_f64 v[102:103], v[34:35], v[48:49]
	v_add_f64 v[104:105], v[52:53], v[36:37]
	ds_read_b128 v[34:37], v92 offset:512
	;; [unrolled: 8-line block ×4, first 2 shown]
	s_waitcnt lgkmcnt(0)
	v_mul_f64 v[48:49], v[24:25], v[88:89]
	v_mul_f64 v[52:53], v[22:23], v[88:89]
	v_fma_f64 v[48:49], v[22:23], v[86:87], -v[48:49]
	v_fma_f64 v[52:53], v[24:25], v[86:87], v[52:53]
	v_add_f64 v[70:71], v[70:71], v[48:49]
	v_mul_f64 v[48:49], v[24:25], v[96:97]
	v_add_f64 v[72:73], v[52:53], v[72:73]
	v_mul_f64 v[52:53], v[22:23], v[96:97]
	v_fma_f64 v[48:49], v[22:23], v[94:95], -v[48:49]
	v_fma_f64 v[52:53], v[24:25], v[94:95], v[52:53]
	v_add_f64 v[110:111], v[62:63], v[48:49]
	v_mul_f64 v[48:49], v[24:25], v[36:37]
	v_add_f64 v[112:113], v[52:53], v[64:65]
	;; [unrolled: 6-line block ×3, first 2 shown]
	v_fma_f64 v[48:49], v[22:23], v[30:31], -v[48:49]
	v_mul_f64 v[22:23], v[22:23], v[32:33]
	v_add_f64 v[118:119], v[42:43], v[48:49]
	v_fma_f64 v[22:23], v[24:25], v[30:31], v[22:23]
	v_add_f64 v[120:121], v[22:23], v[46:47]
	ds_read_b128 v[22:25], v93 offset:2048
	s_waitcnt lgkmcnt(0)
	v_mul_f64 v[42:43], v[24:25], v[88:89]
	v_mul_f64 v[46:47], v[22:23], v[88:89]
	v_fma_f64 v[42:43], v[22:23], v[86:87], -v[42:43]
	v_fma_f64 v[46:47], v[24:25], v[86:87], v[46:47]
	v_add_f64 v[122:123], v[66:67], v[42:43]
	v_mul_f64 v[42:43], v[24:25], v[96:97]
	v_add_f64 v[124:125], v[46:47], v[68:69]
	v_mul_f64 v[46:47], v[22:23], v[96:97]
	v_fma_f64 v[42:43], v[22:23], v[94:95], -v[42:43]
	v_fma_f64 v[46:47], v[24:25], v[94:95], v[46:47]
	v_add_f64 v[126:127], v[56:57], v[42:43]
	v_mul_f64 v[42:43], v[24:25], v[36:37]
	v_add_f64 v[128:129], v[46:47], v[60:61]
	;; [unrolled: 6-line block ×3, first 2 shown]
	v_fma_f64 v[42:43], v[22:23], v[30:31], -v[42:43]
	v_mul_f64 v[22:23], v[22:23], v[32:33]
	v_add_f64 v[134:135], v[38:39], v[42:43]
	v_fma_f64 v[22:23], v[24:25], v[30:31], v[22:23]
	v_add_f64 v[136:137], v[22:23], v[40:41]
	ds_read_b128 v[22:25], v93 offset:3072
	s_waitcnt lgkmcnt(0)
	v_mul_f64 v[38:39], v[24:25], v[88:89]
	v_mul_f64 v[40:41], v[22:23], v[88:89]
	v_fma_f64 v[38:39], v[22:23], v[86:87], -v[38:39]
	v_fma_f64 v[40:41], v[24:25], v[86:87], v[40:41]
	v_add_f64 v[58:59], v[18:19], v[38:39]
	v_add_f64 v[60:61], v[40:41], v[20:21]
	v_mul_f64 v[18:19], v[24:25], v[96:97]
	v_mul_f64 v[20:21], v[22:23], v[96:97]
	v_fma_f64 v[18:19], v[22:23], v[94:95], -v[18:19]
	v_fma_f64 v[20:21], v[24:25], v[94:95], v[20:21]
	v_add_f64 v[54:55], v[14:15], v[18:19]
	v_add_f64 v[56:57], v[20:21], v[16:17]
	v_mul_f64 v[14:15], v[24:25], v[36:37]
	v_mul_f64 v[16:17], v[22:23], v[36:37]
	ds_read_b128 v[18:21], v92 offset:1280
	v_fma_f64 v[14:15], v[22:23], v[34:35], -v[14:15]
	v_fma_f64 v[16:17], v[24:25], v[34:35], v[16:17]
	v_add_f64 v[50:51], v[10:11], v[14:15]
	v_add_f64 v[52:53], v[16:17], v[12:13]
	v_mul_f64 v[10:11], v[24:25], v[32:33]
	v_mul_f64 v[12:13], v[22:23], v[32:33]
	ds_read_b128 v[14:17], v92 offset:1536
	v_fma_f64 v[10:11], v[22:23], v[30:31], -v[10:11]
	v_fma_f64 v[12:13], v[24:25], v[30:31], v[12:13]
	ds_read_b128 v[22:25], v92 offset:1024
	v_add_f64 v[46:47], v[74:75], v[10:11]
	v_add_f64 v[48:49], v[12:13], v[76:77]
	s_waitcnt lgkmcnt(0)
	v_mul_f64 v[10:11], v[84:85], v[24:25]
	v_mul_f64 v[12:13], v[82:83], v[24:25]
	ds_read_b128 v[74:77], v93 offset:1040
	v_fma_f64 v[10:11], v[82:83], v[22:23], -v[10:11]
	v_fma_f64 v[12:13], v[84:85], v[22:23], v[12:13]
	s_waitcnt lgkmcnt(0)
	v_mul_f64 v[62:63], v[76:77], v[24:25]
	v_mul_f64 v[64:65], v[74:75], v[24:25]
	;; [unrolled: 1-line block ×4, first 2 shown]
	v_add_f64 v[42:43], v[98:99], v[10:11]
	v_add_f64 v[44:45], v[12:13], v[100:101]
	v_mul_f64 v[10:11], v[84:85], v[20:21]
	v_mul_f64 v[12:13], v[82:83], v[20:21]
	v_fma_f64 v[62:63], v[74:75], v[22:23], -v[62:63]
	v_fma_f64 v[64:65], v[76:77], v[22:23], v[64:65]
	v_fma_f64 v[66:67], v[74:75], v[18:19], -v[66:67]
	v_fma_f64 v[68:69], v[76:77], v[18:19], v[68:69]
	;; [unrolled: 2-line block ×3, first 2 shown]
	v_add_f64 v[62:63], v[70:71], v[62:63]
	v_mul_f64 v[70:71], v[76:77], v[16:17]
	v_add_f64 v[64:65], v[64:65], v[72:73]
	v_mul_f64 v[72:73], v[74:75], v[16:17]
	v_add_f64 v[66:67], v[110:111], v[66:67]
	v_add_f64 v[68:69], v[68:69], v[112:113]
	;; [unrolled: 1-line block ×4, first 2 shown]
	v_mul_f64 v[10:11], v[84:85], v[16:17]
	v_mul_f64 v[12:13], v[82:83], v[16:17]
	v_fma_f64 v[70:71], v[74:75], v[14:15], -v[70:71]
	v_fma_f64 v[72:73], v[76:77], v[14:15], v[72:73]
	v_fma_f64 v[10:11], v[82:83], v[14:15], -v[10:11]
	v_fma_f64 v[12:13], v[84:85], v[14:15], v[12:13]
	v_add_f64 v[70:71], v[114:115], v[70:71]
	v_add_f64 v[72:73], v[72:73], v[116:117]
	;; [unrolled: 1-line block ×4, first 2 shown]
	ds_read_b128 v[10:13], v92 offset:1792
	s_waitcnt lgkmcnt(0)
	v_mul_f64 v[30:31], v[84:85], v[12:13]
	v_mul_f64 v[32:33], v[82:83], v[12:13]
	v_fma_f64 v[30:31], v[82:83], v[10:11], -v[30:31]
	v_fma_f64 v[32:33], v[84:85], v[10:11], v[32:33]
	v_add_f64 v[30:31], v[78:79], v[30:31]
	v_mul_f64 v[78:79], v[76:77], v[12:13]
	v_add_f64 v[32:33], v[32:33], v[80:81]
	v_fma_f64 v[78:79], v[74:75], v[10:11], -v[78:79]
	v_mul_f64 v[74:75], v[74:75], v[12:13]
	v_fma_f64 v[76:77], v[76:77], v[10:11], v[74:75]
	v_add_f64 v[74:75], v[118:119], v[78:79]
	ds_read_b128 v[78:81], v93 offset:2064
	s_waitcnt lgkmcnt(0)
	v_mul_f64 v[82:83], v[80:81], v[24:25]
	v_mul_f64 v[86:87], v[80:81], v[20:21]
	v_mul_f64 v[94:95], v[80:81], v[16:17]
	v_mul_f64 v[98:99], v[80:81], v[12:13]
	v_mul_f64 v[84:85], v[78:79], v[24:25]
	v_mul_f64 v[88:89], v[78:79], v[20:21]
	v_mul_f64 v[96:97], v[78:79], v[16:17]
	v_add_f64 v[76:77], v[76:77], v[120:121]
	v_fma_f64 v[82:83], v[78:79], v[22:23], -v[82:83]
	v_fma_f64 v[86:87], v[78:79], v[18:19], -v[86:87]
	;; [unrolled: 1-line block ×4, first 2 shown]
	v_mul_f64 v[78:79], v[78:79], v[12:13]
	v_fma_f64 v[84:85], v[80:81], v[22:23], v[84:85]
	v_fma_f64 v[88:89], v[80:81], v[18:19], v[88:89]
	;; [unrolled: 1-line block ×3, first 2 shown]
	v_add_f64 v[82:83], v[122:123], v[82:83]
	v_add_f64 v[86:87], v[126:127], v[86:87]
	v_add_f64 v[94:95], v[130:131], v[94:95]
	v_add_f64 v[98:99], v[134:135], v[98:99]
	v_fma_f64 v[78:79], v[80:81], v[10:11], v[78:79]
	v_add_f64 v[84:85], v[84:85], v[124:125]
	v_add_f64 v[88:89], v[88:89], v[128:129]
	;; [unrolled: 1-line block ×4, first 2 shown]
	ds_read_b128 v[78:81], v93 offset:3088
	s_waitcnt lgkmcnt(0)
	v_mul_f64 v[102:103], v[80:81], v[24:25]
	v_mul_f64 v[24:25], v[78:79], v[24:25]
	v_fma_f64 v[102:103], v[78:79], v[22:23], -v[102:103]
	v_fma_f64 v[22:23], v[80:81], v[22:23], v[24:25]
	v_add_f64 v[58:59], v[58:59], v[102:103]
	v_add_f64 v[60:61], v[22:23], v[60:61]
	v_mul_f64 v[22:23], v[80:81], v[20:21]
	v_mul_f64 v[20:21], v[78:79], v[20:21]
	v_fma_f64 v[22:23], v[78:79], v[18:19], -v[22:23]
	v_fma_f64 v[18:19], v[80:81], v[18:19], v[20:21]
	v_add_f64 v[54:55], v[54:55], v[22:23]
	v_add_f64 v[56:57], v[18:19], v[56:57]
	;; [unrolled: 6-line block ×4, first 2 shown]
	ds_read_b128 v[10:13], v92 offset:2048
	s_waitcnt lgkmcnt(0)
	v_mul_f64 v[14:15], v[8:9], v[12:13]
	v_mul_f64 v[16:17], v[6:7], v[12:13]
	v_fma_f64 v[14:15], v[6:7], v[10:11], -v[14:15]
	v_fma_f64 v[16:17], v[8:9], v[10:11], v[16:17]
	v_add_f64 v[42:43], v[42:43], v[14:15]
	v_add_f64 v[44:45], v[16:17], v[44:45]
	ds_read_b128 v[14:17], v92 offset:2304
	s_waitcnt lgkmcnt(0)
	v_mul_f64 v[18:19], v[8:9], v[16:17]
	v_mul_f64 v[20:21], v[6:7], v[16:17]
	v_fma_f64 v[18:19], v[6:7], v[14:15], -v[18:19]
	v_fma_f64 v[20:21], v[8:9], v[14:15], v[20:21]
	v_add_f64 v[38:39], v[38:39], v[18:19]
	v_add_f64 v[40:41], v[20:21], v[40:41]
	;; [unrolled: 8-line block ×3, first 2 shown]
	ds_read_b128 v[22:25], v92 offset:2816
	s_waitcnt lgkmcnt(0)
	v_mul_f64 v[34:35], v[8:9], v[24:25]
	v_fma_f64 v[34:35], v[6:7], v[22:23], -v[34:35]
	v_mul_f64 v[6:7], v[6:7], v[24:25]
	v_add_f64 v[106:107], v[30:31], v[34:35]
	v_fma_f64 v[6:7], v[8:9], v[22:23], v[6:7]
	v_add_f64 v[108:109], v[6:7], v[32:33]
	ds_read_b128 v[6:9], v93 offset:1056
	s_waitcnt lgkmcnt(0)
	v_mul_f64 v[30:31], v[8:9], v[12:13]
	v_mul_f64 v[32:33], v[6:7], v[12:13]
	v_fma_f64 v[30:31], v[6:7], v[10:11], -v[30:31]
	v_fma_f64 v[32:33], v[8:9], v[10:11], v[32:33]
	v_add_f64 v[62:63], v[62:63], v[30:31]
	v_mul_f64 v[30:31], v[8:9], v[16:17]
	v_add_f64 v[64:65], v[32:33], v[64:65]
	v_mul_f64 v[32:33], v[6:7], v[16:17]
	v_fma_f64 v[30:31], v[6:7], v[14:15], -v[30:31]
	v_fma_f64 v[32:33], v[8:9], v[14:15], v[32:33]
	v_add_f64 v[66:67], v[66:67], v[30:31]
	v_mul_f64 v[30:31], v[8:9], v[20:21]
	v_add_f64 v[68:69], v[32:33], v[68:69]
	;; [unrolled: 6-line block ×3, first 2 shown]
	v_fma_f64 v[30:31], v[6:7], v[22:23], -v[30:31]
	v_mul_f64 v[6:7], v[6:7], v[24:25]
	v_add_f64 v[114:115], v[74:75], v[30:31]
	v_fma_f64 v[6:7], v[8:9], v[22:23], v[6:7]
	v_add_f64 v[116:117], v[6:7], v[76:77]
	ds_read_b128 v[6:9], v93 offset:2080
	s_waitcnt lgkmcnt(0)
	v_mul_f64 v[30:31], v[8:9], v[12:13]
	v_mul_f64 v[32:33], v[6:7], v[12:13]
	v_fma_f64 v[30:31], v[6:7], v[10:11], -v[30:31]
	v_fma_f64 v[32:33], v[8:9], v[10:11], v[32:33]
	v_add_f64 v[118:119], v[82:83], v[30:31]
	v_mul_f64 v[30:31], v[8:9], v[16:17]
	v_add_f64 v[120:121], v[32:33], v[84:85]
	v_mul_f64 v[32:33], v[6:7], v[16:17]
	v_fma_f64 v[30:31], v[6:7], v[14:15], -v[30:31]
	v_fma_f64 v[32:33], v[8:9], v[14:15], v[32:33]
	v_add_f64 v[122:123], v[86:87], v[30:31]
	v_mul_f64 v[30:31], v[8:9], v[20:21]
	v_add_f64 v[124:125], v[32:33], v[88:89]
	;; [unrolled: 6-line block ×3, first 2 shown]
	v_fma_f64 v[30:31], v[6:7], v[22:23], -v[30:31]
	v_mul_f64 v[6:7], v[6:7], v[24:25]
	v_add_f64 v[98:99], v[98:99], v[30:31]
	v_fma_f64 v[6:7], v[8:9], v[22:23], v[6:7]
	v_add_f64 v[100:101], v[6:7], v[100:101]
	ds_read_b128 v[6:9], v93 offset:3104
	s_waitcnt lgkmcnt(0)
	v_mul_f64 v[30:31], v[8:9], v[12:13]
	v_mul_f64 v[12:13], v[6:7], v[12:13]
	v_fma_f64 v[30:31], v[6:7], v[10:11], -v[30:31]
	v_fma_f64 v[10:11], v[8:9], v[10:11], v[12:13]
	v_mul_f64 v[12:13], v[6:7], v[16:17]
	v_add_f64 v[86:87], v[58:59], v[30:31]
	v_add_f64 v[88:89], v[10:11], v[60:61]
	v_mul_f64 v[10:11], v[8:9], v[16:17]
	v_fma_f64 v[12:13], v[8:9], v[14:15], v[12:13]
	v_fma_f64 v[10:11], v[6:7], v[14:15], -v[10:11]
	v_add_f64 v[84:85], v[12:13], v[56:57]
	v_mul_f64 v[12:13], v[6:7], v[20:21]
	ds_read_b128 v[14:17], v92 offset:3328
	v_add_f64 v[82:83], v[54:55], v[10:11]
	v_mul_f64 v[10:11], v[8:9], v[20:21]
	v_fma_f64 v[12:13], v[8:9], v[18:19], v[12:13]
	v_fma_f64 v[10:11], v[6:7], v[18:19], -v[10:11]
	ds_read_b128 v[18:21], v92 offset:3072
	v_add_f64 v[80:81], v[12:13], v[52:53]
	v_add_f64 v[78:79], v[50:51], v[10:11]
	v_mul_f64 v[10:11], v[8:9], v[24:25]
	v_fma_f64 v[10:11], v[6:7], v[22:23], -v[10:11]
	v_mul_f64 v[6:7], v[6:7], v[24:25]
	v_add_f64 v[74:75], v[46:47], v[10:11]
	v_fma_f64 v[6:7], v[8:9], v[22:23], v[6:7]
	s_waitcnt lgkmcnt(0)
	v_mul_f64 v[8:9], v[2:3], v[20:21]
	ds_read_b128 v[10:13], v92 offset:3584
	v_add_f64 v[76:77], v[6:7], v[48:49]
	v_mul_f64 v[6:7], v[4:5], v[20:21]
	v_fma_f64 v[8:9], v[4:5], v[18:19], v[8:9]
	v_fma_f64 v[6:7], v[2:3], v[18:19], -v[6:7]
	v_add_f64 v[52:53], v[8:9], v[44:45]
	v_mul_f64 v[8:9], v[2:3], v[16:17]
	v_add_f64 v[48:49], v[42:43], v[6:7]
	v_mul_f64 v[6:7], v[4:5], v[16:17]
	v_fma_f64 v[8:9], v[4:5], v[14:15], v[8:9]
	v_fma_f64 v[6:7], v[2:3], v[14:15], -v[6:7]
	v_add_f64 v[36:37], v[8:9], v[40:41]
	s_waitcnt lgkmcnt(0)
	v_mul_f64 v[8:9], v[2:3], v[12:13]
	v_add_f64 v[34:35], v[38:39], v[6:7]
	v_mul_f64 v[6:7], v[4:5], v[12:13]
	v_fma_f64 v[8:9], v[4:5], v[10:11], v[8:9]
	v_fma_f64 v[6:7], v[2:3], v[10:11], -v[6:7]
	v_add_f64 v[32:33], v[8:9], v[104:105]
	v_add_f64 v[30:31], v[102:103], v[6:7]
	ds_read_b128 v[6:9], v92 offset:3840
	s_waitcnt lgkmcnt(0)
	v_mul_f64 v[22:23], v[4:5], v[8:9]
	v_fma_f64 v[22:23], v[2:3], v[6:7], -v[22:23]
	v_mul_f64 v[2:3], v[2:3], v[8:9]
	v_add_f64 v[22:23], v[106:107], v[22:23]
	v_fma_f64 v[2:3], v[4:5], v[6:7], v[2:3]
	v_add_f64 v[24:25], v[2:3], v[108:109]
	ds_read_b128 v[2:5], v93 offset:1072
	s_waitcnt lgkmcnt(0)
	v_mul_f64 v[38:39], v[4:5], v[20:21]
	v_mul_f64 v[40:41], v[2:3], v[20:21]
	v_fma_f64 v[38:39], v[2:3], v[18:19], -v[38:39]
	v_fma_f64 v[40:41], v[4:5], v[18:19], v[40:41]
	v_add_f64 v[70:71], v[62:63], v[38:39]
	v_mul_f64 v[38:39], v[4:5], v[16:17]
	v_add_f64 v[72:73], v[40:41], v[64:65]
	v_mul_f64 v[40:41], v[2:3], v[16:17]
	v_fma_f64 v[38:39], v[2:3], v[14:15], -v[38:39]
	v_fma_f64 v[40:41], v[4:5], v[14:15], v[40:41]
	v_add_f64 v[62:63], v[66:67], v[38:39]
	v_mul_f64 v[38:39], v[4:5], v[12:13]
	v_add_f64 v[64:65], v[40:41], v[68:69]
	;; [unrolled: 6-line block ×3, first 2 shown]
	v_fma_f64 v[38:39], v[2:3], v[6:7], -v[38:39]
	v_mul_f64 v[2:3], v[2:3], v[8:9]
	v_add_f64 v[42:43], v[114:115], v[38:39]
	v_fma_f64 v[2:3], v[4:5], v[6:7], v[2:3]
	v_add_f64 v[46:47], v[2:3], v[116:117]
	ds_read_b128 v[2:5], v93 offset:2096
	s_waitcnt lgkmcnt(0)
	v_mul_f64 v[38:39], v[4:5], v[20:21]
	v_mul_f64 v[40:41], v[2:3], v[20:21]
	v_fma_f64 v[38:39], v[2:3], v[18:19], -v[38:39]
	v_fma_f64 v[40:41], v[4:5], v[18:19], v[40:41]
	v_add_f64 v[66:67], v[118:119], v[38:39]
	v_mul_f64 v[38:39], v[4:5], v[16:17]
	v_add_f64 v[68:69], v[40:41], v[120:121]
	v_mul_f64 v[40:41], v[2:3], v[16:17]
	v_fma_f64 v[38:39], v[2:3], v[14:15], -v[38:39]
	v_fma_f64 v[40:41], v[4:5], v[14:15], v[40:41]
	v_add_f64 v[56:57], v[122:123], v[38:39]
	v_mul_f64 v[38:39], v[4:5], v[12:13]
	v_add_f64 v[60:61], v[40:41], v[124:125]
	;; [unrolled: 6-line block ×3, first 2 shown]
	v_fma_f64 v[38:39], v[2:3], v[6:7], -v[38:39]
	v_mul_f64 v[2:3], v[2:3], v[8:9]
	v_add_f64 v[38:39], v[98:99], v[38:39]
	v_fma_f64 v[2:3], v[4:5], v[6:7], v[2:3]
	v_add_f64 v[40:41], v[2:3], v[100:101]
	ds_read_b128 v[2:5], v93 offset:3120
	s_waitcnt lgkmcnt(0)
	s_barrier
	buffer_gl0_inv
	v_mul_f64 v[94:95], v[4:5], v[20:21]
	v_mul_f64 v[20:21], v[2:3], v[20:21]
	v_fma_f64 v[94:95], v[2:3], v[18:19], -v[94:95]
	v_fma_f64 v[20:21], v[4:5], v[18:19], v[20:21]
	v_add_f64 v[18:19], v[86:87], v[94:95]
	v_mul_f64 v[86:87], v[4:5], v[16:17]
	v_mul_f64 v[16:17], v[2:3], v[16:17]
	v_add_f64 v[20:21], v[20:21], v[88:89]
	v_fma_f64 v[86:87], v[2:3], v[14:15], -v[86:87]
	v_fma_f64 v[16:17], v[4:5], v[14:15], v[16:17]
	v_add_f64 v[14:15], v[82:83], v[86:87]
	v_mul_f64 v[82:83], v[4:5], v[12:13]
	v_mul_f64 v[12:13], v[2:3], v[12:13]
	v_add_f64 v[16:17], v[16:17], v[84:85]
	v_fma_f64 v[82:83], v[2:3], v[10:11], -v[82:83]
	v_fma_f64 v[12:13], v[4:5], v[10:11], v[12:13]
	v_add_f64 v[10:11], v[78:79], v[82:83]
	v_mul_f64 v[78:79], v[4:5], v[8:9]
	v_add_f64 v[12:13], v[12:13], v[80:81]
	v_fma_f64 v[78:79], v[2:3], v[6:7], -v[78:79]
	v_mul_f64 v[2:3], v[2:3], v[8:9]
	v_add_f64 v[74:75], v[74:75], v[78:79]
	v_fma_f64 v[2:3], v[4:5], v[6:7], v[2:3]
	v_add_f64 v[76:77], v[2:3], v[76:77]
	s_cbranch_vccnz .LBB271_2
	s_branch .LBB271_4
.LBB271_3:
	v_mov_b32_e32 v48, 0
	v_mov_b32_e32 v52, 0
	;; [unrolled: 1-line block ×64, first 2 shown]
.LBB271_4:
	s_load_dwordx2 s[4:5], s[4:5], 0x90
	v_cmp_neq_f64_e64 s10, s[14:15], 0
	v_cmp_neq_f64_e64 s11, s[16:17], 0
	v_add_co_u32 v6, s8, s8, v1
	v_add_co_ci_u32_e64 v7, null, s9, 0, s8
	s_waitcnt lgkmcnt(0)
	s_lshl_b64 s[4:5], s[4:5], 4
	s_add_u32 s4, s2, s4
	s_addc_u32 s5, s3, s5
	v_add_co_u32 v0, s3, s6, v0
	v_add_co_ci_u32_e64 v1, null, s7, 0, s3
	s_or_b32 s2, s10, s11
	s_and_b32 vcc_lo, exec_lo, s2
	s_cbranch_vccnz .LBB271_6
; %bb.5:
	v_mul_f64 v[4:5], s[40:41], v[52:53]
	v_mul_f64 v[8:9], s[38:39], v[52:53]
	v_mul_lo_u32 v78, v7, s26
	v_mul_lo_u32 v79, v6, s27
	v_mad_u64_u32 v[2:3], null, v6, s26, 0
	v_mul_f64 v[26:27], s[40:41], v[36:37]
	v_mul_f64 v[28:29], s[38:39], v[36:37]
	;; [unrolled: 1-line block ×6, first 2 shown]
	v_add3_u32 v3, v3, v79, v78
	v_mul_f64 v[78:79], s[40:41], v[32:33]
	v_mul_f64 v[88:89], s[38:39], v[72:73]
	;; [unrolled: 1-line block ×4, first 2 shown]
	v_lshlrev_b64 v[2:3], 4, v[2:3]
	v_mul_f64 v[94:95], s[40:41], v[58:59]
	v_mul_f64 v[96:97], s[38:39], v[58:59]
	v_mul_f64 v[98:99], s[40:41], v[46:47]
	v_mul_f64 v[100:101], s[38:39], v[46:47]
	s_lshl_b64 s[2:3], s[26:27], 8
	v_add_co_u32 v104, vcc_lo, s4, v2
	v_add_co_ci_u32_e64 v105, null, s5, v3, vcc_lo
	v_fma_f64 v[2:3], s[38:39], v[48:49], -v[4:5]
	v_fma_f64 v[4:5], s[40:41], v[48:49], v[8:9]
	v_lshlrev_b64 v[8:9], 4, v[0:1]
	v_fma_f64 v[26:27], s[38:39], v[34:35], -v[26:27]
	v_fma_f64 v[28:29], s[40:41], v[34:35], v[28:29]
	v_fma_f64 v[80:81], s[40:41], v[30:31], v[80:81]
	v_fma_f64 v[82:83], s[38:39], v[22:23], -v[82:83]
	v_fma_f64 v[84:85], s[40:41], v[22:23], v[84:85]
	v_add_co_u32 v102, vcc_lo, v104, v8
	v_fma_f64 v[78:79], s[38:39], v[30:31], -v[78:79]
	v_add_co_ci_u32_e64 v103, null, v105, v9, vcc_lo
	v_fma_f64 v[86:87], s[38:39], v[70:71], -v[86:87]
	v_fma_f64 v[88:89], s[40:41], v[70:71], v[88:89]
	v_fma_f64 v[90:91], s[38:39], v[62:63], -v[90:91]
	v_fma_f64 v[92:93], s[40:41], v[62:63], v[92:93]
	;; [unrolled: 2-line block ×3, first 2 shown]
	v_add_co_u32 v106, vcc_lo, v104, s2
	v_add_co_ci_u32_e64 v107, null, s3, v105, vcc_lo
	flat_store_dwordx4 v[102:103], v[2:5]
	v_fma_f64 v[2:3], s[38:39], v[42:43], -v[98:99]
	v_fma_f64 v[4:5], s[40:41], v[42:43], v[100:101]
	v_add_co_u32 v104, vcc_lo, v106, v8
	v_add_co_ci_u32_e64 v105, null, v107, v9, vcc_lo
	flat_store_dwordx4 v[102:103], v[26:29] offset:256
	flat_store_dwordx4 v[102:103], v[78:81] offset:512
	;; [unrolled: 1-line block ×3, first 2 shown]
	flat_store_dwordx4 v[104:105], v[86:89]
	flat_store_dwordx4 v[104:105], v[90:93] offset:256
	flat_store_dwordx4 v[104:105], v[94:97] offset:512
	v_mul_f64 v[26:27], s[40:41], v[68:69]
	v_mul_f64 v[28:29], s[38:39], v[68:69]
	;; [unrolled: 1-line block ×12, first 2 shown]
	flat_store_dwordx4 v[104:105], v[2:5] offset:768
	v_mul_f64 v[2:3], s[40:41], v[76:77]
	v_mul_f64 v[4:5], s[38:39], v[76:77]
	;; [unrolled: 1-line block ×4, first 2 shown]
	v_add_co_u32 v104, vcc_lo, v106, s2
	v_add_co_ci_u32_e64 v105, null, s3, v107, vcc_lo
	v_fma_f64 v[26:27], s[38:39], v[66:67], -v[26:27]
	v_fma_f64 v[28:29], s[40:41], v[66:67], v[28:29]
	v_fma_f64 v[78:79], s[38:39], v[56:57], -v[78:79]
	v_fma_f64 v[80:81], s[40:41], v[56:57], v[80:81]
	;; [unrolled: 2-line block ×6, first 2 shown]
	v_add_co_u32 v106, vcc_lo, v104, s2
	v_fma_f64 v[102:103], s[38:39], v[74:75], -v[2:3]
	v_fma_f64 v[2:3], s[40:41], v[74:75], v[4:5]
	v_fma_f64 v[98:99], s[38:39], v[10:11], -v[98:99]
	v_fma_f64 v[100:101], s[40:41], v[10:11], v[100:101]
	v_add_co_ci_u32_e64 v107, null, s3, v105, vcc_lo
	v_add_co_u32 v4, vcc_lo, v104, v8
	v_add_co_ci_u32_e64 v5, null, v105, v9, vcc_lo
	v_add_co_u32 v8, vcc_lo, v106, v8
	v_add_co_ci_u32_e64 v9, null, v107, v9, vcc_lo
	flat_store_dwordx4 v[4:5], v[26:29]
	flat_store_dwordx4 v[4:5], v[78:81] offset:256
	flat_store_dwordx4 v[4:5], v[82:85] offset:512
	;; [unrolled: 1-line block ×3, first 2 shown]
	flat_store_dwordx4 v[8:9], v[90:93]
	v_add_co_u32 v4, vcc_lo, 0x300, v8
	v_add_co_ci_u32_e64 v5, null, 0, v9, vcc_lo
	flat_store_dwordx4 v[8:9], v[94:97] offset:256
	flat_store_dwordx4 v[8:9], v[98:101] offset:512
	flat_store_dwordx2 v[8:9], v[102:103] offset:768
	s_cbranch_execz .LBB271_7
	s_branch .LBB271_8
.LBB271_6:
                                        ; implicit-def: $vgpr2_vgpr3
                                        ; implicit-def: $vgpr4_vgpr5
.LBB271_7:
	v_mul_lo_u32 v4, v7, s20
	v_mul_lo_u32 v5, v6, s21
	v_mad_u64_u32 v[2:3], null, v6, s20, 0
	s_lshl_b64 s[2:3], s[22:23], 4
	v_mul_f64 v[26:27], s[40:41], v[52:53]
	s_add_u32 s0, s0, s2
	s_addc_u32 s1, s1, s3
	v_mul_f64 v[28:29], s[38:39], v[52:53]
	s_lshl_b64 s[2:3], s[26:27], 8
	v_add3_u32 v3, v3, v5, v4
	v_lshlrev_b64 v[4:5], 4, v[0:1]
	v_lshlrev_b64 v[2:3], 4, v[2:3]
	v_add_co_u32 v78, vcc_lo, s0, v2
	v_add_co_ci_u32_e64 v79, null, s1, v3, vcc_lo
	s_lshl_b64 s[0:1], s[20:21], 8
	v_add_co_u32 v8, vcc_lo, v78, v4
	v_add_co_ci_u32_e64 v9, null, v79, v5, vcc_lo
	v_fma_f64 v[26:27], s[38:39], v[48:49], -v[26:27]
	v_fma_f64 v[28:29], s[40:41], v[48:49], v[28:29]
	flat_load_dwordx4 v[0:3], v[8:9]
	s_waitcnt vmcnt(0) lgkmcnt(0)
	v_mul_f64 v[52:53], s[16:17], v[2:3]
	v_mul_f64 v[2:3], s[14:15], v[2:3]
	v_fma_f64 v[48:49], s[14:15], v[0:1], -v[52:53]
	v_fma_f64 v[2:3], s[16:17], v[0:1], v[2:3]
	v_mul_lo_u32 v0, v7, s26
	v_mul_lo_u32 v1, v6, s27
	v_mad_u64_u32 v[6:7], null, v6, s26, 0
	v_add3_u32 v7, v7, v1, v0
	v_lshlrev_b64 v[6:7], 4, v[6:7]
	v_add_f64 v[0:1], v[26:27], v[48:49]
	v_add_f64 v[2:3], v[28:29], v[2:3]
	v_add_co_u32 v48, vcc_lo, s4, v6
	v_add_co_ci_u32_e64 v49, null, s5, v7, vcc_lo
	v_mul_f64 v[26:27], s[40:41], v[36:37]
	v_add_co_u32 v6, vcc_lo, v48, v4
	v_add_co_ci_u32_e64 v7, null, v49, v5, vcc_lo
	v_mul_f64 v[28:29], s[38:39], v[36:37]
	flat_store_dwordx4 v[6:7], v[0:3]
	flat_load_dwordx4 v[0:3], v[8:9] offset:256
	v_fma_f64 v[26:27], s[38:39], v[34:35], -v[26:27]
	v_fma_f64 v[28:29], s[40:41], v[34:35], v[28:29]
	s_waitcnt vmcnt(0) lgkmcnt(0)
	v_mul_f64 v[36:37], s[16:17], v[2:3]
	v_mul_f64 v[2:3], s[14:15], v[2:3]
	v_fma_f64 v[34:35], s[14:15], v[0:1], -v[36:37]
	v_fma_f64 v[2:3], s[16:17], v[0:1], v[2:3]
	v_add_f64 v[0:1], v[26:27], v[34:35]
	v_add_f64 v[2:3], v[28:29], v[2:3]
	v_mul_f64 v[26:27], s[40:41], v[32:33]
	v_mul_f64 v[28:29], s[38:39], v[32:33]
	flat_store_dwordx4 v[6:7], v[0:3] offset:256
	flat_load_dwordx4 v[0:3], v[8:9] offset:512
	v_fma_f64 v[26:27], s[38:39], v[30:31], -v[26:27]
	v_fma_f64 v[28:29], s[40:41], v[30:31], v[28:29]
	s_waitcnt vmcnt(0) lgkmcnt(0)
	v_mul_f64 v[32:33], s[16:17], v[2:3]
	v_mul_f64 v[2:3], s[14:15], v[2:3]
	v_fma_f64 v[30:31], s[14:15], v[0:1], -v[32:33]
	v_fma_f64 v[2:3], s[16:17], v[0:1], v[2:3]
	v_add_f64 v[0:1], v[26:27], v[30:31]
	v_add_f64 v[2:3], v[28:29], v[2:3]
	v_add_co_u32 v28, vcc_lo, v78, s0
	v_add_co_ci_u32_e64 v29, null, s1, v79, vcc_lo
	flat_store_dwordx4 v[6:7], v[0:3] offset:512
	flat_load_dwordx4 v[0:3], v[8:9] offset:768
	v_mul_f64 v[8:9], s[40:41], v[24:25]
	v_mul_f64 v[24:25], s[38:39], v[24:25]
	v_fma_f64 v[8:9], s[38:39], v[22:23], -v[8:9]
	v_fma_f64 v[22:23], s[40:41], v[22:23], v[24:25]
	s_waitcnt vmcnt(0) lgkmcnt(0)
	v_mul_f64 v[26:27], s[16:17], v[2:3]
	v_mul_f64 v[2:3], s[14:15], v[2:3]
	v_fma_f64 v[24:25], s[14:15], v[0:1], -v[26:27]
	v_fma_f64 v[2:3], s[16:17], v[0:1], v[2:3]
	v_add_f64 v[0:1], v[8:9], v[24:25]
	v_add_f64 v[2:3], v[22:23], v[2:3]
	v_add_co_u32 v8, vcc_lo, v28, v4
	v_add_co_ci_u32_e64 v9, null, v29, v5, vcc_lo
	v_mul_f64 v[22:23], s[38:39], v[72:73]
	v_add_co_u32 v30, vcc_lo, v48, s2
	v_add_co_ci_u32_e64 v31, null, s3, v49, vcc_lo
	flat_store_dwordx4 v[6:7], v[0:3] offset:768
	flat_load_dwordx4 v[0:3], v[8:9]
	v_mul_f64 v[6:7], s[40:41], v[72:73]
	v_fma_f64 v[22:23], s[40:41], v[70:71], v[22:23]
	v_fma_f64 v[6:7], s[38:39], v[70:71], -v[6:7]
	s_waitcnt vmcnt(0) lgkmcnt(0)
	v_mul_f64 v[24:25], s[16:17], v[2:3]
	v_mul_f64 v[2:3], s[14:15], v[2:3]
	v_fma_f64 v[24:25], s[14:15], v[0:1], -v[24:25]
	v_fma_f64 v[2:3], s[16:17], v[0:1], v[2:3]
	v_add_f64 v[0:1], v[6:7], v[24:25]
	v_add_f64 v[2:3], v[22:23], v[2:3]
	v_add_co_u32 v6, vcc_lo, v30, v4
	v_add_co_ci_u32_e64 v7, null, v31, v5, vcc_lo
	v_mul_f64 v[22:23], s[40:41], v[64:65]
	v_mul_f64 v[24:25], s[38:39], v[64:65]
	v_add_co_u32 v28, vcc_lo, v28, s0
	v_add_co_ci_u32_e64 v29, null, s1, v29, vcc_lo
	flat_store_dwordx4 v[6:7], v[0:3]
	flat_load_dwordx4 v[0:3], v[8:9] offset:256
	v_fma_f64 v[22:23], s[38:39], v[62:63], -v[22:23]
	v_fma_f64 v[24:25], s[40:41], v[62:63], v[24:25]
	s_waitcnt vmcnt(0) lgkmcnt(0)
	v_mul_f64 v[26:27], s[16:17], v[2:3]
	v_mul_f64 v[2:3], s[14:15], v[2:3]
	v_fma_f64 v[26:27], s[14:15], v[0:1], -v[26:27]
	v_fma_f64 v[2:3], s[16:17], v[0:1], v[2:3]
	v_add_f64 v[0:1], v[22:23], v[26:27]
	v_add_f64 v[2:3], v[24:25], v[2:3]
	v_mul_f64 v[22:23], s[40:41], v[58:59]
	v_mul_f64 v[24:25], s[38:39], v[58:59]
	flat_store_dwordx4 v[6:7], v[0:3] offset:256
	flat_load_dwordx4 v[0:3], v[8:9] offset:512
	v_fma_f64 v[22:23], s[38:39], v[54:55], -v[22:23]
	v_fma_f64 v[24:25], s[40:41], v[54:55], v[24:25]
	s_waitcnt vmcnt(0) lgkmcnt(0)
	v_mul_f64 v[26:27], s[16:17], v[2:3]
	v_mul_f64 v[2:3], s[14:15], v[2:3]
	v_fma_f64 v[26:27], s[14:15], v[0:1], -v[26:27]
	v_fma_f64 v[2:3], s[16:17], v[0:1], v[2:3]
	v_add_f64 v[0:1], v[22:23], v[26:27]
	v_add_f64 v[2:3], v[24:25], v[2:3]
	v_mul_f64 v[22:23], s[38:39], v[46:47]
	flat_store_dwordx4 v[6:7], v[0:3] offset:512
	flat_load_dwordx4 v[0:3], v[8:9] offset:768
	v_mul_f64 v[8:9], s[40:41], v[46:47]
	v_fma_f64 v[22:23], s[40:41], v[42:43], v[22:23]
	v_fma_f64 v[8:9], s[38:39], v[42:43], -v[8:9]
	s_waitcnt vmcnt(0) lgkmcnt(0)
	v_mul_f64 v[24:25], s[16:17], v[2:3]
	v_mul_f64 v[2:3], s[14:15], v[2:3]
	v_fma_f64 v[24:25], s[14:15], v[0:1], -v[24:25]
	v_fma_f64 v[2:3], s[16:17], v[0:1], v[2:3]
	v_add_f64 v[0:1], v[8:9], v[24:25]
	v_add_f64 v[2:3], v[22:23], v[2:3]
	v_add_co_u32 v8, vcc_lo, v28, v4
	v_add_co_ci_u32_e64 v9, null, v29, v5, vcc_lo
	v_mul_f64 v[22:23], s[38:39], v[68:69]
	v_add_co_u32 v30, vcc_lo, v30, s2
	v_add_co_ci_u32_e64 v31, null, s3, v31, vcc_lo
	flat_store_dwordx4 v[6:7], v[0:3] offset:768
	flat_load_dwordx4 v[0:3], v[8:9]
	v_mul_f64 v[6:7], s[40:41], v[68:69]
	v_fma_f64 v[22:23], s[40:41], v[66:67], v[22:23]
	v_fma_f64 v[6:7], s[38:39], v[66:67], -v[6:7]
	s_waitcnt vmcnt(0) lgkmcnt(0)
	v_mul_f64 v[24:25], s[16:17], v[2:3]
	v_mul_f64 v[2:3], s[14:15], v[2:3]
	v_fma_f64 v[24:25], s[14:15], v[0:1], -v[24:25]
	v_fma_f64 v[2:3], s[16:17], v[0:1], v[2:3]
	v_add_f64 v[0:1], v[6:7], v[24:25]
	v_add_f64 v[2:3], v[22:23], v[2:3]
	v_add_co_u32 v6, vcc_lo, v30, v4
	v_add_co_ci_u32_e64 v7, null, v31, v5, vcc_lo
	v_mul_f64 v[22:23], s[40:41], v[60:61]
	v_mul_f64 v[24:25], s[38:39], v[60:61]
	flat_store_dwordx4 v[6:7], v[0:3]
	flat_load_dwordx4 v[0:3], v[8:9] offset:256
	v_fma_f64 v[22:23], s[38:39], v[56:57], -v[22:23]
	v_fma_f64 v[24:25], s[40:41], v[56:57], v[24:25]
	s_waitcnt vmcnt(0) lgkmcnt(0)
	v_mul_f64 v[26:27], s[16:17], v[2:3]
	v_mul_f64 v[2:3], s[14:15], v[2:3]
	v_fma_f64 v[26:27], s[14:15], v[0:1], -v[26:27]
	v_fma_f64 v[2:3], s[16:17], v[0:1], v[2:3]
	v_add_f64 v[0:1], v[22:23], v[26:27]
	v_add_f64 v[2:3], v[24:25], v[2:3]
	v_mul_f64 v[22:23], s[40:41], v[50:51]
	v_mul_f64 v[24:25], s[38:39], v[50:51]
	flat_store_dwordx4 v[6:7], v[0:3] offset:256
	flat_load_dwordx4 v[0:3], v[8:9] offset:512
	v_fma_f64 v[22:23], s[38:39], v[44:45], -v[22:23]
	v_fma_f64 v[24:25], s[40:41], v[44:45], v[24:25]
	s_waitcnt vmcnt(0) lgkmcnt(0)
	v_mul_f64 v[26:27], s[16:17], v[2:3]
	v_mul_f64 v[2:3], s[14:15], v[2:3]
	v_fma_f64 v[26:27], s[14:15], v[0:1], -v[26:27]
	v_fma_f64 v[2:3], s[16:17], v[0:1], v[2:3]
	v_add_f64 v[0:1], v[22:23], v[26:27]
	v_add_f64 v[2:3], v[24:25], v[2:3]
	v_mul_f64 v[22:23], s[38:39], v[40:41]
	flat_store_dwordx4 v[6:7], v[0:3] offset:512
	flat_load_dwordx4 v[0:3], v[8:9] offset:768
	v_mul_f64 v[8:9], s[40:41], v[40:41]
	v_fma_f64 v[22:23], s[40:41], v[38:39], v[22:23]
	v_fma_f64 v[8:9], s[38:39], v[38:39], -v[8:9]
	s_waitcnt vmcnt(0) lgkmcnt(0)
	v_mul_f64 v[24:25], s[16:17], v[2:3]
	v_mul_f64 v[2:3], s[14:15], v[2:3]
	v_fma_f64 v[24:25], s[14:15], v[0:1], -v[24:25]
	v_fma_f64 v[2:3], s[16:17], v[0:1], v[2:3]
	v_add_f64 v[0:1], v[8:9], v[24:25]
	v_add_f64 v[2:3], v[22:23], v[2:3]
	v_add_co_u32 v8, vcc_lo, v28, s0
	v_add_co_ci_u32_e64 v9, null, s1, v29, vcc_lo
	v_add_co_u32 v8, vcc_lo, v8, v4
	v_add_co_ci_u32_e64 v9, null, v9, v5, vcc_lo
	flat_store_dwordx4 v[6:7], v[0:3] offset:768
	flat_load_dwordx4 v[0:3], v[8:9]
	v_mul_f64 v[6:7], s[40:41], v[20:21]
	v_mul_f64 v[20:21], s[38:39], v[20:21]
	v_fma_f64 v[6:7], s[38:39], v[18:19], -v[6:7]
	v_fma_f64 v[18:19], s[40:41], v[18:19], v[20:21]
	s_waitcnt vmcnt(0) lgkmcnt(0)
	v_mul_f64 v[22:23], s[16:17], v[2:3]
	v_mul_f64 v[2:3], s[14:15], v[2:3]
	v_fma_f64 v[20:21], s[14:15], v[0:1], -v[22:23]
	v_fma_f64 v[2:3], s[16:17], v[0:1], v[2:3]
	v_add_f64 v[0:1], v[6:7], v[20:21]
	v_add_f64 v[2:3], v[18:19], v[2:3]
	v_add_co_u32 v6, vcc_lo, v30, s2
	v_add_co_ci_u32_e64 v7, null, s3, v31, vcc_lo
	v_add_co_u32 v6, vcc_lo, v6, v4
	v_add_co_ci_u32_e64 v7, null, v7, v5, vcc_lo
	v_mul_f64 v[4:5], s[40:41], v[16:17]
	v_mul_f64 v[16:17], s[38:39], v[16:17]
	flat_store_dwordx4 v[6:7], v[0:3]
	flat_load_dwordx4 v[0:3], v[8:9] offset:256
	v_fma_f64 v[4:5], s[38:39], v[14:15], -v[4:5]
	v_fma_f64 v[14:15], s[40:41], v[14:15], v[16:17]
	s_waitcnt vmcnt(0) lgkmcnt(0)
	v_mul_f64 v[18:19], s[16:17], v[2:3]
	v_mul_f64 v[2:3], s[14:15], v[2:3]
	v_fma_f64 v[16:17], s[14:15], v[0:1], -v[18:19]
	v_fma_f64 v[2:3], s[16:17], v[0:1], v[2:3]
	v_add_f64 v[0:1], v[4:5], v[16:17]
	v_add_f64 v[2:3], v[14:15], v[2:3]
	v_mul_f64 v[4:5], s[40:41], v[12:13]
	v_mul_f64 v[12:13], s[38:39], v[12:13]
	flat_store_dwordx4 v[6:7], v[0:3] offset:256
	flat_load_dwordx4 v[0:3], v[8:9] offset:512
	v_fma_f64 v[4:5], s[38:39], v[10:11], -v[4:5]
	v_fma_f64 v[10:11], s[40:41], v[10:11], v[12:13]
	s_waitcnt vmcnt(0) lgkmcnt(0)
	v_mul_f64 v[14:15], s[16:17], v[2:3]
	v_mul_f64 v[2:3], s[14:15], v[2:3]
	v_fma_f64 v[12:13], s[14:15], v[0:1], -v[14:15]
	v_fma_f64 v[2:3], s[16:17], v[0:1], v[2:3]
	v_add_f64 v[0:1], v[4:5], v[12:13]
	v_add_f64 v[2:3], v[10:11], v[2:3]
	v_mul_f64 v[4:5], s[40:41], v[76:77]
	flat_store_dwordx4 v[6:7], v[0:3] offset:512
	flat_load_dwordx4 v[0:3], v[8:9] offset:768
	v_mul_f64 v[8:9], s[38:39], v[76:77]
	v_fma_f64 v[4:5], s[38:39], v[74:75], -v[4:5]
	v_fma_f64 v[8:9], s[40:41], v[74:75], v[8:9]
	s_waitcnt vmcnt(0) lgkmcnt(0)
	v_mul_f64 v[10:11], s[16:17], v[2:3]
	v_mul_f64 v[2:3], s[14:15], v[2:3]
	v_fma_f64 v[10:11], s[14:15], v[0:1], -v[10:11]
	v_fma_f64 v[0:1], s[16:17], v[0:1], v[2:3]
	v_add_f64 v[10:11], v[4:5], v[10:11]
	v_add_f64 v[2:3], v[8:9], v[0:1]
	v_add_co_u32 v4, vcc_lo, 0x300, v6
	v_add_co_ci_u32_e64 v5, null, 0, v7, vcc_lo
	flat_store_dwordx2 v[6:7], v[10:11] offset:768
.LBB271_8:
	flat_store_dwordx2 v[4:5], v[2:3] offset:8
	s_endpgm
	.section	.rodata,"a",@progbits
	.p2align	6, 0x0
	.amdhsa_kernel _ZN12_GLOBAL__N_127rocblas_gemm_batched_kernelI19rocblas_complex_numIdELi16ELi16ELi64ELi64ELi4ELi64ELi4ELi4ELi64ELc84ELc67EKPKS2_S5_KPS2_EEvlllT_PT11_llSA_llS8_PT12_llPT13_lli
		.amdhsa_group_segment_fixed_size 8192
		.amdhsa_private_segment_fixed_size 0
		.amdhsa_kernarg_size 156
		.amdhsa_user_sgpr_count 6
		.amdhsa_user_sgpr_private_segment_buffer 1
		.amdhsa_user_sgpr_dispatch_ptr 0
		.amdhsa_user_sgpr_queue_ptr 0
		.amdhsa_user_sgpr_kernarg_segment_ptr 1
		.amdhsa_user_sgpr_dispatch_id 0
		.amdhsa_user_sgpr_flat_scratch_init 0
		.amdhsa_user_sgpr_private_segment_size 0
		.amdhsa_wavefront_size32 1
		.amdhsa_uses_dynamic_stack 0
		.amdhsa_system_sgpr_private_segment_wavefront_offset 0
		.amdhsa_system_sgpr_workgroup_id_x 1
		.amdhsa_system_sgpr_workgroup_id_y 1
		.amdhsa_system_sgpr_workgroup_id_z 1
		.amdhsa_system_sgpr_workgroup_info 0
		.amdhsa_system_vgpr_workitem_id 1
		.amdhsa_next_free_vgpr 138
		.amdhsa_next_free_sgpr 52
		.amdhsa_reserve_vcc 1
		.amdhsa_reserve_flat_scratch 0
		.amdhsa_float_round_mode_32 0
		.amdhsa_float_round_mode_16_64 0
		.amdhsa_float_denorm_mode_32 3
		.amdhsa_float_denorm_mode_16_64 3
		.amdhsa_dx10_clamp 1
		.amdhsa_ieee_mode 1
		.amdhsa_fp16_overflow 0
		.amdhsa_workgroup_processor_mode 1
		.amdhsa_memory_ordered 1
		.amdhsa_forward_progress 1
		.amdhsa_shared_vgpr_count 0
		.amdhsa_exception_fp_ieee_invalid_op 0
		.amdhsa_exception_fp_denorm_src 0
		.amdhsa_exception_fp_ieee_div_zero 0
		.amdhsa_exception_fp_ieee_overflow 0
		.amdhsa_exception_fp_ieee_underflow 0
		.amdhsa_exception_fp_ieee_inexact 0
		.amdhsa_exception_int_div_zero 0
	.end_amdhsa_kernel
	.section	.text._ZN12_GLOBAL__N_127rocblas_gemm_batched_kernelI19rocblas_complex_numIdELi16ELi16ELi64ELi64ELi4ELi64ELi4ELi4ELi64ELc84ELc67EKPKS2_S5_KPS2_EEvlllT_PT11_llSA_llS8_PT12_llPT13_lli,"axG",@progbits,_ZN12_GLOBAL__N_127rocblas_gemm_batched_kernelI19rocblas_complex_numIdELi16ELi16ELi64ELi64ELi4ELi64ELi4ELi4ELi64ELc84ELc67EKPKS2_S5_KPS2_EEvlllT_PT11_llSA_llS8_PT12_llPT13_lli,comdat
.Lfunc_end271:
	.size	_ZN12_GLOBAL__N_127rocblas_gemm_batched_kernelI19rocblas_complex_numIdELi16ELi16ELi64ELi64ELi4ELi64ELi4ELi4ELi64ELc84ELc67EKPKS2_S5_KPS2_EEvlllT_PT11_llSA_llS8_PT12_llPT13_lli, .Lfunc_end271-_ZN12_GLOBAL__N_127rocblas_gemm_batched_kernelI19rocblas_complex_numIdELi16ELi16ELi64ELi64ELi4ELi64ELi4ELi4ELi64ELc84ELc67EKPKS2_S5_KPS2_EEvlllT_PT11_llSA_llS8_PT12_llPT13_lli
                                        ; -- End function
	.set _ZN12_GLOBAL__N_127rocblas_gemm_batched_kernelI19rocblas_complex_numIdELi16ELi16ELi64ELi64ELi4ELi64ELi4ELi4ELi64ELc84ELc67EKPKS2_S5_KPS2_EEvlllT_PT11_llSA_llS8_PT12_llPT13_lli.num_vgpr, 138
	.set _ZN12_GLOBAL__N_127rocblas_gemm_batched_kernelI19rocblas_complex_numIdELi16ELi16ELi64ELi64ELi4ELi64ELi4ELi4ELi64ELc84ELc67EKPKS2_S5_KPS2_EEvlllT_PT11_llSA_llS8_PT12_llPT13_lli.num_agpr, 0
	.set _ZN12_GLOBAL__N_127rocblas_gemm_batched_kernelI19rocblas_complex_numIdELi16ELi16ELi64ELi64ELi4ELi64ELi4ELi4ELi64ELc84ELc67EKPKS2_S5_KPS2_EEvlllT_PT11_llSA_llS8_PT12_llPT13_lli.numbered_sgpr, 52
	.set _ZN12_GLOBAL__N_127rocblas_gemm_batched_kernelI19rocblas_complex_numIdELi16ELi16ELi64ELi64ELi4ELi64ELi4ELi4ELi64ELc84ELc67EKPKS2_S5_KPS2_EEvlllT_PT11_llSA_llS8_PT12_llPT13_lli.num_named_barrier, 0
	.set _ZN12_GLOBAL__N_127rocblas_gemm_batched_kernelI19rocblas_complex_numIdELi16ELi16ELi64ELi64ELi4ELi64ELi4ELi4ELi64ELc84ELc67EKPKS2_S5_KPS2_EEvlllT_PT11_llSA_llS8_PT12_llPT13_lli.private_seg_size, 0
	.set _ZN12_GLOBAL__N_127rocblas_gemm_batched_kernelI19rocblas_complex_numIdELi16ELi16ELi64ELi64ELi4ELi64ELi4ELi4ELi64ELc84ELc67EKPKS2_S5_KPS2_EEvlllT_PT11_llSA_llS8_PT12_llPT13_lli.uses_vcc, 1
	.set _ZN12_GLOBAL__N_127rocblas_gemm_batched_kernelI19rocblas_complex_numIdELi16ELi16ELi64ELi64ELi4ELi64ELi4ELi4ELi64ELc84ELc67EKPKS2_S5_KPS2_EEvlllT_PT11_llSA_llS8_PT12_llPT13_lli.uses_flat_scratch, 0
	.set _ZN12_GLOBAL__N_127rocblas_gemm_batched_kernelI19rocblas_complex_numIdELi16ELi16ELi64ELi64ELi4ELi64ELi4ELi4ELi64ELc84ELc67EKPKS2_S5_KPS2_EEvlllT_PT11_llSA_llS8_PT12_llPT13_lli.has_dyn_sized_stack, 0
	.set _ZN12_GLOBAL__N_127rocblas_gemm_batched_kernelI19rocblas_complex_numIdELi16ELi16ELi64ELi64ELi4ELi64ELi4ELi4ELi64ELc84ELc67EKPKS2_S5_KPS2_EEvlllT_PT11_llSA_llS8_PT12_llPT13_lli.has_recursion, 0
	.set _ZN12_GLOBAL__N_127rocblas_gemm_batched_kernelI19rocblas_complex_numIdELi16ELi16ELi64ELi64ELi4ELi64ELi4ELi4ELi64ELc84ELc67EKPKS2_S5_KPS2_EEvlllT_PT11_llSA_llS8_PT12_llPT13_lli.has_indirect_call, 0
	.section	.AMDGPU.csdata,"",@progbits
; Kernel info:
; codeLenInByte = 7404
; TotalNumSgprs: 54
; NumVgprs: 138
; ScratchSize: 0
; MemoryBound: 0
; FloatMode: 240
; IeeeMode: 1
; LDSByteSize: 8192 bytes/workgroup (compile time only)
; SGPRBlocks: 0
; VGPRBlocks: 17
; NumSGPRsForWavesPerEU: 54
; NumVGPRsForWavesPerEU: 138
; Occupancy: 7
; WaveLimiterHint : 1
; COMPUTE_PGM_RSRC2:SCRATCH_EN: 0
; COMPUTE_PGM_RSRC2:USER_SGPR: 6
; COMPUTE_PGM_RSRC2:TRAP_HANDLER: 0
; COMPUTE_PGM_RSRC2:TGID_X_EN: 1
; COMPUTE_PGM_RSRC2:TGID_Y_EN: 1
; COMPUTE_PGM_RSRC2:TGID_Z_EN: 1
; COMPUTE_PGM_RSRC2:TIDIG_COMP_CNT: 1
	.section	.text._ZN12_GLOBAL__N_127rocblas_gemm_batched_kernelI19rocblas_complex_numIdELi16ELi16ELi32ELi32ELi8ELi32ELi8ELi8ELi32ELc78ELc78EKPKS2_S5_KPS2_EEvlllT_PT11_llSA_llS8_PT12_llPT13_lli,"axG",@progbits,_ZN12_GLOBAL__N_127rocblas_gemm_batched_kernelI19rocblas_complex_numIdELi16ELi16ELi32ELi32ELi8ELi32ELi8ELi8ELi32ELc78ELc78EKPKS2_S5_KPS2_EEvlllT_PT11_llSA_llS8_PT12_llPT13_lli,comdat
	.globl	_ZN12_GLOBAL__N_127rocblas_gemm_batched_kernelI19rocblas_complex_numIdELi16ELi16ELi32ELi32ELi8ELi32ELi8ELi8ELi32ELc78ELc78EKPKS2_S5_KPS2_EEvlllT_PT11_llSA_llS8_PT12_llPT13_lli ; -- Begin function _ZN12_GLOBAL__N_127rocblas_gemm_batched_kernelI19rocblas_complex_numIdELi16ELi16ELi32ELi32ELi8ELi32ELi8ELi8ELi32ELc78ELc78EKPKS2_S5_KPS2_EEvlllT_PT11_llSA_llS8_PT12_llPT13_lli
	.p2align	8
	.type	_ZN12_GLOBAL__N_127rocblas_gemm_batched_kernelI19rocblas_complex_numIdELi16ELi16ELi32ELi32ELi8ELi32ELi8ELi8ELi32ELc78ELc78EKPKS2_S5_KPS2_EEvlllT_PT11_llSA_llS8_PT12_llPT13_lli,@function
_ZN12_GLOBAL__N_127rocblas_gemm_batched_kernelI19rocblas_complex_numIdELi16ELi16ELi32ELi32ELi8ELi32ELi8ELi8ELi32ELc78ELc78EKPKS2_S5_KPS2_EEvlllT_PT11_llSA_llS8_PT12_llPT13_lli: ; @_ZN12_GLOBAL__N_127rocblas_gemm_batched_kernelI19rocblas_complex_numIdELi16ELi16ELi32ELi32ELi8ELi32ELi8ELi8ELi32ELc78ELc78EKPKS2_S5_KPS2_EEvlllT_PT11_llSA_llS8_PT12_llPT13_lli
; %bb.0:
	s_clause 0x1
	s_load_dwordx16 s[12:27], s[4:5], 0x50
	s_load_dwordx16 s[36:51], s[4:5], 0x10
	s_mov_b32 s9, 0
	s_mov_b32 s28, s7
	s_lshl_b64 s[10:11], s[8:9], 3
	s_waitcnt lgkmcnt(0)
	s_add_u32 s0, s18, s10
	s_addc_u32 s1, s19, s11
	s_add_u32 s2, s24, s10
	s_addc_u32 s3, s25, s11
	s_load_dwordx2 s[0:1], s[0:1], 0x0
	s_load_dwordx2 s[2:3], s[2:3], 0x0
	v_cmp_lt_i64_e64 s8, s[36:37], 1
	s_ashr_i32 s7, s6, 31
	s_ashr_i32 s29, s28, 31
	s_lshl_b64 s[6:7], s[6:7], 5
	s_and_b32 vcc_lo, exec_lo, s8
	s_lshl_b64 s[8:9], s[28:29], 5
	s_cbranch_vccnz .LBB272_3
; %bb.1:
	v_lshl_add_u32 v4, v1, 4, v0
	v_and_b32_e32 v5, 7, v0
	s_add_u32 s18, s42, s10
	s_addc_u32 s19, s43, s11
	s_add_u32 s10, s48, s10
	v_lshrrev_b32_e32 v6, 3, v4
	v_lshrrev_b32_e32 v8, 5, v4
	v_and_b32_e32 v10, 31, v4
	v_lshlrev_b32_e32 v11, 4, v5
	s_load_dwordx2 s[18:19], s[18:19], 0x0
	v_add_co_u32 v7, s24, v6, s8
	v_mad_u64_u32 v[2:3], null, s44, v8, s[6:7]
	v_add_co_ci_u32_e64 v9, null, 0, s9, s24
	v_mad_u64_u32 v[4:5], null, s50, v7, 0
	v_mul_lo_u32 v12, s51, v7
	v_mul_lo_u32 v9, s50, v9
	v_lshl_or_b32 v14, v6, 7, v11
	s_addc_u32 s11, s49, s11
	v_add_co_u32 v2, vcc_lo, v2, v10
	v_mad_u64_u32 v[6:7], null, s45, v8, v[3:4]
	s_load_dwordx2 s[10:11], s[10:11], 0x0
	v_add3_u32 v5, v5, v9, v12
	s_lshl_b64 s[24:25], s[46:47], 4
	v_lshlrev_b32_e32 v13, 4, v10
	s_waitcnt lgkmcnt(0)
	s_add_u32 s18, s18, s24
	s_addc_u32 s19, s19, s25
	v_add_co_ci_u32_e64 v3, null, 0, v6, vcc_lo
	v_lshlrev_b64 v[4:5], 4, v[4:5]
	s_lshl_b64 s[12:13], s[12:13], 4
	v_lshl_or_b32 v22, v8, 9, v13
	v_lshlrev_b64 v[2:3], 4, v[2:3]
	v_add_nc_u32_e32 v23, 0x1000, v14
	v_mov_b32_e32 v8, 0
	v_add_co_u32 v4, vcc_lo, v4, s12
	v_add_co_ci_u32_e64 v5, null, s13, v5, vcc_lo
	v_add_co_u32 v18, vcc_lo, s18, v2
	v_add_co_ci_u32_e64 v19, null, s19, v3, vcc_lo
	;; [unrolled: 2-line block ×3, first 2 shown]
	v_mov_b32_e32 v4, 0
	v_add_co_u32 v20, vcc_lo, s10, v20
	v_mov_b32_e32 v2, 0
	v_mov_b32_e32 v6, 0
	;; [unrolled: 1-line block ×6, first 2 shown]
	v_lshlrev_b32_e32 v24, 4, v0
	v_lshl_add_u32 v25, v1, 7, 0x1000
	v_mov_b32_e32 v5, 0
	v_mov_b32_e32 v3, 0
	;; [unrolled: 1-line block ×8, first 2 shown]
	v_add_co_ci_u32_e64 v21, null, s11, v21, vcc_lo
	s_lshl_b64 s[10:11], s[44:45], 7
	s_mov_b64 s[12:13], 0
.LBB272_2:                              ; =>This Inner Loop Header: Depth=1
	flat_load_dwordx4 v[26:29], v[18:19]
	flat_load_dwordx4 v[30:33], v[20:21]
	s_add_u32 s12, s12, 8
	s_addc_u32 s13, s13, 0
	v_add_co_u32 v18, vcc_lo, v18, s10
	v_cmp_lt_i64_e64 s18, s[12:13], s[36:37]
	v_add_co_ci_u32_e64 v19, null, s11, v19, vcc_lo
	v_add_co_u32 v20, vcc_lo, 0x80, v20
	v_add_co_ci_u32_e64 v21, null, 0, v21, vcc_lo
	s_and_b32 vcc_lo, exec_lo, s18
	s_waitcnt vmcnt(1) lgkmcnt(1)
	ds_write2_b64 v22, v[26:27], v[28:29] offset1:1
	s_waitcnt vmcnt(0) lgkmcnt(1)
	ds_write2_b64 v23, v[30:31], v[32:33] offset1:1
	s_waitcnt lgkmcnt(0)
	s_barrier
	buffer_gl0_inv
	ds_read_b128 v[26:29], v24
	ds_read_b128 v[30:33], v24 offset:256
	ds_read_b128 v[34:37], v25
	ds_read_b128 v[38:41], v25 offset:16
	ds_read_b128 v[42:45], v25 offset:2048
	;; [unrolled: 1-line block ×28, first 2 shown]
	s_waitcnt lgkmcnt(28)
	v_mul_f64 v[150:151], v[36:37], v[28:29]
	v_mul_f64 v[154:155], v[36:37], v[32:33]
	;; [unrolled: 1-line block ×4, first 2 shown]
	v_fma_f64 v[150:151], v[34:35], v[26:27], -v[150:151]
	v_fma_f64 v[34:35], v[34:35], v[30:31], -v[154:155]
	s_waitcnt lgkmcnt(26)
	v_mul_f64 v[154:155], v[44:45], v[28:29]
	v_mul_f64 v[28:29], v[42:43], v[28:29]
	v_fma_f64 v[152:153], v[36:37], v[26:27], v[152:153]
	v_fma_f64 v[36:37], v[36:37], v[30:31], v[156:157]
	v_add_f64 v[14:15], v[14:15], v[150:151]
	v_add_f64 v[10:11], v[10:11], v[34:35]
	v_fma_f64 v[154:155], v[42:43], v[26:27], -v[154:155]
	v_fma_f64 v[156:157], v[44:45], v[26:27], v[28:29]
	v_mul_f64 v[26:27], v[44:45], v[32:33]
	v_mul_f64 v[28:29], v[42:43], v[32:33]
	v_add_f64 v[16:17], v[152:153], v[16:17]
	v_add_f64 v[12:13], v[36:37], v[12:13]
	s_waitcnt lgkmcnt(16)
	v_mul_f64 v[34:35], v[64:65], v[84:85]
	v_mul_f64 v[36:37], v[62:63], v[84:85]
	s_waitcnt lgkmcnt(15)
	v_mul_f64 v[150:151], v[62:63], v[88:89]
	s_waitcnt lgkmcnt(12)
	v_mul_f64 v[152:153], v[98:99], v[96:97]
	v_add_f64 v[6:7], v[6:7], v[154:155]
	v_add_f64 v[8:9], v[156:157], v[8:9]
	v_fma_f64 v[32:33], v[42:43], v[30:31], -v[26:27]
	v_fma_f64 v[30:31], v[44:45], v[30:31], v[28:29]
	v_mul_f64 v[26:27], v[40:41], v[52:53]
	v_mul_f64 v[28:29], v[38:39], v[52:53]
	;; [unrolled: 1-line block ×4, first 2 shown]
	v_fma_f64 v[34:35], v[62:63], v[82:83], -v[34:35]
	v_fma_f64 v[36:37], v[64:65], v[82:83], v[36:37]
	v_add_f64 v[2:3], v[2:3], v[32:33]
	v_add_f64 v[4:5], v[30:31], v[4:5]
	v_fma_f64 v[158:159], v[38:39], v[50:51], -v[26:27]
	v_fma_f64 v[160:161], v[40:41], v[50:51], v[28:29]
	v_mul_f64 v[26:27], v[48:49], v[52:53]
	v_mul_f64 v[28:29], v[46:47], v[52:53]
	v_fma_f64 v[38:39], v[38:39], v[54:55], -v[42:43]
	v_fma_f64 v[40:41], v[40:41], v[54:55], v[44:45]
	v_mul_f64 v[52:53], v[58:59], v[72:73]
	v_mul_f64 v[30:31], v[80:81], v[84:85]
	;; [unrolled: 1-line block ×4, first 2 shown]
	v_add_f64 v[14:15], v[14:15], v[158:159]
	v_add_f64 v[16:17], v[160:161], v[16:17]
	v_fma_f64 v[42:43], v[46:47], v[50:51], -v[26:27]
	v_fma_f64 v[44:45], v[48:49], v[50:51], v[28:29]
	v_mul_f64 v[26:27], v[48:49], v[56:57]
	v_mul_f64 v[28:29], v[46:47], v[56:57]
	;; [unrolled: 1-line block ×3, first 2 shown]
	v_fma_f64 v[52:53], v[60:61], v[70:71], v[52:53]
	v_add_f64 v[10:11], v[10:11], v[38:39]
	v_add_f64 v[12:13], v[40:41], v[12:13]
	s_waitcnt lgkmcnt(10)
	v_mul_f64 v[38:39], v[108:109], v[92:93]
	v_mul_f64 v[40:41], v[106:107], v[92:93]
	v_fma_f64 v[30:31], v[78:79], v[82:83], -v[30:31]
	v_fma_f64 v[32:33], v[80:81], v[82:83], v[32:33]
	s_waitcnt lgkmcnt(8)
	v_mul_f64 v[82:83], v[112:113], v[116:117]
	v_add_f64 v[6:7], v[6:7], v[42:43]
	v_add_f64 v[8:9], v[44:45], v[8:9]
	v_fma_f64 v[46:47], v[46:47], v[54:55], -v[26:27]
	v_fma_f64 v[48:49], v[48:49], v[54:55], v[28:29]
	v_mul_f64 v[26:27], v[60:61], v[68:69]
	v_mul_f64 v[28:29], v[58:59], v[68:69]
	v_fma_f64 v[50:51], v[58:59], v[70:71], -v[50:51]
	v_mul_f64 v[42:43], v[108:109], v[96:97]
	v_mul_f64 v[44:45], v[106:107], v[96:97]
	v_add_f64 v[12:13], v[52:53], v[12:13]
	s_waitcnt lgkmcnt(7)
	v_mul_f64 v[52:53], v[110:111], v[120:121]
	v_fma_f64 v[38:39], v[106:107], v[90:91], -v[38:39]
	v_fma_f64 v[40:41], v[108:109], v[90:91], v[40:41]
	v_add_f64 v[2:3], v[2:3], v[46:47]
	v_add_f64 v[4:5], v[48:49], v[4:5]
	v_fma_f64 v[54:55], v[58:59], v[66:67], -v[26:27]
	v_fma_f64 v[56:57], v[60:61], v[66:67], v[28:29]
	v_mul_f64 v[26:27], v[76:77], v[68:69]
	v_mul_f64 v[28:29], v[74:75], v[68:69]
	;; [unrolled: 1-line block ×3, first 2 shown]
	v_add_f64 v[10:11], v[10:11], v[50:51]
	v_mul_f64 v[46:47], v[104:105], v[116:117]
	v_mul_f64 v[48:49], v[102:103], v[116:117]
	;; [unrolled: 1-line block ×3, first 2 shown]
	v_fma_f64 v[42:43], v[106:107], v[94:95], -v[42:43]
	v_fma_f64 v[44:45], v[108:109], v[94:95], v[44:45]
	v_fma_f64 v[52:53], v[112:113], v[118:119], v[52:53]
	v_add_f64 v[14:15], v[14:15], v[54:55]
	v_add_f64 v[16:17], v[56:57], v[16:17]
	v_fma_f64 v[58:59], v[74:75], v[66:67], -v[26:27]
	v_fma_f64 v[60:61], v[76:77], v[66:67], v[28:29]
	v_mul_f64 v[66:67], v[76:77], v[72:73]
	v_mul_f64 v[72:73], v[64:65], v[88:89]
	v_fma_f64 v[68:69], v[76:77], v[70:71], v[68:69]
	v_mul_f64 v[76:77], v[100:101], v[92:93]
	v_fma_f64 v[64:65], v[64:65], v[86:87], v[150:151]
	v_mul_f64 v[92:93], v[102:103], v[120:121]
	s_waitcnt lgkmcnt(4)
	v_mul_f64 v[54:55], v[132:133], v[124:125]
	v_mul_f64 v[56:57], v[130:131], v[124:125]
	v_fma_f64 v[46:47], v[102:103], v[114:115], -v[46:47]
	v_fma_f64 v[48:49], v[104:105], v[114:115], v[48:49]
	v_fma_f64 v[50:51], v[110:111], v[118:119], -v[50:51]
	ds_read_b128 v[26:29], v24 offset:3840
	s_waitcnt lgkmcnt(0)
	s_barrier
	buffer_gl0_inv
	v_add_f64 v[14:15], v[14:15], v[34:35]
	v_add_f64 v[16:17], v[36:37], v[16:17]
	;; [unrolled: 1-line block ×4, first 2 shown]
	v_fma_f64 v[66:67], v[74:75], v[70:71], -v[66:67]
	v_mul_f64 v[70:71], v[80:81], v[88:89]
	v_mul_f64 v[74:75], v[78:79], v[88:89]
	;; [unrolled: 1-line block ×3, first 2 shown]
	v_fma_f64 v[62:63], v[62:63], v[86:87], -v[72:73]
	v_add_f64 v[4:5], v[68:69], v[4:5]
	v_mul_f64 v[72:73], v[104:105], v[120:121]
	v_mul_f64 v[96:97], v[110:111], v[116:117]
	v_fma_f64 v[68:69], v[100:101], v[90:91], v[84:85]
	v_add_f64 v[12:13], v[64:65], v[12:13]
	v_mul_f64 v[58:59], v[132:133], v[128:129]
	v_mul_f64 v[60:61], v[130:131], v[128:129]
	;; [unrolled: 1-line block ×5, first 2 shown]
	v_fma_f64 v[54:55], v[130:131], v[122:123], -v[54:55]
	v_fma_f64 v[56:57], v[132:133], v[122:123], v[56:57]
	v_add_f64 v[6:7], v[6:7], v[30:31]
	v_add_f64 v[8:9], v[32:33], v[8:9]
	;; [unrolled: 1-line block ×3, first 2 shown]
	v_fma_f64 v[70:71], v[78:79], v[86:87], -v[70:71]
	v_fma_f64 v[74:75], v[80:81], v[86:87], v[74:75]
	v_fma_f64 v[66:67], v[98:99], v[90:91], -v[76:77]
	v_fma_f64 v[76:77], v[98:99], v[94:95], -v[88:89]
	v_fma_f64 v[78:79], v[100:101], v[94:95], v[152:153]
	v_add_f64 v[10:11], v[10:11], v[62:63]
	v_mul_f64 v[30:31], v[140:141], v[124:125]
	v_mul_f64 v[32:33], v[138:139], v[124:125]
	v_fma_f64 v[80:81], v[112:113], v[114:115], v[96:97]
	v_add_f64 v[16:17], v[68:69], v[16:17]
	v_mul_f64 v[62:63], v[136:137], v[148:149]
	v_fma_f64 v[58:59], v[130:131], v[126:127], -v[58:59]
	v_fma_f64 v[60:61], v[132:133], v[126:127], v[60:61]
	v_fma_f64 v[34:35], v[138:139], v[126:127], -v[34:35]
	v_fma_f64 v[36:37], v[140:141], v[126:127], v[36:37]
	v_add_f64 v[6:7], v[6:7], v[38:39]
	v_add_f64 v[8:9], v[40:41], v[8:9]
	v_mul_f64 v[38:39], v[136:137], v[28:29]
	v_add_f64 v[2:3], v[2:3], v[70:71]
	v_add_f64 v[4:5], v[74:75], v[4:5]
	v_fma_f64 v[70:71], v[102:103], v[118:119], -v[72:73]
	v_fma_f64 v[72:73], v[104:105], v[118:119], v[92:93]
	v_fma_f64 v[74:75], v[110:111], v[114:115], -v[82:83]
	v_add_f64 v[14:15], v[14:15], v[66:67]
	v_add_f64 v[10:11], v[10:11], v[76:77]
	;; [unrolled: 1-line block ×3, first 2 shown]
	v_mul_f64 v[40:41], v[134:135], v[28:29]
	v_mul_f64 v[66:67], v[144:145], v[28:29]
	;; [unrolled: 1-line block ×3, first 2 shown]
	v_fma_f64 v[30:31], v[138:139], v[122:123], -v[30:31]
	v_fma_f64 v[32:33], v[140:141], v[122:123], v[32:33]
	v_add_f64 v[16:17], v[48:49], v[16:17]
	v_fma_f64 v[48:49], v[136:137], v[146:147], v[64:65]
	v_add_f64 v[8:9], v[80:81], v[8:9]
	v_fma_f64 v[38:39], v[134:135], v[26:27], -v[38:39]
	v_add_f64 v[2:3], v[2:3], v[42:43]
	v_add_f64 v[4:5], v[44:45], v[4:5]
	v_mul_f64 v[42:43], v[144:145], v[148:149]
	v_mul_f64 v[44:45], v[142:143], v[148:149]
	v_add_f64 v[6:7], v[6:7], v[74:75]
	v_add_f64 v[14:15], v[14:15], v[46:47]
	;; [unrolled: 1-line block ×4, first 2 shown]
	v_fma_f64 v[46:47], v[134:135], v[146:147], -v[62:63]
	v_fma_f64 v[40:41], v[136:137], v[26:27], v[40:41]
	v_add_f64 v[16:17], v[56:57], v[16:17]
	v_add_f64 v[8:9], v[32:33], v[8:9]
	;; [unrolled: 1-line block ×4, first 2 shown]
	v_fma_f64 v[42:43], v[142:143], v[146:147], -v[42:43]
	v_fma_f64 v[44:45], v[144:145], v[146:147], v[44:45]
	v_fma_f64 v[50:51], v[142:143], v[26:27], -v[66:67]
	v_fma_f64 v[26:27], v[144:145], v[26:27], v[28:29]
	v_add_f64 v[14:15], v[14:15], v[54:55]
	v_add_f64 v[10:11], v[10:11], v[58:59]
	;; [unrolled: 1-line block ×14, first 2 shown]
	s_cbranch_vccnz .LBB272_2
	s_branch .LBB272_4
.LBB272_3:
	v_mov_b32_e32 v14, 0
	v_mov_b32_e32 v16, 0
	;; [unrolled: 1-line block ×16, first 2 shown]
.LBB272_4:
	s_load_dwordx2 s[4:5], s[4:5], 0x90
	v_cmp_neq_f64_e64 s10, s[14:15], 0
	v_cmp_neq_f64_e64 s11, s[16:17], 0
	v_add_co_u32 v22, s8, s8, v1
	v_add_co_ci_u32_e64 v23, null, s9, 0, s8
	s_waitcnt lgkmcnt(0)
	s_lshl_b64 s[4:5], s[4:5], 4
	s_add_u32 s2, s2, s4
	s_addc_u32 s3, s3, s5
	v_add_co_u32 v0, s5, s6, v0
	v_add_co_ci_u32_e64 v1, null, s7, 0, s5
	s_or_b32 s4, s10, s11
	s_and_b32 vcc_lo, exec_lo, s4
	s_cbranch_vccnz .LBB272_6
; %bb.5:
	v_mul_f64 v[20:21], s[40:41], v[16:17]
	v_mul_f64 v[26:27], s[38:39], v[16:17]
	;; [unrolled: 1-line block ×4, first 2 shown]
	v_mul_lo_u32 v24, v23, s26
	v_mul_lo_u32 v25, v22, s27
	v_mad_u64_u32 v[18:19], null, v22, s26, 0
	v_mul_f64 v[28:29], s[40:41], v[12:13]
	v_mul_f64 v[30:31], s[38:39], v[12:13]
	;; [unrolled: 1-line block ×4, first 2 shown]
	s_lshl_b64 s[4:5], s[26:27], 8
	v_lshlrev_b64 v[40:41], 4, v[0:1]
	v_add3_u32 v19, v19, v25, v24
	v_lshlrev_b64 v[18:19], 4, v[18:19]
	v_fma_f64 v[24:25], s[38:39], v[14:15], -v[20:21]
	v_fma_f64 v[26:27], s[40:41], v[14:15], v[26:27]
	v_fma_f64 v[36:37], s[38:39], v[2:3], -v[36:37]
	v_add_co_u32 v42, vcc_lo, s2, v18
	v_add_co_ci_u32_e64 v43, null, s3, v19, vcc_lo
	v_fma_f64 v[18:19], s[40:41], v[2:3], v[38:39]
	v_fma_f64 v[28:29], s[38:39], v[10:11], -v[28:29]
	v_fma_f64 v[30:31], s[40:41], v[10:11], v[30:31]
	v_fma_f64 v[32:33], s[38:39], v[6:7], -v[32:33]
	v_fma_f64 v[34:35], s[40:41], v[6:7], v[34:35]
	v_add_co_u32 v20, vcc_lo, v42, s4
	v_add_co_ci_u32_e64 v21, null, s5, v43, vcc_lo
	v_add_co_u32 v38, vcc_lo, v20, v40
	v_add_co_ci_u32_e64 v39, null, v21, v41, vcc_lo
	;; [unrolled: 2-line block ×4, first 2 shown]
	flat_store_dwordx4 v[40:41], v[24:27]
	flat_store_dwordx4 v[40:41], v[28:31] offset:256
	flat_store_dwordx4 v[38:39], v[32:35]
	flat_store_dwordx2 v[38:39], v[36:37] offset:256
	s_cbranch_execz .LBB272_7
	s_branch .LBB272_8
.LBB272_6:
                                        ; implicit-def: $vgpr18_vgpr19
                                        ; implicit-def: $vgpr20_vgpr21
.LBB272_7:
	v_mul_lo_u32 v20, v23, s20
	v_mul_lo_u32 v21, v22, s21
	v_mad_u64_u32 v[18:19], null, v22, s20, 0
	s_lshl_b64 s[4:5], s[22:23], 4
	v_lshlrev_b64 v[0:1], 4, v[0:1]
	s_add_u32 s0, s0, s4
	s_addc_u32 s1, s1, s5
	v_mul_f64 v[26:27], s[40:41], v[16:17]
	v_mul_f64 v[16:17], s[38:39], v[16:17]
	v_add3_u32 v19, v19, v21, v20
	v_mul_lo_u32 v23, v23, s26
	v_lshlrev_b64 v[18:19], 4, v[18:19]
	v_add_co_u32 v30, vcc_lo, s0, v18
	v_add_co_ci_u32_e64 v31, null, s1, v19, vcc_lo
	s_lshl_b64 s[0:1], s[20:21], 8
	v_add_co_u32 v24, vcc_lo, v30, v0
	v_add_co_ci_u32_e64 v25, null, v31, v1, vcc_lo
	v_fma_f64 v[26:27], s[38:39], v[14:15], -v[26:27]
	v_fma_f64 v[16:17], s[40:41], v[14:15], v[16:17]
	flat_load_dwordx4 v[18:21], v[24:25]
	s_waitcnt vmcnt(0) lgkmcnt(0)
	v_mul_f64 v[28:29], s[16:17], v[20:21]
	v_mul_f64 v[20:21], s[14:15], v[20:21]
	v_fma_f64 v[14:15], s[14:15], v[18:19], -v[28:29]
	v_fma_f64 v[18:19], s[16:17], v[18:19], v[20:21]
	v_mul_lo_u32 v28, v22, s27
	v_mad_u64_u32 v[20:21], null, v22, s26, 0
	v_add3_u32 v21, v21, v28, v23
	v_add_f64 v[14:15], v[26:27], v[14:15]
	v_add_f64 v[16:17], v[16:17], v[18:19]
	v_lshlrev_b64 v[18:19], 4, v[20:21]
	v_mul_f64 v[20:21], s[40:41], v[12:13]
	v_mul_f64 v[12:13], s[38:39], v[12:13]
	v_add_co_u32 v26, vcc_lo, s2, v18
	v_add_co_ci_u32_e64 v27, null, s3, v19, vcc_lo
	v_add_co_u32 v18, vcc_lo, v26, v0
	v_add_co_ci_u32_e64 v19, null, v27, v1, vcc_lo
	flat_store_dwordx4 v[18:19], v[14:17]
	flat_load_dwordx4 v[14:17], v[24:25] offset:256
	v_fma_f64 v[20:21], s[38:39], v[10:11], -v[20:21]
	v_fma_f64 v[12:13], s[40:41], v[10:11], v[12:13]
	s_waitcnt vmcnt(0) lgkmcnt(0)
	v_mul_f64 v[22:23], s[16:17], v[16:17]
	v_mul_f64 v[16:17], s[14:15], v[16:17]
	v_fma_f64 v[10:11], s[14:15], v[14:15], -v[22:23]
	v_fma_f64 v[14:15], s[16:17], v[14:15], v[16:17]
	v_mul_f64 v[16:17], s[40:41], v[8:9]
	v_mul_f64 v[8:9], s[38:39], v[8:9]
	v_add_f64 v[10:11], v[20:21], v[10:11]
	v_add_f64 v[12:13], v[12:13], v[14:15]
	v_add_co_u32 v14, vcc_lo, v30, s0
	v_add_co_ci_u32_e64 v15, null, s1, v31, vcc_lo
	v_fma_f64 v[16:17], s[38:39], v[6:7], -v[16:17]
	v_add_co_u32 v14, vcc_lo, v14, v0
	v_add_co_ci_u32_e64 v15, null, v15, v1, vcc_lo
	v_fma_f64 v[8:9], s[40:41], v[6:7], v[8:9]
	s_lshl_b64 s[0:1], s[26:27], 8
	flat_store_dwordx4 v[18:19], v[10:13] offset:256
	flat_load_dwordx4 v[10:13], v[14:15]
	s_waitcnt vmcnt(0) lgkmcnt(0)
	v_mul_f64 v[18:19], s[16:17], v[12:13]
	v_mul_f64 v[12:13], s[14:15], v[12:13]
	v_fma_f64 v[6:7], s[14:15], v[10:11], -v[18:19]
	v_fma_f64 v[10:11], s[16:17], v[10:11], v[12:13]
	v_add_f64 v[6:7], v[16:17], v[6:7]
	v_add_f64 v[8:9], v[8:9], v[10:11]
	v_add_co_u32 v10, vcc_lo, v26, s0
	v_add_co_ci_u32_e64 v11, null, s1, v27, vcc_lo
	v_add_co_u32 v0, vcc_lo, v10, v0
	v_add_co_ci_u32_e64 v1, null, v11, v1, vcc_lo
	v_mul_f64 v[10:11], s[40:41], v[4:5]
	v_mul_f64 v[4:5], s[38:39], v[4:5]
	v_add_co_u32 v20, vcc_lo, 0x100, v0
	v_add_co_ci_u32_e64 v21, null, 0, v1, vcc_lo
	flat_store_dwordx4 v[0:1], v[6:9]
	flat_load_dwordx4 v[6:9], v[14:15] offset:256
	v_fma_f64 v[10:11], s[38:39], v[2:3], -v[10:11]
	v_fma_f64 v[2:3], s[40:41], v[2:3], v[4:5]
	s_waitcnt vmcnt(0) lgkmcnt(0)
	v_mul_f64 v[12:13], s[16:17], v[8:9]
	v_mul_f64 v[8:9], s[14:15], v[8:9]
	v_fma_f64 v[4:5], s[14:15], v[6:7], -v[12:13]
	v_fma_f64 v[6:7], s[16:17], v[6:7], v[8:9]
	v_add_f64 v[4:5], v[10:11], v[4:5]
	v_add_f64 v[18:19], v[2:3], v[6:7]
	flat_store_dwordx2 v[0:1], v[4:5] offset:256
.LBB272_8:
	flat_store_dwordx2 v[20:21], v[18:19] offset:8
	s_endpgm
	.section	.rodata,"a",@progbits
	.p2align	6, 0x0
	.amdhsa_kernel _ZN12_GLOBAL__N_127rocblas_gemm_batched_kernelI19rocblas_complex_numIdELi16ELi16ELi32ELi32ELi8ELi32ELi8ELi8ELi32ELc78ELc78EKPKS2_S5_KPS2_EEvlllT_PT11_llSA_llS8_PT12_llPT13_lli
		.amdhsa_group_segment_fixed_size 8192
		.amdhsa_private_segment_fixed_size 0
		.amdhsa_kernarg_size 156
		.amdhsa_user_sgpr_count 6
		.amdhsa_user_sgpr_private_segment_buffer 1
		.amdhsa_user_sgpr_dispatch_ptr 0
		.amdhsa_user_sgpr_queue_ptr 0
		.amdhsa_user_sgpr_kernarg_segment_ptr 1
		.amdhsa_user_sgpr_dispatch_id 0
		.amdhsa_user_sgpr_flat_scratch_init 0
		.amdhsa_user_sgpr_private_segment_size 0
		.amdhsa_wavefront_size32 1
		.amdhsa_uses_dynamic_stack 0
		.amdhsa_system_sgpr_private_segment_wavefront_offset 0
		.amdhsa_system_sgpr_workgroup_id_x 1
		.amdhsa_system_sgpr_workgroup_id_y 1
		.amdhsa_system_sgpr_workgroup_id_z 1
		.amdhsa_system_sgpr_workgroup_info 0
		.amdhsa_system_vgpr_workitem_id 1
		.amdhsa_next_free_vgpr 162
		.amdhsa_next_free_sgpr 52
		.amdhsa_reserve_vcc 1
		.amdhsa_reserve_flat_scratch 0
		.amdhsa_float_round_mode_32 0
		.amdhsa_float_round_mode_16_64 0
		.amdhsa_float_denorm_mode_32 3
		.amdhsa_float_denorm_mode_16_64 3
		.amdhsa_dx10_clamp 1
		.amdhsa_ieee_mode 1
		.amdhsa_fp16_overflow 0
		.amdhsa_workgroup_processor_mode 1
		.amdhsa_memory_ordered 1
		.amdhsa_forward_progress 1
		.amdhsa_shared_vgpr_count 0
		.amdhsa_exception_fp_ieee_invalid_op 0
		.amdhsa_exception_fp_denorm_src 0
		.amdhsa_exception_fp_ieee_div_zero 0
		.amdhsa_exception_fp_ieee_overflow 0
		.amdhsa_exception_fp_ieee_underflow 0
		.amdhsa_exception_fp_ieee_inexact 0
		.amdhsa_exception_int_div_zero 0
	.end_amdhsa_kernel
	.section	.text._ZN12_GLOBAL__N_127rocblas_gemm_batched_kernelI19rocblas_complex_numIdELi16ELi16ELi32ELi32ELi8ELi32ELi8ELi8ELi32ELc78ELc78EKPKS2_S5_KPS2_EEvlllT_PT11_llSA_llS8_PT12_llPT13_lli,"axG",@progbits,_ZN12_GLOBAL__N_127rocblas_gemm_batched_kernelI19rocblas_complex_numIdELi16ELi16ELi32ELi32ELi8ELi32ELi8ELi8ELi32ELc78ELc78EKPKS2_S5_KPS2_EEvlllT_PT11_llSA_llS8_PT12_llPT13_lli,comdat
.Lfunc_end272:
	.size	_ZN12_GLOBAL__N_127rocblas_gemm_batched_kernelI19rocblas_complex_numIdELi16ELi16ELi32ELi32ELi8ELi32ELi8ELi8ELi32ELc78ELc78EKPKS2_S5_KPS2_EEvlllT_PT11_llSA_llS8_PT12_llPT13_lli, .Lfunc_end272-_ZN12_GLOBAL__N_127rocblas_gemm_batched_kernelI19rocblas_complex_numIdELi16ELi16ELi32ELi32ELi8ELi32ELi8ELi8ELi32ELc78ELc78EKPKS2_S5_KPS2_EEvlllT_PT11_llSA_llS8_PT12_llPT13_lli
                                        ; -- End function
	.set _ZN12_GLOBAL__N_127rocblas_gemm_batched_kernelI19rocblas_complex_numIdELi16ELi16ELi32ELi32ELi8ELi32ELi8ELi8ELi32ELc78ELc78EKPKS2_S5_KPS2_EEvlllT_PT11_llSA_llS8_PT12_llPT13_lli.num_vgpr, 162
	.set _ZN12_GLOBAL__N_127rocblas_gemm_batched_kernelI19rocblas_complex_numIdELi16ELi16ELi32ELi32ELi8ELi32ELi8ELi8ELi32ELc78ELc78EKPKS2_S5_KPS2_EEvlllT_PT11_llSA_llS8_PT12_llPT13_lli.num_agpr, 0
	.set _ZN12_GLOBAL__N_127rocblas_gemm_batched_kernelI19rocblas_complex_numIdELi16ELi16ELi32ELi32ELi8ELi32ELi8ELi8ELi32ELc78ELc78EKPKS2_S5_KPS2_EEvlllT_PT11_llSA_llS8_PT12_llPT13_lli.numbered_sgpr, 52
	.set _ZN12_GLOBAL__N_127rocblas_gemm_batched_kernelI19rocblas_complex_numIdELi16ELi16ELi32ELi32ELi8ELi32ELi8ELi8ELi32ELc78ELc78EKPKS2_S5_KPS2_EEvlllT_PT11_llSA_llS8_PT12_llPT13_lli.num_named_barrier, 0
	.set _ZN12_GLOBAL__N_127rocblas_gemm_batched_kernelI19rocblas_complex_numIdELi16ELi16ELi32ELi32ELi8ELi32ELi8ELi8ELi32ELc78ELc78EKPKS2_S5_KPS2_EEvlllT_PT11_llSA_llS8_PT12_llPT13_lli.private_seg_size, 0
	.set _ZN12_GLOBAL__N_127rocblas_gemm_batched_kernelI19rocblas_complex_numIdELi16ELi16ELi32ELi32ELi8ELi32ELi8ELi8ELi32ELc78ELc78EKPKS2_S5_KPS2_EEvlllT_PT11_llSA_llS8_PT12_llPT13_lli.uses_vcc, 1
	.set _ZN12_GLOBAL__N_127rocblas_gemm_batched_kernelI19rocblas_complex_numIdELi16ELi16ELi32ELi32ELi8ELi32ELi8ELi8ELi32ELc78ELc78EKPKS2_S5_KPS2_EEvlllT_PT11_llSA_llS8_PT12_llPT13_lli.uses_flat_scratch, 0
	.set _ZN12_GLOBAL__N_127rocblas_gemm_batched_kernelI19rocblas_complex_numIdELi16ELi16ELi32ELi32ELi8ELi32ELi8ELi8ELi32ELc78ELc78EKPKS2_S5_KPS2_EEvlllT_PT11_llSA_llS8_PT12_llPT13_lli.has_dyn_sized_stack, 0
	.set _ZN12_GLOBAL__N_127rocblas_gemm_batched_kernelI19rocblas_complex_numIdELi16ELi16ELi32ELi32ELi8ELi32ELi8ELi8ELi32ELc78ELc78EKPKS2_S5_KPS2_EEvlllT_PT11_llSA_llS8_PT12_llPT13_lli.has_recursion, 0
	.set _ZN12_GLOBAL__N_127rocblas_gemm_batched_kernelI19rocblas_complex_numIdELi16ELi16ELi32ELi32ELi8ELi32ELi8ELi8ELi32ELc78ELc78EKPKS2_S5_KPS2_EEvlllT_PT11_llSA_llS8_PT12_llPT13_lli.has_indirect_call, 0
	.section	.AMDGPU.csdata,"",@progbits
; Kernel info:
; codeLenInByte = 3540
; TotalNumSgprs: 54
; NumVgprs: 162
; ScratchSize: 0
; MemoryBound: 0
; FloatMode: 240
; IeeeMode: 1
; LDSByteSize: 8192 bytes/workgroup (compile time only)
; SGPRBlocks: 0
; VGPRBlocks: 20
; NumSGPRsForWavesPerEU: 54
; NumVGPRsForWavesPerEU: 162
; Occupancy: 5
; WaveLimiterHint : 1
; COMPUTE_PGM_RSRC2:SCRATCH_EN: 0
; COMPUTE_PGM_RSRC2:USER_SGPR: 6
; COMPUTE_PGM_RSRC2:TRAP_HANDLER: 0
; COMPUTE_PGM_RSRC2:TGID_X_EN: 1
; COMPUTE_PGM_RSRC2:TGID_Y_EN: 1
; COMPUTE_PGM_RSRC2:TGID_Z_EN: 1
; COMPUTE_PGM_RSRC2:TIDIG_COMP_CNT: 1
	.section	.text._ZN12_GLOBAL__N_127rocblas_gemm_batched_kernelI19rocblas_complex_numIdELi16ELi16ELi32ELi32ELi8ELi32ELi8ELi8ELi32ELc84ELc78EKPKS2_S5_KPS2_EEvlllT_PT11_llSA_llS8_PT12_llPT13_lli,"axG",@progbits,_ZN12_GLOBAL__N_127rocblas_gemm_batched_kernelI19rocblas_complex_numIdELi16ELi16ELi32ELi32ELi8ELi32ELi8ELi8ELi32ELc84ELc78EKPKS2_S5_KPS2_EEvlllT_PT11_llSA_llS8_PT12_llPT13_lli,comdat
	.globl	_ZN12_GLOBAL__N_127rocblas_gemm_batched_kernelI19rocblas_complex_numIdELi16ELi16ELi32ELi32ELi8ELi32ELi8ELi8ELi32ELc84ELc78EKPKS2_S5_KPS2_EEvlllT_PT11_llSA_llS8_PT12_llPT13_lli ; -- Begin function _ZN12_GLOBAL__N_127rocblas_gemm_batched_kernelI19rocblas_complex_numIdELi16ELi16ELi32ELi32ELi8ELi32ELi8ELi8ELi32ELc84ELc78EKPKS2_S5_KPS2_EEvlllT_PT11_llSA_llS8_PT12_llPT13_lli
	.p2align	8
	.type	_ZN12_GLOBAL__N_127rocblas_gemm_batched_kernelI19rocblas_complex_numIdELi16ELi16ELi32ELi32ELi8ELi32ELi8ELi8ELi32ELc84ELc78EKPKS2_S5_KPS2_EEvlllT_PT11_llSA_llS8_PT12_llPT13_lli,@function
_ZN12_GLOBAL__N_127rocblas_gemm_batched_kernelI19rocblas_complex_numIdELi16ELi16ELi32ELi32ELi8ELi32ELi8ELi8ELi32ELc84ELc78EKPKS2_S5_KPS2_EEvlllT_PT11_llSA_llS8_PT12_llPT13_lli: ; @_ZN12_GLOBAL__N_127rocblas_gemm_batched_kernelI19rocblas_complex_numIdELi16ELi16ELi32ELi32ELi8ELi32ELi8ELi8ELi32ELc84ELc78EKPKS2_S5_KPS2_EEvlllT_PT11_llSA_llS8_PT12_llPT13_lli
; %bb.0:
	s_clause 0x1
	s_load_dwordx16 s[12:27], s[4:5], 0x50
	s_load_dwordx16 s[36:51], s[4:5], 0x10
	s_mov_b32 s9, 0
	s_mov_b32 s28, s7
	s_lshl_b64 s[10:11], s[8:9], 3
	s_waitcnt lgkmcnt(0)
	s_add_u32 s0, s18, s10
	s_addc_u32 s1, s19, s11
	s_add_u32 s2, s24, s10
	s_addc_u32 s3, s25, s11
	s_load_dwordx2 s[0:1], s[0:1], 0x0
	s_load_dwordx2 s[2:3], s[2:3], 0x0
	v_cmp_lt_i64_e64 s8, s[36:37], 1
	s_ashr_i32 s7, s6, 31
	s_ashr_i32 s29, s28, 31
	s_lshl_b64 s[6:7], s[6:7], 5
	s_and_b32 vcc_lo, exec_lo, s8
	s_lshl_b64 s[8:9], s[28:29], 5
	s_cbranch_vccnz .LBB273_3
; %bb.1:
	v_lshl_add_u32 v4, v1, 4, v0
	v_and_b32_e32 v2, 7, v0
	s_add_u32 s18, s42, s10
	s_addc_u32 s19, s43, s11
	s_add_u32 s10, s48, s10
	v_and_b32_e32 v5, 31, v4
	v_lshrrev_b32_e32 v7, 3, v4
	v_lshlrev_b32_e32 v8, 4, v2
	v_lshrrev_b32_e32 v12, 5, v4
	s_load_dwordx2 s[18:19], s[18:19], 0x0
	v_add_co_u32 v3, s24, s6, v5
	v_add_co_ci_u32_e64 v6, null, s7, 0, s24
	v_add_co_u32 v10, s24, v7, s8
	v_mul_lo_u32 v9, s45, v3
	v_mul_lo_u32 v6, s44, v6
	v_mad_u64_u32 v[2:3], null, s44, v3, 0
	v_add_co_ci_u32_e64 v11, null, 0, s9, s24
	v_lshlrev_b32_e32 v13, 4, v5
	v_mad_u64_u32 v[4:5], null, s50, v10, 0
	s_addc_u32 s11, s49, s11
	v_add3_u32 v3, v3, v6, v9
	v_mul_lo_u32 v6, s51, v10
	v_mul_lo_u32 v9, s50, v11
	v_lshl_or_b32 v7, v7, 7, v8
	s_load_dwordx2 s[10:11], s[10:11], 0x0
	v_lshlrev_b64 v[2:3], 4, v[2:3]
	s_lshl_b64 s[24:25], s[46:47], 4
	s_lshl_b64 s[12:13], s[12:13], 4
	v_add_nc_u32_e32 v23, 0x1000, v7
	v_lshlrev_b32_e32 v7, 4, v12
	v_add3_u32 v5, v5, v9, v6
	v_add_co_u32 v6, vcc_lo, v2, s24
	v_add_co_ci_u32_e64 v9, null, s25, v3, vcc_lo
	v_lshlrev_b64 v[2:3], 4, v[4:5]
	v_add_co_u32 v4, vcc_lo, v6, v7
	v_add_co_ci_u32_e64 v5, null, 0, v9, vcc_lo
	v_lshl_or_b32 v22, v12, 9, v13
	v_add_co_u32 v2, vcc_lo, v2, s12
	v_add_co_ci_u32_e64 v3, null, s13, v3, vcc_lo
	s_waitcnt lgkmcnt(0)
	v_add_co_u32 v18, vcc_lo, s18, v4
	v_add_co_ci_u32_e64 v19, null, s19, v5, vcc_lo
	v_add_co_u32 v20, vcc_lo, v2, v8
	v_add_co_ci_u32_e64 v21, null, 0, v3, vcc_lo
	v_mov_b32_e32 v4, 0
	v_add_co_u32 v20, vcc_lo, s10, v20
	v_mov_b32_e32 v2, 0
	v_mov_b32_e32 v8, 0
	;; [unrolled: 1-line block ×7, first 2 shown]
	v_lshlrev_b32_e32 v24, 4, v0
	v_lshl_add_u32 v25, v1, 7, 0x1000
	v_mov_b32_e32 v5, 0
	v_mov_b32_e32 v3, 0
	;; [unrolled: 1-line block ×8, first 2 shown]
	v_add_co_ci_u32_e64 v21, null, s11, v21, vcc_lo
	s_mov_b64 s[10:11], 0
.LBB273_2:                              ; =>This Inner Loop Header: Depth=1
	flat_load_dwordx4 v[26:29], v[18:19]
	flat_load_dwordx4 v[30:33], v[20:21]
	s_add_u32 s10, s10, 8
	s_addc_u32 s11, s11, 0
	v_add_co_u32 v18, vcc_lo, 0x80, v18
	v_cmp_lt_i64_e64 s12, s[10:11], s[36:37]
	v_add_co_ci_u32_e64 v19, null, 0, v19, vcc_lo
	v_add_co_u32 v20, vcc_lo, 0x80, v20
	v_add_co_ci_u32_e64 v21, null, 0, v21, vcc_lo
	s_and_b32 vcc_lo, exec_lo, s12
	s_waitcnt vmcnt(1) lgkmcnt(1)
	ds_write2_b64 v22, v[26:27], v[28:29] offset1:1
	s_waitcnt vmcnt(0) lgkmcnt(1)
	ds_write2_b64 v23, v[30:31], v[32:33] offset1:1
	s_waitcnt lgkmcnt(0)
	s_barrier
	buffer_gl0_inv
	ds_read_b128 v[26:29], v24
	ds_read_b128 v[30:33], v24 offset:256
	ds_read_b128 v[34:37], v25
	ds_read_b128 v[38:41], v25 offset:16
	ds_read_b128 v[42:45], v25 offset:2048
	ds_read_b128 v[46:49], v25 offset:2064
	ds_read_b128 v[50:53], v24 offset:512
	ds_read_b128 v[54:57], v24 offset:768
	ds_read_b128 v[58:61], v25 offset:32
	ds_read_b128 v[62:65], v25 offset:48
	ds_read_b128 v[66:69], v24 offset:1024
	ds_read_b128 v[70:73], v24 offset:1280
	ds_read_b128 v[74:77], v25 offset:2080
	ds_read_b128 v[78:81], v25 offset:2096
	ds_read_b128 v[82:85], v24 offset:1536
	ds_read_b128 v[86:89], v24 offset:1792
	ds_read_b128 v[90:93], v24 offset:2048
	ds_read_b128 v[94:97], v24 offset:2304
	ds_read_b128 v[98:101], v25 offset:64
	ds_read_b128 v[102:105], v25 offset:80
	ds_read_b128 v[106:109], v25 offset:2112
	ds_read_b128 v[110:113], v25 offset:2128
	ds_read_b128 v[114:117], v24 offset:2560
	ds_read_b128 v[118:121], v24 offset:2816
	ds_read_b128 v[122:125], v24 offset:3072
	ds_read_b128 v[126:129], v24 offset:3328
	ds_read_b128 v[130:133], v25 offset:96
	ds_read_b128 v[134:137], v25 offset:112
	ds_read_b128 v[138:141], v25 offset:2144
	ds_read_b128 v[142:145], v25 offset:2160
	ds_read_b128 v[146:149], v24 offset:3584
	s_waitcnt lgkmcnt(28)
	v_mul_f64 v[150:151], v[36:37], v[28:29]
	v_mul_f64 v[154:155], v[36:37], v[32:33]
	;; [unrolled: 1-line block ×4, first 2 shown]
	v_fma_f64 v[150:151], v[34:35], v[26:27], -v[150:151]
	v_fma_f64 v[34:35], v[34:35], v[30:31], -v[154:155]
	s_waitcnt lgkmcnt(26)
	v_mul_f64 v[154:155], v[44:45], v[28:29]
	v_mul_f64 v[28:29], v[42:43], v[28:29]
	v_fma_f64 v[152:153], v[36:37], v[26:27], v[152:153]
	v_fma_f64 v[36:37], v[36:37], v[30:31], v[156:157]
	v_add_f64 v[14:15], v[14:15], v[150:151]
	v_add_f64 v[10:11], v[10:11], v[34:35]
	v_fma_f64 v[154:155], v[42:43], v[26:27], -v[154:155]
	v_fma_f64 v[156:157], v[44:45], v[26:27], v[28:29]
	v_mul_f64 v[26:27], v[44:45], v[32:33]
	v_mul_f64 v[28:29], v[42:43], v[32:33]
	v_add_f64 v[16:17], v[152:153], v[16:17]
	v_add_f64 v[12:13], v[36:37], v[12:13]
	s_waitcnt lgkmcnt(16)
	v_mul_f64 v[34:35], v[64:65], v[84:85]
	v_mul_f64 v[36:37], v[62:63], v[84:85]
	s_waitcnt lgkmcnt(15)
	v_mul_f64 v[150:151], v[62:63], v[88:89]
	s_waitcnt lgkmcnt(12)
	v_mul_f64 v[152:153], v[98:99], v[96:97]
	v_add_f64 v[6:7], v[6:7], v[154:155]
	v_add_f64 v[8:9], v[156:157], v[8:9]
	v_fma_f64 v[32:33], v[42:43], v[30:31], -v[26:27]
	v_fma_f64 v[30:31], v[44:45], v[30:31], v[28:29]
	v_mul_f64 v[26:27], v[40:41], v[52:53]
	v_mul_f64 v[28:29], v[38:39], v[52:53]
	;; [unrolled: 1-line block ×4, first 2 shown]
	v_fma_f64 v[34:35], v[62:63], v[82:83], -v[34:35]
	v_fma_f64 v[36:37], v[64:65], v[82:83], v[36:37]
	v_add_f64 v[2:3], v[2:3], v[32:33]
	v_add_f64 v[4:5], v[30:31], v[4:5]
	v_fma_f64 v[158:159], v[38:39], v[50:51], -v[26:27]
	v_fma_f64 v[160:161], v[40:41], v[50:51], v[28:29]
	v_mul_f64 v[26:27], v[48:49], v[52:53]
	v_mul_f64 v[28:29], v[46:47], v[52:53]
	v_fma_f64 v[38:39], v[38:39], v[54:55], -v[42:43]
	v_fma_f64 v[40:41], v[40:41], v[54:55], v[44:45]
	v_mul_f64 v[52:53], v[58:59], v[72:73]
	v_mul_f64 v[30:31], v[80:81], v[84:85]
	;; [unrolled: 1-line block ×4, first 2 shown]
	v_add_f64 v[14:15], v[14:15], v[158:159]
	v_add_f64 v[16:17], v[160:161], v[16:17]
	v_fma_f64 v[42:43], v[46:47], v[50:51], -v[26:27]
	v_fma_f64 v[44:45], v[48:49], v[50:51], v[28:29]
	v_mul_f64 v[26:27], v[48:49], v[56:57]
	v_mul_f64 v[28:29], v[46:47], v[56:57]
	v_mul_f64 v[50:51], v[60:61], v[72:73]
	v_fma_f64 v[52:53], v[60:61], v[70:71], v[52:53]
	v_add_f64 v[10:11], v[10:11], v[38:39]
	v_add_f64 v[12:13], v[40:41], v[12:13]
	s_waitcnt lgkmcnt(10)
	v_mul_f64 v[38:39], v[108:109], v[92:93]
	v_mul_f64 v[40:41], v[106:107], v[92:93]
	v_fma_f64 v[30:31], v[78:79], v[82:83], -v[30:31]
	v_fma_f64 v[32:33], v[80:81], v[82:83], v[32:33]
	s_waitcnt lgkmcnt(8)
	v_mul_f64 v[82:83], v[112:113], v[116:117]
	v_add_f64 v[6:7], v[6:7], v[42:43]
	v_add_f64 v[8:9], v[44:45], v[8:9]
	v_fma_f64 v[46:47], v[46:47], v[54:55], -v[26:27]
	v_fma_f64 v[48:49], v[48:49], v[54:55], v[28:29]
	v_mul_f64 v[26:27], v[60:61], v[68:69]
	v_mul_f64 v[28:29], v[58:59], v[68:69]
	v_fma_f64 v[50:51], v[58:59], v[70:71], -v[50:51]
	v_mul_f64 v[42:43], v[108:109], v[96:97]
	v_mul_f64 v[44:45], v[106:107], v[96:97]
	v_add_f64 v[12:13], v[52:53], v[12:13]
	s_waitcnt lgkmcnt(7)
	v_mul_f64 v[52:53], v[110:111], v[120:121]
	v_fma_f64 v[38:39], v[106:107], v[90:91], -v[38:39]
	v_fma_f64 v[40:41], v[108:109], v[90:91], v[40:41]
	v_add_f64 v[2:3], v[2:3], v[46:47]
	v_add_f64 v[4:5], v[48:49], v[4:5]
	v_fma_f64 v[54:55], v[58:59], v[66:67], -v[26:27]
	v_fma_f64 v[56:57], v[60:61], v[66:67], v[28:29]
	v_mul_f64 v[26:27], v[76:77], v[68:69]
	v_mul_f64 v[28:29], v[74:75], v[68:69]
	;; [unrolled: 1-line block ×3, first 2 shown]
	v_add_f64 v[10:11], v[10:11], v[50:51]
	v_mul_f64 v[46:47], v[104:105], v[116:117]
	v_mul_f64 v[48:49], v[102:103], v[116:117]
	;; [unrolled: 1-line block ×3, first 2 shown]
	v_fma_f64 v[42:43], v[106:107], v[94:95], -v[42:43]
	v_fma_f64 v[44:45], v[108:109], v[94:95], v[44:45]
	v_fma_f64 v[52:53], v[112:113], v[118:119], v[52:53]
	v_add_f64 v[14:15], v[14:15], v[54:55]
	v_add_f64 v[16:17], v[56:57], v[16:17]
	v_fma_f64 v[58:59], v[74:75], v[66:67], -v[26:27]
	v_fma_f64 v[60:61], v[76:77], v[66:67], v[28:29]
	v_mul_f64 v[66:67], v[76:77], v[72:73]
	v_mul_f64 v[72:73], v[64:65], v[88:89]
	v_fma_f64 v[68:69], v[76:77], v[70:71], v[68:69]
	v_mul_f64 v[76:77], v[100:101], v[92:93]
	v_fma_f64 v[64:65], v[64:65], v[86:87], v[150:151]
	v_mul_f64 v[92:93], v[102:103], v[120:121]
	s_waitcnt lgkmcnt(4)
	v_mul_f64 v[54:55], v[132:133], v[124:125]
	v_mul_f64 v[56:57], v[130:131], v[124:125]
	v_fma_f64 v[46:47], v[102:103], v[114:115], -v[46:47]
	v_fma_f64 v[48:49], v[104:105], v[114:115], v[48:49]
	v_fma_f64 v[50:51], v[110:111], v[118:119], -v[50:51]
	ds_read_b128 v[26:29], v24 offset:3840
	s_waitcnt lgkmcnt(0)
	s_barrier
	buffer_gl0_inv
	v_add_f64 v[14:15], v[14:15], v[34:35]
	v_add_f64 v[16:17], v[36:37], v[16:17]
	;; [unrolled: 1-line block ×4, first 2 shown]
	v_fma_f64 v[66:67], v[74:75], v[70:71], -v[66:67]
	v_mul_f64 v[70:71], v[80:81], v[88:89]
	v_mul_f64 v[74:75], v[78:79], v[88:89]
	v_mul_f64 v[88:89], v[100:101], v[96:97]
	v_fma_f64 v[62:63], v[62:63], v[86:87], -v[72:73]
	v_add_f64 v[4:5], v[68:69], v[4:5]
	v_mul_f64 v[72:73], v[104:105], v[120:121]
	v_mul_f64 v[96:97], v[110:111], v[116:117]
	v_fma_f64 v[68:69], v[100:101], v[90:91], v[84:85]
	v_add_f64 v[12:13], v[64:65], v[12:13]
	v_mul_f64 v[58:59], v[132:133], v[128:129]
	v_mul_f64 v[60:61], v[130:131], v[128:129]
	;; [unrolled: 1-line block ×5, first 2 shown]
	v_fma_f64 v[54:55], v[130:131], v[122:123], -v[54:55]
	v_fma_f64 v[56:57], v[132:133], v[122:123], v[56:57]
	v_add_f64 v[6:7], v[6:7], v[30:31]
	v_add_f64 v[8:9], v[32:33], v[8:9]
	;; [unrolled: 1-line block ×3, first 2 shown]
	v_fma_f64 v[70:71], v[78:79], v[86:87], -v[70:71]
	v_fma_f64 v[74:75], v[80:81], v[86:87], v[74:75]
	v_fma_f64 v[66:67], v[98:99], v[90:91], -v[76:77]
	v_fma_f64 v[76:77], v[98:99], v[94:95], -v[88:89]
	v_fma_f64 v[78:79], v[100:101], v[94:95], v[152:153]
	v_add_f64 v[10:11], v[10:11], v[62:63]
	v_mul_f64 v[30:31], v[140:141], v[124:125]
	v_mul_f64 v[32:33], v[138:139], v[124:125]
	v_fma_f64 v[80:81], v[112:113], v[114:115], v[96:97]
	v_add_f64 v[16:17], v[68:69], v[16:17]
	v_mul_f64 v[62:63], v[136:137], v[148:149]
	v_fma_f64 v[58:59], v[130:131], v[126:127], -v[58:59]
	v_fma_f64 v[60:61], v[132:133], v[126:127], v[60:61]
	v_fma_f64 v[34:35], v[138:139], v[126:127], -v[34:35]
	v_fma_f64 v[36:37], v[140:141], v[126:127], v[36:37]
	v_add_f64 v[6:7], v[6:7], v[38:39]
	v_add_f64 v[8:9], v[40:41], v[8:9]
	v_mul_f64 v[38:39], v[136:137], v[28:29]
	v_add_f64 v[2:3], v[2:3], v[70:71]
	v_add_f64 v[4:5], v[74:75], v[4:5]
	v_fma_f64 v[70:71], v[102:103], v[118:119], -v[72:73]
	v_fma_f64 v[72:73], v[104:105], v[118:119], v[92:93]
	v_fma_f64 v[74:75], v[110:111], v[114:115], -v[82:83]
	v_add_f64 v[14:15], v[14:15], v[66:67]
	v_add_f64 v[10:11], v[10:11], v[76:77]
	v_add_f64 v[12:13], v[78:79], v[12:13]
	v_mul_f64 v[40:41], v[134:135], v[28:29]
	v_mul_f64 v[66:67], v[144:145], v[28:29]
	;; [unrolled: 1-line block ×3, first 2 shown]
	v_fma_f64 v[30:31], v[138:139], v[122:123], -v[30:31]
	v_fma_f64 v[32:33], v[140:141], v[122:123], v[32:33]
	v_add_f64 v[16:17], v[48:49], v[16:17]
	v_fma_f64 v[48:49], v[136:137], v[146:147], v[64:65]
	v_add_f64 v[8:9], v[80:81], v[8:9]
	v_fma_f64 v[38:39], v[134:135], v[26:27], -v[38:39]
	v_add_f64 v[2:3], v[2:3], v[42:43]
	v_add_f64 v[4:5], v[44:45], v[4:5]
	v_mul_f64 v[42:43], v[144:145], v[148:149]
	v_mul_f64 v[44:45], v[142:143], v[148:149]
	v_add_f64 v[6:7], v[6:7], v[74:75]
	v_add_f64 v[14:15], v[14:15], v[46:47]
	;; [unrolled: 1-line block ×4, first 2 shown]
	v_fma_f64 v[46:47], v[134:135], v[146:147], -v[62:63]
	v_fma_f64 v[40:41], v[136:137], v[26:27], v[40:41]
	v_add_f64 v[16:17], v[56:57], v[16:17]
	v_add_f64 v[8:9], v[32:33], v[8:9]
	;; [unrolled: 1-line block ×4, first 2 shown]
	v_fma_f64 v[42:43], v[142:143], v[146:147], -v[42:43]
	v_fma_f64 v[44:45], v[144:145], v[146:147], v[44:45]
	v_fma_f64 v[50:51], v[142:143], v[26:27], -v[66:67]
	v_fma_f64 v[26:27], v[144:145], v[26:27], v[28:29]
	v_add_f64 v[14:15], v[14:15], v[54:55]
	v_add_f64 v[10:11], v[10:11], v[58:59]
	;; [unrolled: 1-line block ×14, first 2 shown]
	s_cbranch_vccnz .LBB273_2
	s_branch .LBB273_4
.LBB273_3:
	v_mov_b32_e32 v14, 0
	v_mov_b32_e32 v16, 0
	;; [unrolled: 1-line block ×16, first 2 shown]
.LBB273_4:
	s_load_dwordx2 s[4:5], s[4:5], 0x90
	v_cmp_neq_f64_e64 s10, s[14:15], 0
	v_cmp_neq_f64_e64 s11, s[16:17], 0
	v_add_co_u32 v22, s8, s8, v1
	v_add_co_ci_u32_e64 v23, null, s9, 0, s8
	s_waitcnt lgkmcnt(0)
	s_lshl_b64 s[4:5], s[4:5], 4
	s_add_u32 s2, s2, s4
	s_addc_u32 s3, s3, s5
	v_add_co_u32 v0, s5, s6, v0
	v_add_co_ci_u32_e64 v1, null, s7, 0, s5
	s_or_b32 s4, s10, s11
	s_and_b32 vcc_lo, exec_lo, s4
	s_cbranch_vccnz .LBB273_6
; %bb.5:
	v_mul_f64 v[20:21], s[40:41], v[16:17]
	v_mul_f64 v[26:27], s[38:39], v[16:17]
	;; [unrolled: 1-line block ×4, first 2 shown]
	v_mul_lo_u32 v24, v23, s26
	v_mul_lo_u32 v25, v22, s27
	v_mad_u64_u32 v[18:19], null, v22, s26, 0
	v_mul_f64 v[28:29], s[40:41], v[12:13]
	v_mul_f64 v[30:31], s[38:39], v[12:13]
	;; [unrolled: 1-line block ×4, first 2 shown]
	s_lshl_b64 s[4:5], s[26:27], 8
	v_lshlrev_b64 v[40:41], 4, v[0:1]
	v_add3_u32 v19, v19, v25, v24
	v_lshlrev_b64 v[18:19], 4, v[18:19]
	v_fma_f64 v[24:25], s[38:39], v[14:15], -v[20:21]
	v_fma_f64 v[26:27], s[40:41], v[14:15], v[26:27]
	v_fma_f64 v[36:37], s[38:39], v[2:3], -v[36:37]
	v_add_co_u32 v42, vcc_lo, s2, v18
	v_add_co_ci_u32_e64 v43, null, s3, v19, vcc_lo
	v_fma_f64 v[18:19], s[40:41], v[2:3], v[38:39]
	v_fma_f64 v[28:29], s[38:39], v[10:11], -v[28:29]
	v_fma_f64 v[30:31], s[40:41], v[10:11], v[30:31]
	v_fma_f64 v[32:33], s[38:39], v[6:7], -v[32:33]
	v_fma_f64 v[34:35], s[40:41], v[6:7], v[34:35]
	v_add_co_u32 v20, vcc_lo, v42, s4
	v_add_co_ci_u32_e64 v21, null, s5, v43, vcc_lo
	v_add_co_u32 v38, vcc_lo, v20, v40
	v_add_co_ci_u32_e64 v39, null, v21, v41, vcc_lo
	;; [unrolled: 2-line block ×4, first 2 shown]
	flat_store_dwordx4 v[40:41], v[24:27]
	flat_store_dwordx4 v[40:41], v[28:31] offset:256
	flat_store_dwordx4 v[38:39], v[32:35]
	flat_store_dwordx2 v[38:39], v[36:37] offset:256
	s_cbranch_execz .LBB273_7
	s_branch .LBB273_8
.LBB273_6:
                                        ; implicit-def: $vgpr18_vgpr19
                                        ; implicit-def: $vgpr20_vgpr21
.LBB273_7:
	v_mul_lo_u32 v20, v23, s20
	v_mul_lo_u32 v21, v22, s21
	v_mad_u64_u32 v[18:19], null, v22, s20, 0
	s_lshl_b64 s[4:5], s[22:23], 4
	v_lshlrev_b64 v[0:1], 4, v[0:1]
	s_add_u32 s0, s0, s4
	s_addc_u32 s1, s1, s5
	v_mul_f64 v[26:27], s[40:41], v[16:17]
	v_mul_f64 v[16:17], s[38:39], v[16:17]
	v_add3_u32 v19, v19, v21, v20
	v_mul_lo_u32 v23, v23, s26
	v_lshlrev_b64 v[18:19], 4, v[18:19]
	v_add_co_u32 v30, vcc_lo, s0, v18
	v_add_co_ci_u32_e64 v31, null, s1, v19, vcc_lo
	s_lshl_b64 s[0:1], s[20:21], 8
	v_add_co_u32 v24, vcc_lo, v30, v0
	v_add_co_ci_u32_e64 v25, null, v31, v1, vcc_lo
	v_fma_f64 v[26:27], s[38:39], v[14:15], -v[26:27]
	v_fma_f64 v[16:17], s[40:41], v[14:15], v[16:17]
	flat_load_dwordx4 v[18:21], v[24:25]
	s_waitcnt vmcnt(0) lgkmcnt(0)
	v_mul_f64 v[28:29], s[16:17], v[20:21]
	v_mul_f64 v[20:21], s[14:15], v[20:21]
	v_fma_f64 v[14:15], s[14:15], v[18:19], -v[28:29]
	v_fma_f64 v[18:19], s[16:17], v[18:19], v[20:21]
	v_mul_lo_u32 v28, v22, s27
	v_mad_u64_u32 v[20:21], null, v22, s26, 0
	v_add3_u32 v21, v21, v28, v23
	v_add_f64 v[14:15], v[26:27], v[14:15]
	v_add_f64 v[16:17], v[16:17], v[18:19]
	v_lshlrev_b64 v[18:19], 4, v[20:21]
	v_mul_f64 v[20:21], s[40:41], v[12:13]
	v_mul_f64 v[12:13], s[38:39], v[12:13]
	v_add_co_u32 v26, vcc_lo, s2, v18
	v_add_co_ci_u32_e64 v27, null, s3, v19, vcc_lo
	v_add_co_u32 v18, vcc_lo, v26, v0
	v_add_co_ci_u32_e64 v19, null, v27, v1, vcc_lo
	flat_store_dwordx4 v[18:19], v[14:17]
	flat_load_dwordx4 v[14:17], v[24:25] offset:256
	v_fma_f64 v[20:21], s[38:39], v[10:11], -v[20:21]
	v_fma_f64 v[12:13], s[40:41], v[10:11], v[12:13]
	s_waitcnt vmcnt(0) lgkmcnt(0)
	v_mul_f64 v[22:23], s[16:17], v[16:17]
	v_mul_f64 v[16:17], s[14:15], v[16:17]
	v_fma_f64 v[10:11], s[14:15], v[14:15], -v[22:23]
	v_fma_f64 v[14:15], s[16:17], v[14:15], v[16:17]
	v_mul_f64 v[16:17], s[40:41], v[8:9]
	v_mul_f64 v[8:9], s[38:39], v[8:9]
	v_add_f64 v[10:11], v[20:21], v[10:11]
	v_add_f64 v[12:13], v[12:13], v[14:15]
	v_add_co_u32 v14, vcc_lo, v30, s0
	v_add_co_ci_u32_e64 v15, null, s1, v31, vcc_lo
	v_fma_f64 v[16:17], s[38:39], v[6:7], -v[16:17]
	v_add_co_u32 v14, vcc_lo, v14, v0
	v_add_co_ci_u32_e64 v15, null, v15, v1, vcc_lo
	v_fma_f64 v[8:9], s[40:41], v[6:7], v[8:9]
	s_lshl_b64 s[0:1], s[26:27], 8
	flat_store_dwordx4 v[18:19], v[10:13] offset:256
	flat_load_dwordx4 v[10:13], v[14:15]
	s_waitcnt vmcnt(0) lgkmcnt(0)
	v_mul_f64 v[18:19], s[16:17], v[12:13]
	v_mul_f64 v[12:13], s[14:15], v[12:13]
	v_fma_f64 v[6:7], s[14:15], v[10:11], -v[18:19]
	v_fma_f64 v[10:11], s[16:17], v[10:11], v[12:13]
	v_add_f64 v[6:7], v[16:17], v[6:7]
	v_add_f64 v[8:9], v[8:9], v[10:11]
	v_add_co_u32 v10, vcc_lo, v26, s0
	v_add_co_ci_u32_e64 v11, null, s1, v27, vcc_lo
	v_add_co_u32 v0, vcc_lo, v10, v0
	v_add_co_ci_u32_e64 v1, null, v11, v1, vcc_lo
	v_mul_f64 v[10:11], s[40:41], v[4:5]
	v_mul_f64 v[4:5], s[38:39], v[4:5]
	v_add_co_u32 v20, vcc_lo, 0x100, v0
	v_add_co_ci_u32_e64 v21, null, 0, v1, vcc_lo
	flat_store_dwordx4 v[0:1], v[6:9]
	flat_load_dwordx4 v[6:9], v[14:15] offset:256
	v_fma_f64 v[10:11], s[38:39], v[2:3], -v[10:11]
	v_fma_f64 v[2:3], s[40:41], v[2:3], v[4:5]
	s_waitcnt vmcnt(0) lgkmcnt(0)
	v_mul_f64 v[12:13], s[16:17], v[8:9]
	v_mul_f64 v[8:9], s[14:15], v[8:9]
	v_fma_f64 v[4:5], s[14:15], v[6:7], -v[12:13]
	v_fma_f64 v[6:7], s[16:17], v[6:7], v[8:9]
	v_add_f64 v[4:5], v[10:11], v[4:5]
	v_add_f64 v[18:19], v[2:3], v[6:7]
	flat_store_dwordx2 v[0:1], v[4:5] offset:256
.LBB273_8:
	flat_store_dwordx2 v[20:21], v[18:19] offset:8
	s_endpgm
	.section	.rodata,"a",@progbits
	.p2align	6, 0x0
	.amdhsa_kernel _ZN12_GLOBAL__N_127rocblas_gemm_batched_kernelI19rocblas_complex_numIdELi16ELi16ELi32ELi32ELi8ELi32ELi8ELi8ELi32ELc84ELc78EKPKS2_S5_KPS2_EEvlllT_PT11_llSA_llS8_PT12_llPT13_lli
		.amdhsa_group_segment_fixed_size 8192
		.amdhsa_private_segment_fixed_size 0
		.amdhsa_kernarg_size 156
		.amdhsa_user_sgpr_count 6
		.amdhsa_user_sgpr_private_segment_buffer 1
		.amdhsa_user_sgpr_dispatch_ptr 0
		.amdhsa_user_sgpr_queue_ptr 0
		.amdhsa_user_sgpr_kernarg_segment_ptr 1
		.amdhsa_user_sgpr_dispatch_id 0
		.amdhsa_user_sgpr_flat_scratch_init 0
		.amdhsa_user_sgpr_private_segment_size 0
		.amdhsa_wavefront_size32 1
		.amdhsa_uses_dynamic_stack 0
		.amdhsa_system_sgpr_private_segment_wavefront_offset 0
		.amdhsa_system_sgpr_workgroup_id_x 1
		.amdhsa_system_sgpr_workgroup_id_y 1
		.amdhsa_system_sgpr_workgroup_id_z 1
		.amdhsa_system_sgpr_workgroup_info 0
		.amdhsa_system_vgpr_workitem_id 1
		.amdhsa_next_free_vgpr 162
		.amdhsa_next_free_sgpr 52
		.amdhsa_reserve_vcc 1
		.amdhsa_reserve_flat_scratch 0
		.amdhsa_float_round_mode_32 0
		.amdhsa_float_round_mode_16_64 0
		.amdhsa_float_denorm_mode_32 3
		.amdhsa_float_denorm_mode_16_64 3
		.amdhsa_dx10_clamp 1
		.amdhsa_ieee_mode 1
		.amdhsa_fp16_overflow 0
		.amdhsa_workgroup_processor_mode 1
		.amdhsa_memory_ordered 1
		.amdhsa_forward_progress 1
		.amdhsa_shared_vgpr_count 0
		.amdhsa_exception_fp_ieee_invalid_op 0
		.amdhsa_exception_fp_denorm_src 0
		.amdhsa_exception_fp_ieee_div_zero 0
		.amdhsa_exception_fp_ieee_overflow 0
		.amdhsa_exception_fp_ieee_underflow 0
		.amdhsa_exception_fp_ieee_inexact 0
		.amdhsa_exception_int_div_zero 0
	.end_amdhsa_kernel
	.section	.text._ZN12_GLOBAL__N_127rocblas_gemm_batched_kernelI19rocblas_complex_numIdELi16ELi16ELi32ELi32ELi8ELi32ELi8ELi8ELi32ELc84ELc78EKPKS2_S5_KPS2_EEvlllT_PT11_llSA_llS8_PT12_llPT13_lli,"axG",@progbits,_ZN12_GLOBAL__N_127rocblas_gemm_batched_kernelI19rocblas_complex_numIdELi16ELi16ELi32ELi32ELi8ELi32ELi8ELi8ELi32ELc84ELc78EKPKS2_S5_KPS2_EEvlllT_PT11_llSA_llS8_PT12_llPT13_lli,comdat
.Lfunc_end273:
	.size	_ZN12_GLOBAL__N_127rocblas_gemm_batched_kernelI19rocblas_complex_numIdELi16ELi16ELi32ELi32ELi8ELi32ELi8ELi8ELi32ELc84ELc78EKPKS2_S5_KPS2_EEvlllT_PT11_llSA_llS8_PT12_llPT13_lli, .Lfunc_end273-_ZN12_GLOBAL__N_127rocblas_gemm_batched_kernelI19rocblas_complex_numIdELi16ELi16ELi32ELi32ELi8ELi32ELi8ELi8ELi32ELc84ELc78EKPKS2_S5_KPS2_EEvlllT_PT11_llSA_llS8_PT12_llPT13_lli
                                        ; -- End function
	.set _ZN12_GLOBAL__N_127rocblas_gemm_batched_kernelI19rocblas_complex_numIdELi16ELi16ELi32ELi32ELi8ELi32ELi8ELi8ELi32ELc84ELc78EKPKS2_S5_KPS2_EEvlllT_PT11_llSA_llS8_PT12_llPT13_lli.num_vgpr, 162
	.set _ZN12_GLOBAL__N_127rocblas_gemm_batched_kernelI19rocblas_complex_numIdELi16ELi16ELi32ELi32ELi8ELi32ELi8ELi8ELi32ELc84ELc78EKPKS2_S5_KPS2_EEvlllT_PT11_llSA_llS8_PT12_llPT13_lli.num_agpr, 0
	.set _ZN12_GLOBAL__N_127rocblas_gemm_batched_kernelI19rocblas_complex_numIdELi16ELi16ELi32ELi32ELi8ELi32ELi8ELi8ELi32ELc84ELc78EKPKS2_S5_KPS2_EEvlllT_PT11_llSA_llS8_PT12_llPT13_lli.numbered_sgpr, 52
	.set _ZN12_GLOBAL__N_127rocblas_gemm_batched_kernelI19rocblas_complex_numIdELi16ELi16ELi32ELi32ELi8ELi32ELi8ELi8ELi32ELc84ELc78EKPKS2_S5_KPS2_EEvlllT_PT11_llSA_llS8_PT12_llPT13_lli.num_named_barrier, 0
	.set _ZN12_GLOBAL__N_127rocblas_gemm_batched_kernelI19rocblas_complex_numIdELi16ELi16ELi32ELi32ELi8ELi32ELi8ELi8ELi32ELc84ELc78EKPKS2_S5_KPS2_EEvlllT_PT11_llSA_llS8_PT12_llPT13_lli.private_seg_size, 0
	.set _ZN12_GLOBAL__N_127rocblas_gemm_batched_kernelI19rocblas_complex_numIdELi16ELi16ELi32ELi32ELi8ELi32ELi8ELi8ELi32ELc84ELc78EKPKS2_S5_KPS2_EEvlllT_PT11_llSA_llS8_PT12_llPT13_lli.uses_vcc, 1
	.set _ZN12_GLOBAL__N_127rocblas_gemm_batched_kernelI19rocblas_complex_numIdELi16ELi16ELi32ELi32ELi8ELi32ELi8ELi8ELi32ELc84ELc78EKPKS2_S5_KPS2_EEvlllT_PT11_llSA_llS8_PT12_llPT13_lli.uses_flat_scratch, 0
	.set _ZN12_GLOBAL__N_127rocblas_gemm_batched_kernelI19rocblas_complex_numIdELi16ELi16ELi32ELi32ELi8ELi32ELi8ELi8ELi32ELc84ELc78EKPKS2_S5_KPS2_EEvlllT_PT11_llSA_llS8_PT12_llPT13_lli.has_dyn_sized_stack, 0
	.set _ZN12_GLOBAL__N_127rocblas_gemm_batched_kernelI19rocblas_complex_numIdELi16ELi16ELi32ELi32ELi8ELi32ELi8ELi8ELi32ELc84ELc78EKPKS2_S5_KPS2_EEvlllT_PT11_llSA_llS8_PT12_llPT13_lli.has_recursion, 0
	.set _ZN12_GLOBAL__N_127rocblas_gemm_batched_kernelI19rocblas_complex_numIdELi16ELi16ELi32ELi32ELi8ELi32ELi8ELi8ELi32ELc84ELc78EKPKS2_S5_KPS2_EEvlllT_PT11_llSA_llS8_PT12_llPT13_lli.has_indirect_call, 0
	.section	.AMDGPU.csdata,"",@progbits
; Kernel info:
; codeLenInByte = 3584
; TotalNumSgprs: 54
; NumVgprs: 162
; ScratchSize: 0
; MemoryBound: 0
; FloatMode: 240
; IeeeMode: 1
; LDSByteSize: 8192 bytes/workgroup (compile time only)
; SGPRBlocks: 0
; VGPRBlocks: 20
; NumSGPRsForWavesPerEU: 54
; NumVGPRsForWavesPerEU: 162
; Occupancy: 5
; WaveLimiterHint : 1
; COMPUTE_PGM_RSRC2:SCRATCH_EN: 0
; COMPUTE_PGM_RSRC2:USER_SGPR: 6
; COMPUTE_PGM_RSRC2:TRAP_HANDLER: 0
; COMPUTE_PGM_RSRC2:TGID_X_EN: 1
; COMPUTE_PGM_RSRC2:TGID_Y_EN: 1
; COMPUTE_PGM_RSRC2:TGID_Z_EN: 1
; COMPUTE_PGM_RSRC2:TIDIG_COMP_CNT: 1
	.section	.text._ZN12_GLOBAL__N_127rocblas_gemm_batched_kernelI19rocblas_complex_numIdELi16ELi16ELi32ELi32ELi8ELi32ELi8ELi8ELi32ELc78ELc84EKPKS2_S5_KPS2_EEvlllT_PT11_llSA_llS8_PT12_llPT13_lli,"axG",@progbits,_ZN12_GLOBAL__N_127rocblas_gemm_batched_kernelI19rocblas_complex_numIdELi16ELi16ELi32ELi32ELi8ELi32ELi8ELi8ELi32ELc78ELc84EKPKS2_S5_KPS2_EEvlllT_PT11_llSA_llS8_PT12_llPT13_lli,comdat
	.globl	_ZN12_GLOBAL__N_127rocblas_gemm_batched_kernelI19rocblas_complex_numIdELi16ELi16ELi32ELi32ELi8ELi32ELi8ELi8ELi32ELc78ELc84EKPKS2_S5_KPS2_EEvlllT_PT11_llSA_llS8_PT12_llPT13_lli ; -- Begin function _ZN12_GLOBAL__N_127rocblas_gemm_batched_kernelI19rocblas_complex_numIdELi16ELi16ELi32ELi32ELi8ELi32ELi8ELi8ELi32ELc78ELc84EKPKS2_S5_KPS2_EEvlllT_PT11_llSA_llS8_PT12_llPT13_lli
	.p2align	8
	.type	_ZN12_GLOBAL__N_127rocblas_gemm_batched_kernelI19rocblas_complex_numIdELi16ELi16ELi32ELi32ELi8ELi32ELi8ELi8ELi32ELc78ELc84EKPKS2_S5_KPS2_EEvlllT_PT11_llSA_llS8_PT12_llPT13_lli,@function
_ZN12_GLOBAL__N_127rocblas_gemm_batched_kernelI19rocblas_complex_numIdELi16ELi16ELi32ELi32ELi8ELi32ELi8ELi8ELi32ELc78ELc84EKPKS2_S5_KPS2_EEvlllT_PT11_llSA_llS8_PT12_llPT13_lli: ; @_ZN12_GLOBAL__N_127rocblas_gemm_batched_kernelI19rocblas_complex_numIdELi16ELi16ELi32ELi32ELi8ELi32ELi8ELi8ELi32ELc78ELc84EKPKS2_S5_KPS2_EEvlllT_PT11_llSA_llS8_PT12_llPT13_lli
; %bb.0:
	s_clause 0x1
	s_load_dwordx16 s[12:27], s[4:5], 0x50
	s_load_dwordx16 s[36:51], s[4:5], 0x10
	s_mov_b32 s9, 0
	s_mov_b32 s28, s7
	s_lshl_b64 s[10:11], s[8:9], 3
	s_waitcnt lgkmcnt(0)
	s_add_u32 s0, s18, s10
	s_addc_u32 s1, s19, s11
	s_add_u32 s2, s24, s10
	s_addc_u32 s3, s25, s11
	s_load_dwordx2 s[0:1], s[0:1], 0x0
	s_load_dwordx2 s[2:3], s[2:3], 0x0
	v_cmp_lt_i64_e64 s8, s[36:37], 1
	s_ashr_i32 s7, s6, 31
	s_ashr_i32 s29, s28, 31
	s_lshl_b64 s[6:7], s[6:7], 5
	s_and_b32 vcc_lo, exec_lo, s8
	s_lshl_b64 s[8:9], s[28:29], 5
	s_cbranch_vccnz .LBB274_3
; %bb.1:
	v_lshl_add_u32 v6, v1, 4, v0
	v_and_b32_e32 v8, 7, v0
	s_add_u32 s18, s42, s10
	s_addc_u32 s19, s43, s11
	s_add_u32 s10, s48, s10
	v_lshrrev_b32_e32 v10, 3, v6
	v_lshrrev_b32_e32 v9, 5, v6
	s_load_dwordx2 s[18:19], s[18:19], 0x0
	s_addc_u32 s11, s49, s11
	v_and_b32_e32 v11, 31, v6
	v_add_co_u32 v4, s24, v10, s8
	v_add_co_ci_u32_e64 v5, null, 0, s9, s24
	v_mad_u64_u32 v[2:3], null, s44, v9, s[6:7]
	s_load_dwordx2 s[24:25], s[10:11], 0x0
	v_mad_u64_u32 v[4:5], null, s50, v8, v[4:5]
	v_lshlrev_b32_e32 v12, 4, v8
	s_lshl_b64 s[10:11], s[46:47], 4
	v_mov_b32_e32 v16, 0
	v_mov_b32_e32 v14, 0
	v_lshlrev_b32_e32 v22, 4, v0
	v_lshl_or_b32 v10, v10, 7, v12
	v_mad_u64_u32 v[6:7], null, s45, v9, v[3:4]
	v_mov_b32_e32 v3, v5
	v_add_co_u32 v5, vcc_lo, v2, v11
	v_lshlrev_b32_e32 v7, 4, v11
	s_waitcnt lgkmcnt(0)
	s_add_u32 s10, s18, s10
	v_mad_u64_u32 v[2:3], null, s51, v8, v[3:4]
	v_add_co_ci_u32_e64 v6, null, 0, v6, vcc_lo
	v_lshl_or_b32 v24, v9, 9, v7
	s_addc_u32 s11, s19, s11
	s_lshl_b64 s[12:13], s[12:13], 4
	v_lshlrev_b64 v[6:7], 4, v[5:6]
	v_mov_b32_e32 v5, v2
	v_add_nc_u32_e32 v25, 0x1000, v10
	v_mov_b32_e32 v2, 0
	v_mov_b32_e32 v8, 0
	;; [unrolled: 1-line block ×3, first 2 shown]
	v_lshlrev_b64 v[20:21], 4, v[4:5]
	v_add_co_u32 v18, vcc_lo, s10, v6
	v_add_co_ci_u32_e64 v19, null, s11, v7, vcc_lo
	s_lshl_b64 s[10:11], s[44:45], 7
	s_add_u32 s12, s24, s12
	s_addc_u32 s13, s25, s13
	v_add_co_u32 v20, vcc_lo, s12, v20
	v_mov_b32_e32 v4, 0
	v_mov_b32_e32 v6, 0
	;; [unrolled: 1-line block ×3, first 2 shown]
	v_lshl_add_u32 v23, v1, 7, 0x1000
	v_mov_b32_e32 v5, 0
	v_mov_b32_e32 v3, 0
	;; [unrolled: 1-line block ×8, first 2 shown]
	v_add_co_ci_u32_e64 v21, null, s13, v21, vcc_lo
	s_lshl_b64 s[12:13], s[50:51], 7
	s_mov_b64 s[18:19], 0
.LBB274_2:                              ; =>This Inner Loop Header: Depth=1
	flat_load_dwordx4 v[26:29], v[18:19]
	flat_load_dwordx4 v[30:33], v[20:21]
	s_add_u32 s18, s18, 8
	s_addc_u32 s19, s19, 0
	v_add_co_u32 v18, vcc_lo, v18, s10
	v_cmp_lt_i64_e64 s24, s[18:19], s[36:37]
	v_add_co_ci_u32_e64 v19, null, s11, v19, vcc_lo
	v_add_co_u32 v20, vcc_lo, v20, s12
	v_add_co_ci_u32_e64 v21, null, s13, v21, vcc_lo
	s_and_b32 vcc_lo, exec_lo, s24
	s_waitcnt vmcnt(1) lgkmcnt(1)
	ds_write2_b64 v24, v[26:27], v[28:29] offset1:1
	s_waitcnt vmcnt(0) lgkmcnt(1)
	ds_write2_b64 v25, v[30:31], v[32:33] offset1:1
	s_waitcnt lgkmcnt(0)
	s_barrier
	buffer_gl0_inv
	ds_read_b128 v[26:29], v22
	ds_read_b128 v[30:33], v22 offset:256
	ds_read_b128 v[34:37], v23
	ds_read_b128 v[38:41], v23 offset:16
	ds_read_b128 v[42:45], v23 offset:2048
	;; [unrolled: 1-line block ×28, first 2 shown]
	s_waitcnt lgkmcnt(28)
	v_mul_f64 v[150:151], v[36:37], v[28:29]
	v_mul_f64 v[154:155], v[36:37], v[32:33]
	;; [unrolled: 1-line block ×4, first 2 shown]
	v_fma_f64 v[150:151], v[34:35], v[26:27], -v[150:151]
	v_fma_f64 v[34:35], v[34:35], v[30:31], -v[154:155]
	s_waitcnt lgkmcnt(26)
	v_mul_f64 v[154:155], v[44:45], v[28:29]
	v_mul_f64 v[28:29], v[42:43], v[28:29]
	v_fma_f64 v[152:153], v[36:37], v[26:27], v[152:153]
	v_fma_f64 v[36:37], v[36:37], v[30:31], v[156:157]
	v_add_f64 v[14:15], v[14:15], v[150:151]
	v_add_f64 v[10:11], v[10:11], v[34:35]
	v_fma_f64 v[154:155], v[42:43], v[26:27], -v[154:155]
	v_fma_f64 v[156:157], v[44:45], v[26:27], v[28:29]
	v_mul_f64 v[26:27], v[44:45], v[32:33]
	v_mul_f64 v[28:29], v[42:43], v[32:33]
	v_add_f64 v[16:17], v[152:153], v[16:17]
	v_add_f64 v[12:13], v[36:37], v[12:13]
	s_waitcnt lgkmcnt(16)
	v_mul_f64 v[34:35], v[64:65], v[84:85]
	v_mul_f64 v[36:37], v[62:63], v[84:85]
	s_waitcnt lgkmcnt(15)
	v_mul_f64 v[150:151], v[62:63], v[88:89]
	s_waitcnt lgkmcnt(12)
	v_mul_f64 v[152:153], v[98:99], v[96:97]
	v_add_f64 v[6:7], v[6:7], v[154:155]
	v_add_f64 v[8:9], v[156:157], v[8:9]
	v_fma_f64 v[32:33], v[42:43], v[30:31], -v[26:27]
	v_fma_f64 v[30:31], v[44:45], v[30:31], v[28:29]
	v_mul_f64 v[26:27], v[40:41], v[52:53]
	v_mul_f64 v[28:29], v[38:39], v[52:53]
	v_mul_f64 v[42:43], v[40:41], v[56:57]
	v_mul_f64 v[44:45], v[38:39], v[56:57]
	v_fma_f64 v[34:35], v[62:63], v[82:83], -v[34:35]
	v_fma_f64 v[36:37], v[64:65], v[82:83], v[36:37]
	v_add_f64 v[2:3], v[2:3], v[32:33]
	v_add_f64 v[4:5], v[30:31], v[4:5]
	v_fma_f64 v[158:159], v[38:39], v[50:51], -v[26:27]
	v_fma_f64 v[160:161], v[40:41], v[50:51], v[28:29]
	v_mul_f64 v[26:27], v[48:49], v[52:53]
	v_mul_f64 v[28:29], v[46:47], v[52:53]
	v_fma_f64 v[38:39], v[38:39], v[54:55], -v[42:43]
	v_fma_f64 v[40:41], v[40:41], v[54:55], v[44:45]
	v_mul_f64 v[52:53], v[58:59], v[72:73]
	v_mul_f64 v[30:31], v[80:81], v[84:85]
	;; [unrolled: 1-line block ×4, first 2 shown]
	v_add_f64 v[14:15], v[14:15], v[158:159]
	v_add_f64 v[16:17], v[160:161], v[16:17]
	v_fma_f64 v[42:43], v[46:47], v[50:51], -v[26:27]
	v_fma_f64 v[44:45], v[48:49], v[50:51], v[28:29]
	v_mul_f64 v[26:27], v[48:49], v[56:57]
	v_mul_f64 v[28:29], v[46:47], v[56:57]
	;; [unrolled: 1-line block ×3, first 2 shown]
	v_fma_f64 v[52:53], v[60:61], v[70:71], v[52:53]
	v_add_f64 v[10:11], v[10:11], v[38:39]
	v_add_f64 v[12:13], v[40:41], v[12:13]
	s_waitcnt lgkmcnt(10)
	v_mul_f64 v[38:39], v[108:109], v[92:93]
	v_mul_f64 v[40:41], v[106:107], v[92:93]
	v_fma_f64 v[30:31], v[78:79], v[82:83], -v[30:31]
	v_fma_f64 v[32:33], v[80:81], v[82:83], v[32:33]
	s_waitcnt lgkmcnt(8)
	v_mul_f64 v[82:83], v[112:113], v[116:117]
	v_add_f64 v[6:7], v[6:7], v[42:43]
	v_add_f64 v[8:9], v[44:45], v[8:9]
	v_fma_f64 v[46:47], v[46:47], v[54:55], -v[26:27]
	v_fma_f64 v[48:49], v[48:49], v[54:55], v[28:29]
	v_mul_f64 v[26:27], v[60:61], v[68:69]
	v_mul_f64 v[28:29], v[58:59], v[68:69]
	v_fma_f64 v[50:51], v[58:59], v[70:71], -v[50:51]
	v_mul_f64 v[42:43], v[108:109], v[96:97]
	v_mul_f64 v[44:45], v[106:107], v[96:97]
	v_add_f64 v[12:13], v[52:53], v[12:13]
	s_waitcnt lgkmcnt(7)
	v_mul_f64 v[52:53], v[110:111], v[120:121]
	v_fma_f64 v[38:39], v[106:107], v[90:91], -v[38:39]
	v_fma_f64 v[40:41], v[108:109], v[90:91], v[40:41]
	v_add_f64 v[2:3], v[2:3], v[46:47]
	v_add_f64 v[4:5], v[48:49], v[4:5]
	v_fma_f64 v[54:55], v[58:59], v[66:67], -v[26:27]
	v_fma_f64 v[56:57], v[60:61], v[66:67], v[28:29]
	v_mul_f64 v[26:27], v[76:77], v[68:69]
	v_mul_f64 v[28:29], v[74:75], v[68:69]
	;; [unrolled: 1-line block ×3, first 2 shown]
	v_add_f64 v[10:11], v[10:11], v[50:51]
	v_mul_f64 v[46:47], v[104:105], v[116:117]
	v_mul_f64 v[48:49], v[102:103], v[116:117]
	;; [unrolled: 1-line block ×3, first 2 shown]
	v_fma_f64 v[42:43], v[106:107], v[94:95], -v[42:43]
	v_fma_f64 v[44:45], v[108:109], v[94:95], v[44:45]
	v_fma_f64 v[52:53], v[112:113], v[118:119], v[52:53]
	v_add_f64 v[14:15], v[14:15], v[54:55]
	v_add_f64 v[16:17], v[56:57], v[16:17]
	v_fma_f64 v[58:59], v[74:75], v[66:67], -v[26:27]
	v_fma_f64 v[60:61], v[76:77], v[66:67], v[28:29]
	v_mul_f64 v[66:67], v[76:77], v[72:73]
	v_mul_f64 v[72:73], v[64:65], v[88:89]
	v_fma_f64 v[68:69], v[76:77], v[70:71], v[68:69]
	v_mul_f64 v[76:77], v[100:101], v[92:93]
	v_fma_f64 v[64:65], v[64:65], v[86:87], v[150:151]
	v_mul_f64 v[92:93], v[102:103], v[120:121]
	s_waitcnt lgkmcnt(4)
	v_mul_f64 v[54:55], v[132:133], v[124:125]
	v_mul_f64 v[56:57], v[130:131], v[124:125]
	v_fma_f64 v[46:47], v[102:103], v[114:115], -v[46:47]
	v_fma_f64 v[48:49], v[104:105], v[114:115], v[48:49]
	v_fma_f64 v[50:51], v[110:111], v[118:119], -v[50:51]
	ds_read_b128 v[26:29], v22 offset:3840
	s_waitcnt lgkmcnt(0)
	s_barrier
	buffer_gl0_inv
	v_add_f64 v[14:15], v[14:15], v[34:35]
	v_add_f64 v[16:17], v[36:37], v[16:17]
	;; [unrolled: 1-line block ×4, first 2 shown]
	v_fma_f64 v[66:67], v[74:75], v[70:71], -v[66:67]
	v_mul_f64 v[70:71], v[80:81], v[88:89]
	v_mul_f64 v[74:75], v[78:79], v[88:89]
	;; [unrolled: 1-line block ×3, first 2 shown]
	v_fma_f64 v[62:63], v[62:63], v[86:87], -v[72:73]
	v_add_f64 v[4:5], v[68:69], v[4:5]
	v_mul_f64 v[72:73], v[104:105], v[120:121]
	v_mul_f64 v[96:97], v[110:111], v[116:117]
	v_fma_f64 v[68:69], v[100:101], v[90:91], v[84:85]
	v_add_f64 v[12:13], v[64:65], v[12:13]
	v_mul_f64 v[58:59], v[132:133], v[128:129]
	v_mul_f64 v[60:61], v[130:131], v[128:129]
	;; [unrolled: 1-line block ×5, first 2 shown]
	v_fma_f64 v[54:55], v[130:131], v[122:123], -v[54:55]
	v_fma_f64 v[56:57], v[132:133], v[122:123], v[56:57]
	v_add_f64 v[6:7], v[6:7], v[30:31]
	v_add_f64 v[8:9], v[32:33], v[8:9]
	;; [unrolled: 1-line block ×3, first 2 shown]
	v_fma_f64 v[70:71], v[78:79], v[86:87], -v[70:71]
	v_fma_f64 v[74:75], v[80:81], v[86:87], v[74:75]
	v_fma_f64 v[66:67], v[98:99], v[90:91], -v[76:77]
	v_fma_f64 v[76:77], v[98:99], v[94:95], -v[88:89]
	v_fma_f64 v[78:79], v[100:101], v[94:95], v[152:153]
	v_add_f64 v[10:11], v[10:11], v[62:63]
	v_mul_f64 v[30:31], v[140:141], v[124:125]
	v_mul_f64 v[32:33], v[138:139], v[124:125]
	v_fma_f64 v[80:81], v[112:113], v[114:115], v[96:97]
	v_add_f64 v[16:17], v[68:69], v[16:17]
	v_mul_f64 v[62:63], v[136:137], v[148:149]
	v_fma_f64 v[58:59], v[130:131], v[126:127], -v[58:59]
	v_fma_f64 v[60:61], v[132:133], v[126:127], v[60:61]
	v_fma_f64 v[34:35], v[138:139], v[126:127], -v[34:35]
	v_fma_f64 v[36:37], v[140:141], v[126:127], v[36:37]
	v_add_f64 v[6:7], v[6:7], v[38:39]
	v_add_f64 v[8:9], v[40:41], v[8:9]
	v_mul_f64 v[38:39], v[136:137], v[28:29]
	v_add_f64 v[2:3], v[2:3], v[70:71]
	v_add_f64 v[4:5], v[74:75], v[4:5]
	v_fma_f64 v[70:71], v[102:103], v[118:119], -v[72:73]
	v_fma_f64 v[72:73], v[104:105], v[118:119], v[92:93]
	v_fma_f64 v[74:75], v[110:111], v[114:115], -v[82:83]
	v_add_f64 v[14:15], v[14:15], v[66:67]
	v_add_f64 v[10:11], v[10:11], v[76:77]
	;; [unrolled: 1-line block ×3, first 2 shown]
	v_mul_f64 v[40:41], v[134:135], v[28:29]
	v_mul_f64 v[66:67], v[144:145], v[28:29]
	;; [unrolled: 1-line block ×3, first 2 shown]
	v_fma_f64 v[30:31], v[138:139], v[122:123], -v[30:31]
	v_fma_f64 v[32:33], v[140:141], v[122:123], v[32:33]
	v_add_f64 v[16:17], v[48:49], v[16:17]
	v_fma_f64 v[48:49], v[136:137], v[146:147], v[64:65]
	v_add_f64 v[8:9], v[80:81], v[8:9]
	v_fma_f64 v[38:39], v[134:135], v[26:27], -v[38:39]
	v_add_f64 v[2:3], v[2:3], v[42:43]
	v_add_f64 v[4:5], v[44:45], v[4:5]
	v_mul_f64 v[42:43], v[144:145], v[148:149]
	v_mul_f64 v[44:45], v[142:143], v[148:149]
	v_add_f64 v[6:7], v[6:7], v[74:75]
	v_add_f64 v[14:15], v[14:15], v[46:47]
	;; [unrolled: 1-line block ×4, first 2 shown]
	v_fma_f64 v[46:47], v[134:135], v[146:147], -v[62:63]
	v_fma_f64 v[40:41], v[136:137], v[26:27], v[40:41]
	v_add_f64 v[16:17], v[56:57], v[16:17]
	v_add_f64 v[8:9], v[32:33], v[8:9]
	;; [unrolled: 1-line block ×4, first 2 shown]
	v_fma_f64 v[42:43], v[142:143], v[146:147], -v[42:43]
	v_fma_f64 v[44:45], v[144:145], v[146:147], v[44:45]
	v_fma_f64 v[50:51], v[142:143], v[26:27], -v[66:67]
	v_fma_f64 v[26:27], v[144:145], v[26:27], v[28:29]
	v_add_f64 v[14:15], v[14:15], v[54:55]
	v_add_f64 v[10:11], v[10:11], v[58:59]
	;; [unrolled: 1-line block ×14, first 2 shown]
	s_cbranch_vccnz .LBB274_2
	s_branch .LBB274_4
.LBB274_3:
	v_mov_b32_e32 v14, 0
	v_mov_b32_e32 v16, 0
	;; [unrolled: 1-line block ×16, first 2 shown]
.LBB274_4:
	s_load_dwordx2 s[4:5], s[4:5], 0x90
	v_cmp_neq_f64_e64 s10, s[14:15], 0
	v_cmp_neq_f64_e64 s11, s[16:17], 0
	v_add_co_u32 v22, s8, s8, v1
	v_add_co_ci_u32_e64 v23, null, s9, 0, s8
	s_waitcnt lgkmcnt(0)
	s_lshl_b64 s[4:5], s[4:5], 4
	s_add_u32 s2, s2, s4
	s_addc_u32 s3, s3, s5
	v_add_co_u32 v0, s5, s6, v0
	v_add_co_ci_u32_e64 v1, null, s7, 0, s5
	s_or_b32 s4, s10, s11
	s_and_b32 vcc_lo, exec_lo, s4
	s_cbranch_vccnz .LBB274_6
; %bb.5:
	v_mul_f64 v[20:21], s[40:41], v[16:17]
	v_mul_f64 v[26:27], s[38:39], v[16:17]
	;; [unrolled: 1-line block ×4, first 2 shown]
	v_mul_lo_u32 v24, v23, s26
	v_mul_lo_u32 v25, v22, s27
	v_mad_u64_u32 v[18:19], null, v22, s26, 0
	v_mul_f64 v[28:29], s[40:41], v[12:13]
	v_mul_f64 v[30:31], s[38:39], v[12:13]
	;; [unrolled: 1-line block ×4, first 2 shown]
	s_lshl_b64 s[4:5], s[26:27], 8
	v_lshlrev_b64 v[40:41], 4, v[0:1]
	v_add3_u32 v19, v19, v25, v24
	v_lshlrev_b64 v[18:19], 4, v[18:19]
	v_fma_f64 v[24:25], s[38:39], v[14:15], -v[20:21]
	v_fma_f64 v[26:27], s[40:41], v[14:15], v[26:27]
	v_fma_f64 v[36:37], s[38:39], v[2:3], -v[36:37]
	v_add_co_u32 v42, vcc_lo, s2, v18
	v_add_co_ci_u32_e64 v43, null, s3, v19, vcc_lo
	v_fma_f64 v[18:19], s[40:41], v[2:3], v[38:39]
	v_fma_f64 v[28:29], s[38:39], v[10:11], -v[28:29]
	v_fma_f64 v[30:31], s[40:41], v[10:11], v[30:31]
	v_fma_f64 v[32:33], s[38:39], v[6:7], -v[32:33]
	v_fma_f64 v[34:35], s[40:41], v[6:7], v[34:35]
	v_add_co_u32 v20, vcc_lo, v42, s4
	v_add_co_ci_u32_e64 v21, null, s5, v43, vcc_lo
	v_add_co_u32 v38, vcc_lo, v20, v40
	v_add_co_ci_u32_e64 v39, null, v21, v41, vcc_lo
	;; [unrolled: 2-line block ×4, first 2 shown]
	flat_store_dwordx4 v[40:41], v[24:27]
	flat_store_dwordx4 v[40:41], v[28:31] offset:256
	flat_store_dwordx4 v[38:39], v[32:35]
	flat_store_dwordx2 v[38:39], v[36:37] offset:256
	s_cbranch_execz .LBB274_7
	s_branch .LBB274_8
.LBB274_6:
                                        ; implicit-def: $vgpr18_vgpr19
                                        ; implicit-def: $vgpr20_vgpr21
.LBB274_7:
	v_mul_lo_u32 v20, v23, s20
	v_mul_lo_u32 v21, v22, s21
	v_mad_u64_u32 v[18:19], null, v22, s20, 0
	s_lshl_b64 s[4:5], s[22:23], 4
	v_lshlrev_b64 v[0:1], 4, v[0:1]
	s_add_u32 s0, s0, s4
	s_addc_u32 s1, s1, s5
	v_mul_f64 v[26:27], s[40:41], v[16:17]
	v_mul_f64 v[16:17], s[38:39], v[16:17]
	v_add3_u32 v19, v19, v21, v20
	v_mul_lo_u32 v23, v23, s26
	v_lshlrev_b64 v[18:19], 4, v[18:19]
	v_add_co_u32 v30, vcc_lo, s0, v18
	v_add_co_ci_u32_e64 v31, null, s1, v19, vcc_lo
	s_lshl_b64 s[0:1], s[20:21], 8
	v_add_co_u32 v24, vcc_lo, v30, v0
	v_add_co_ci_u32_e64 v25, null, v31, v1, vcc_lo
	v_fma_f64 v[26:27], s[38:39], v[14:15], -v[26:27]
	v_fma_f64 v[16:17], s[40:41], v[14:15], v[16:17]
	flat_load_dwordx4 v[18:21], v[24:25]
	s_waitcnt vmcnt(0) lgkmcnt(0)
	v_mul_f64 v[28:29], s[16:17], v[20:21]
	v_mul_f64 v[20:21], s[14:15], v[20:21]
	v_fma_f64 v[14:15], s[14:15], v[18:19], -v[28:29]
	v_fma_f64 v[18:19], s[16:17], v[18:19], v[20:21]
	v_mul_lo_u32 v28, v22, s27
	v_mad_u64_u32 v[20:21], null, v22, s26, 0
	v_add3_u32 v21, v21, v28, v23
	v_add_f64 v[14:15], v[26:27], v[14:15]
	v_add_f64 v[16:17], v[16:17], v[18:19]
	v_lshlrev_b64 v[18:19], 4, v[20:21]
	v_mul_f64 v[20:21], s[40:41], v[12:13]
	v_mul_f64 v[12:13], s[38:39], v[12:13]
	v_add_co_u32 v26, vcc_lo, s2, v18
	v_add_co_ci_u32_e64 v27, null, s3, v19, vcc_lo
	v_add_co_u32 v18, vcc_lo, v26, v0
	v_add_co_ci_u32_e64 v19, null, v27, v1, vcc_lo
	flat_store_dwordx4 v[18:19], v[14:17]
	flat_load_dwordx4 v[14:17], v[24:25] offset:256
	v_fma_f64 v[20:21], s[38:39], v[10:11], -v[20:21]
	v_fma_f64 v[12:13], s[40:41], v[10:11], v[12:13]
	s_waitcnt vmcnt(0) lgkmcnt(0)
	v_mul_f64 v[22:23], s[16:17], v[16:17]
	v_mul_f64 v[16:17], s[14:15], v[16:17]
	v_fma_f64 v[10:11], s[14:15], v[14:15], -v[22:23]
	v_fma_f64 v[14:15], s[16:17], v[14:15], v[16:17]
	v_mul_f64 v[16:17], s[40:41], v[8:9]
	v_mul_f64 v[8:9], s[38:39], v[8:9]
	v_add_f64 v[10:11], v[20:21], v[10:11]
	v_add_f64 v[12:13], v[12:13], v[14:15]
	v_add_co_u32 v14, vcc_lo, v30, s0
	v_add_co_ci_u32_e64 v15, null, s1, v31, vcc_lo
	v_fma_f64 v[16:17], s[38:39], v[6:7], -v[16:17]
	v_add_co_u32 v14, vcc_lo, v14, v0
	v_add_co_ci_u32_e64 v15, null, v15, v1, vcc_lo
	v_fma_f64 v[8:9], s[40:41], v[6:7], v[8:9]
	s_lshl_b64 s[0:1], s[26:27], 8
	flat_store_dwordx4 v[18:19], v[10:13] offset:256
	flat_load_dwordx4 v[10:13], v[14:15]
	s_waitcnt vmcnt(0) lgkmcnt(0)
	v_mul_f64 v[18:19], s[16:17], v[12:13]
	v_mul_f64 v[12:13], s[14:15], v[12:13]
	v_fma_f64 v[6:7], s[14:15], v[10:11], -v[18:19]
	v_fma_f64 v[10:11], s[16:17], v[10:11], v[12:13]
	v_add_f64 v[6:7], v[16:17], v[6:7]
	v_add_f64 v[8:9], v[8:9], v[10:11]
	v_add_co_u32 v10, vcc_lo, v26, s0
	v_add_co_ci_u32_e64 v11, null, s1, v27, vcc_lo
	v_add_co_u32 v0, vcc_lo, v10, v0
	v_add_co_ci_u32_e64 v1, null, v11, v1, vcc_lo
	v_mul_f64 v[10:11], s[40:41], v[4:5]
	v_mul_f64 v[4:5], s[38:39], v[4:5]
	v_add_co_u32 v20, vcc_lo, 0x100, v0
	v_add_co_ci_u32_e64 v21, null, 0, v1, vcc_lo
	flat_store_dwordx4 v[0:1], v[6:9]
	flat_load_dwordx4 v[6:9], v[14:15] offset:256
	v_fma_f64 v[10:11], s[38:39], v[2:3], -v[10:11]
	v_fma_f64 v[2:3], s[40:41], v[2:3], v[4:5]
	s_waitcnt vmcnt(0) lgkmcnt(0)
	v_mul_f64 v[12:13], s[16:17], v[8:9]
	v_mul_f64 v[8:9], s[14:15], v[8:9]
	v_fma_f64 v[4:5], s[14:15], v[6:7], -v[12:13]
	v_fma_f64 v[6:7], s[16:17], v[6:7], v[8:9]
	v_add_f64 v[4:5], v[10:11], v[4:5]
	v_add_f64 v[18:19], v[2:3], v[6:7]
	flat_store_dwordx2 v[0:1], v[4:5] offset:256
.LBB274_8:
	flat_store_dwordx2 v[20:21], v[18:19] offset:8
	s_endpgm
	.section	.rodata,"a",@progbits
	.p2align	6, 0x0
	.amdhsa_kernel _ZN12_GLOBAL__N_127rocblas_gemm_batched_kernelI19rocblas_complex_numIdELi16ELi16ELi32ELi32ELi8ELi32ELi8ELi8ELi32ELc78ELc84EKPKS2_S5_KPS2_EEvlllT_PT11_llSA_llS8_PT12_llPT13_lli
		.amdhsa_group_segment_fixed_size 8192
		.amdhsa_private_segment_fixed_size 0
		.amdhsa_kernarg_size 156
		.amdhsa_user_sgpr_count 6
		.amdhsa_user_sgpr_private_segment_buffer 1
		.amdhsa_user_sgpr_dispatch_ptr 0
		.amdhsa_user_sgpr_queue_ptr 0
		.amdhsa_user_sgpr_kernarg_segment_ptr 1
		.amdhsa_user_sgpr_dispatch_id 0
		.amdhsa_user_sgpr_flat_scratch_init 0
		.amdhsa_user_sgpr_private_segment_size 0
		.amdhsa_wavefront_size32 1
		.amdhsa_uses_dynamic_stack 0
		.amdhsa_system_sgpr_private_segment_wavefront_offset 0
		.amdhsa_system_sgpr_workgroup_id_x 1
		.amdhsa_system_sgpr_workgroup_id_y 1
		.amdhsa_system_sgpr_workgroup_id_z 1
		.amdhsa_system_sgpr_workgroup_info 0
		.amdhsa_system_vgpr_workitem_id 1
		.amdhsa_next_free_vgpr 162
		.amdhsa_next_free_sgpr 52
		.amdhsa_reserve_vcc 1
		.amdhsa_reserve_flat_scratch 0
		.amdhsa_float_round_mode_32 0
		.amdhsa_float_round_mode_16_64 0
		.amdhsa_float_denorm_mode_32 3
		.amdhsa_float_denorm_mode_16_64 3
		.amdhsa_dx10_clamp 1
		.amdhsa_ieee_mode 1
		.amdhsa_fp16_overflow 0
		.amdhsa_workgroup_processor_mode 1
		.amdhsa_memory_ordered 1
		.amdhsa_forward_progress 1
		.amdhsa_shared_vgpr_count 0
		.amdhsa_exception_fp_ieee_invalid_op 0
		.amdhsa_exception_fp_denorm_src 0
		.amdhsa_exception_fp_ieee_div_zero 0
		.amdhsa_exception_fp_ieee_overflow 0
		.amdhsa_exception_fp_ieee_underflow 0
		.amdhsa_exception_fp_ieee_inexact 0
		.amdhsa_exception_int_div_zero 0
	.end_amdhsa_kernel
	.section	.text._ZN12_GLOBAL__N_127rocblas_gemm_batched_kernelI19rocblas_complex_numIdELi16ELi16ELi32ELi32ELi8ELi32ELi8ELi8ELi32ELc78ELc84EKPKS2_S5_KPS2_EEvlllT_PT11_llSA_llS8_PT12_llPT13_lli,"axG",@progbits,_ZN12_GLOBAL__N_127rocblas_gemm_batched_kernelI19rocblas_complex_numIdELi16ELi16ELi32ELi32ELi8ELi32ELi8ELi8ELi32ELc78ELc84EKPKS2_S5_KPS2_EEvlllT_PT11_llSA_llS8_PT12_llPT13_lli,comdat
.Lfunc_end274:
	.size	_ZN12_GLOBAL__N_127rocblas_gemm_batched_kernelI19rocblas_complex_numIdELi16ELi16ELi32ELi32ELi8ELi32ELi8ELi8ELi32ELc78ELc84EKPKS2_S5_KPS2_EEvlllT_PT11_llSA_llS8_PT12_llPT13_lli, .Lfunc_end274-_ZN12_GLOBAL__N_127rocblas_gemm_batched_kernelI19rocblas_complex_numIdELi16ELi16ELi32ELi32ELi8ELi32ELi8ELi8ELi32ELc78ELc84EKPKS2_S5_KPS2_EEvlllT_PT11_llSA_llS8_PT12_llPT13_lli
                                        ; -- End function
	.set _ZN12_GLOBAL__N_127rocblas_gemm_batched_kernelI19rocblas_complex_numIdELi16ELi16ELi32ELi32ELi8ELi32ELi8ELi8ELi32ELc78ELc84EKPKS2_S5_KPS2_EEvlllT_PT11_llSA_llS8_PT12_llPT13_lli.num_vgpr, 162
	.set _ZN12_GLOBAL__N_127rocblas_gemm_batched_kernelI19rocblas_complex_numIdELi16ELi16ELi32ELi32ELi8ELi32ELi8ELi8ELi32ELc78ELc84EKPKS2_S5_KPS2_EEvlllT_PT11_llSA_llS8_PT12_llPT13_lli.num_agpr, 0
	.set _ZN12_GLOBAL__N_127rocblas_gemm_batched_kernelI19rocblas_complex_numIdELi16ELi16ELi32ELi32ELi8ELi32ELi8ELi8ELi32ELc78ELc84EKPKS2_S5_KPS2_EEvlllT_PT11_llSA_llS8_PT12_llPT13_lli.numbered_sgpr, 52
	.set _ZN12_GLOBAL__N_127rocblas_gemm_batched_kernelI19rocblas_complex_numIdELi16ELi16ELi32ELi32ELi8ELi32ELi8ELi8ELi32ELc78ELc84EKPKS2_S5_KPS2_EEvlllT_PT11_llSA_llS8_PT12_llPT13_lli.num_named_barrier, 0
	.set _ZN12_GLOBAL__N_127rocblas_gemm_batched_kernelI19rocblas_complex_numIdELi16ELi16ELi32ELi32ELi8ELi32ELi8ELi8ELi32ELc78ELc84EKPKS2_S5_KPS2_EEvlllT_PT11_llSA_llS8_PT12_llPT13_lli.private_seg_size, 0
	.set _ZN12_GLOBAL__N_127rocblas_gemm_batched_kernelI19rocblas_complex_numIdELi16ELi16ELi32ELi32ELi8ELi32ELi8ELi8ELi32ELc78ELc84EKPKS2_S5_KPS2_EEvlllT_PT11_llSA_llS8_PT12_llPT13_lli.uses_vcc, 1
	.set _ZN12_GLOBAL__N_127rocblas_gemm_batched_kernelI19rocblas_complex_numIdELi16ELi16ELi32ELi32ELi8ELi32ELi8ELi8ELi32ELc78ELc84EKPKS2_S5_KPS2_EEvlllT_PT11_llSA_llS8_PT12_llPT13_lli.uses_flat_scratch, 0
	.set _ZN12_GLOBAL__N_127rocblas_gemm_batched_kernelI19rocblas_complex_numIdELi16ELi16ELi32ELi32ELi8ELi32ELi8ELi8ELi32ELc78ELc84EKPKS2_S5_KPS2_EEvlllT_PT11_llSA_llS8_PT12_llPT13_lli.has_dyn_sized_stack, 0
	.set _ZN12_GLOBAL__N_127rocblas_gemm_batched_kernelI19rocblas_complex_numIdELi16ELi16ELi32ELi32ELi8ELi32ELi8ELi8ELi32ELc78ELc84EKPKS2_S5_KPS2_EEvlllT_PT11_llSA_llS8_PT12_llPT13_lli.has_recursion, 0
	.set _ZN12_GLOBAL__N_127rocblas_gemm_batched_kernelI19rocblas_complex_numIdELi16ELi16ELi32ELi32ELi8ELi32ELi8ELi8ELi32ELc78ELc84EKPKS2_S5_KPS2_EEvlllT_PT11_llSA_llS8_PT12_llPT13_lli.has_indirect_call, 0
	.section	.AMDGPU.csdata,"",@progbits
; Kernel info:
; codeLenInByte = 3508
; TotalNumSgprs: 54
; NumVgprs: 162
; ScratchSize: 0
; MemoryBound: 0
; FloatMode: 240
; IeeeMode: 1
; LDSByteSize: 8192 bytes/workgroup (compile time only)
; SGPRBlocks: 0
; VGPRBlocks: 20
; NumSGPRsForWavesPerEU: 54
; NumVGPRsForWavesPerEU: 162
; Occupancy: 5
; WaveLimiterHint : 1
; COMPUTE_PGM_RSRC2:SCRATCH_EN: 0
; COMPUTE_PGM_RSRC2:USER_SGPR: 6
; COMPUTE_PGM_RSRC2:TRAP_HANDLER: 0
; COMPUTE_PGM_RSRC2:TGID_X_EN: 1
; COMPUTE_PGM_RSRC2:TGID_Y_EN: 1
; COMPUTE_PGM_RSRC2:TGID_Z_EN: 1
; COMPUTE_PGM_RSRC2:TIDIG_COMP_CNT: 1
	.section	.text._ZN12_GLOBAL__N_127rocblas_gemm_batched_kernelI19rocblas_complex_numIdELi16ELi16ELi32ELi32ELi8ELi32ELi8ELi8ELi32ELc84ELc84EKPKS2_S5_KPS2_EEvlllT_PT11_llSA_llS8_PT12_llPT13_lli,"axG",@progbits,_ZN12_GLOBAL__N_127rocblas_gemm_batched_kernelI19rocblas_complex_numIdELi16ELi16ELi32ELi32ELi8ELi32ELi8ELi8ELi32ELc84ELc84EKPKS2_S5_KPS2_EEvlllT_PT11_llSA_llS8_PT12_llPT13_lli,comdat
	.globl	_ZN12_GLOBAL__N_127rocblas_gemm_batched_kernelI19rocblas_complex_numIdELi16ELi16ELi32ELi32ELi8ELi32ELi8ELi8ELi32ELc84ELc84EKPKS2_S5_KPS2_EEvlllT_PT11_llSA_llS8_PT12_llPT13_lli ; -- Begin function _ZN12_GLOBAL__N_127rocblas_gemm_batched_kernelI19rocblas_complex_numIdELi16ELi16ELi32ELi32ELi8ELi32ELi8ELi8ELi32ELc84ELc84EKPKS2_S5_KPS2_EEvlllT_PT11_llSA_llS8_PT12_llPT13_lli
	.p2align	8
	.type	_ZN12_GLOBAL__N_127rocblas_gemm_batched_kernelI19rocblas_complex_numIdELi16ELi16ELi32ELi32ELi8ELi32ELi8ELi8ELi32ELc84ELc84EKPKS2_S5_KPS2_EEvlllT_PT11_llSA_llS8_PT12_llPT13_lli,@function
_ZN12_GLOBAL__N_127rocblas_gemm_batched_kernelI19rocblas_complex_numIdELi16ELi16ELi32ELi32ELi8ELi32ELi8ELi8ELi32ELc84ELc84EKPKS2_S5_KPS2_EEvlllT_PT11_llSA_llS8_PT12_llPT13_lli: ; @_ZN12_GLOBAL__N_127rocblas_gemm_batched_kernelI19rocblas_complex_numIdELi16ELi16ELi32ELi32ELi8ELi32ELi8ELi8ELi32ELc84ELc84EKPKS2_S5_KPS2_EEvlllT_PT11_llSA_llS8_PT12_llPT13_lli
; %bb.0:
	s_clause 0x1
	s_load_dwordx16 s[12:27], s[4:5], 0x50
	s_load_dwordx16 s[36:51], s[4:5], 0x10
	s_mov_b32 s9, 0
	s_mov_b32 s28, s7
	s_lshl_b64 s[10:11], s[8:9], 3
	s_waitcnt lgkmcnt(0)
	s_add_u32 s0, s18, s10
	s_addc_u32 s1, s19, s11
	s_add_u32 s2, s24, s10
	s_addc_u32 s3, s25, s11
	s_load_dwordx2 s[0:1], s[0:1], 0x0
	s_load_dwordx2 s[2:3], s[2:3], 0x0
	v_cmp_lt_i64_e64 s8, s[36:37], 1
	s_ashr_i32 s7, s6, 31
	s_ashr_i32 s29, s28, 31
	s_lshl_b64 s[6:7], s[6:7], 5
	s_and_b32 vcc_lo, exec_lo, s8
	s_lshl_b64 s[8:9], s[28:29], 5
	s_cbranch_vccnz .LBB275_3
; %bb.1:
	v_lshl_add_u32 v6, v1, 4, v0
	v_and_b32_e32 v7, 7, v0
	v_mov_b32_e32 v16, 0
	v_mov_b32_e32 v14, 0
	v_lshlrev_b32_e32 v24, 4, v0
	v_lshrrev_b32_e32 v8, 3, v6
	v_and_b32_e32 v9, 31, v6
	v_lshrrev_b32_e32 v12, 5, v6
	v_lshlrev_b32_e32 v13, 4, v7
	v_lshl_add_u32 v25, v1, 7, 0x1000
	v_add_co_u32 v2, s18, v8, s8
	v_add_co_ci_u32_e64 v3, null, 0, s9, s18
	v_add_co_u32 v4, s18, s6, v9
	v_add_co_ci_u32_e64 v5, null, s7, 0, s18
	v_mad_u64_u32 v[2:3], null, s50, v7, v[2:3]
	v_mul_lo_u32 v10, s45, v4
	v_mul_lo_u32 v11, s44, v5
	v_mad_u64_u32 v[4:5], null, s44, v4, 0
	s_add_u32 s18, s42, s10
	s_addc_u32 s19, s43, s11
	s_add_u32 s10, s48, s10
	s_addc_u32 s11, s49, s11
	s_load_dwordx2 s[18:19], s[18:19], 0x0
	s_load_dwordx2 s[10:11], s[10:11], 0x0
	v_add3_u32 v5, v5, v11, v10
	v_mad_u64_u32 v[6:7], null, s51, v7, v[3:4]
	v_lshlrev_b32_e32 v3, 4, v9
	s_lshl_b64 s[24:25], s[46:47], 4
	v_lshlrev_b64 v[4:5], 4, v[4:5]
	v_lshl_or_b32 v7, v8, 7, v13
	s_lshl_b64 s[12:13], s[12:13], 4
	v_lshl_or_b32 v22, v12, 9, v3
	v_mov_b32_e32 v3, v6
	v_lshlrev_b32_e32 v6, 4, v12
	v_add_co_u32 v4, vcc_lo, v4, s24
	v_add_co_ci_u32_e64 v5, null, s25, v5, vcc_lo
	v_lshlrev_b64 v[20:21], 4, v[2:3]
	v_add_co_u32 v4, vcc_lo, v4, v6
	v_add_co_ci_u32_e64 v5, null, 0, v5, vcc_lo
	s_waitcnt lgkmcnt(0)
	s_add_u32 s10, s10, s12
	v_add_co_u32 v18, vcc_lo, s18, v4
	v_add_co_ci_u32_e64 v19, null, s19, v5, vcc_lo
	s_addc_u32 s11, s11, s13
	v_add_co_u32 v20, vcc_lo, s10, v20
	v_add_nc_u32_e32 v23, 0x1000, v7
	v_mov_b32_e32 v4, 0
	v_mov_b32_e32 v2, 0
	;; [unrolled: 1-line block ×14, first 2 shown]
	v_add_co_ci_u32_e64 v21, null, s11, v21, vcc_lo
	s_lshl_b64 s[10:11], s[50:51], 7
	s_mov_b64 s[12:13], 0
.LBB275_2:                              ; =>This Inner Loop Header: Depth=1
	flat_load_dwordx4 v[26:29], v[18:19]
	flat_load_dwordx4 v[30:33], v[20:21]
	s_add_u32 s12, s12, 8
	s_addc_u32 s13, s13, 0
	v_add_co_u32 v18, vcc_lo, 0x80, v18
	v_cmp_lt_i64_e64 s18, s[12:13], s[36:37]
	v_add_co_ci_u32_e64 v19, null, 0, v19, vcc_lo
	v_add_co_u32 v20, vcc_lo, v20, s10
	v_add_co_ci_u32_e64 v21, null, s11, v21, vcc_lo
	s_and_b32 vcc_lo, exec_lo, s18
	s_waitcnt vmcnt(1) lgkmcnt(1)
	ds_write2_b64 v22, v[26:27], v[28:29] offset1:1
	s_waitcnt vmcnt(0) lgkmcnt(1)
	ds_write2_b64 v23, v[30:31], v[32:33] offset1:1
	s_waitcnt lgkmcnt(0)
	s_barrier
	buffer_gl0_inv
	ds_read_b128 v[26:29], v24
	ds_read_b128 v[30:33], v24 offset:256
	ds_read_b128 v[34:37], v25
	ds_read_b128 v[38:41], v25 offset:16
	ds_read_b128 v[42:45], v25 offset:2048
	;; [unrolled: 1-line block ×28, first 2 shown]
	s_waitcnt lgkmcnt(28)
	v_mul_f64 v[150:151], v[36:37], v[28:29]
	v_mul_f64 v[154:155], v[36:37], v[32:33]
	;; [unrolled: 1-line block ×4, first 2 shown]
	v_fma_f64 v[150:151], v[34:35], v[26:27], -v[150:151]
	v_fma_f64 v[34:35], v[34:35], v[30:31], -v[154:155]
	s_waitcnt lgkmcnt(26)
	v_mul_f64 v[154:155], v[44:45], v[28:29]
	v_mul_f64 v[28:29], v[42:43], v[28:29]
	v_fma_f64 v[152:153], v[36:37], v[26:27], v[152:153]
	v_fma_f64 v[36:37], v[36:37], v[30:31], v[156:157]
	v_add_f64 v[14:15], v[14:15], v[150:151]
	v_add_f64 v[10:11], v[10:11], v[34:35]
	v_fma_f64 v[154:155], v[42:43], v[26:27], -v[154:155]
	v_fma_f64 v[156:157], v[44:45], v[26:27], v[28:29]
	v_mul_f64 v[26:27], v[44:45], v[32:33]
	v_mul_f64 v[28:29], v[42:43], v[32:33]
	v_add_f64 v[16:17], v[152:153], v[16:17]
	v_add_f64 v[12:13], v[36:37], v[12:13]
	s_waitcnt lgkmcnt(16)
	v_mul_f64 v[34:35], v[64:65], v[84:85]
	v_mul_f64 v[36:37], v[62:63], v[84:85]
	s_waitcnt lgkmcnt(15)
	v_mul_f64 v[150:151], v[62:63], v[88:89]
	s_waitcnt lgkmcnt(12)
	v_mul_f64 v[152:153], v[98:99], v[96:97]
	v_add_f64 v[6:7], v[6:7], v[154:155]
	v_add_f64 v[8:9], v[156:157], v[8:9]
	v_fma_f64 v[32:33], v[42:43], v[30:31], -v[26:27]
	v_fma_f64 v[30:31], v[44:45], v[30:31], v[28:29]
	v_mul_f64 v[26:27], v[40:41], v[52:53]
	v_mul_f64 v[28:29], v[38:39], v[52:53]
	;; [unrolled: 1-line block ×4, first 2 shown]
	v_fma_f64 v[34:35], v[62:63], v[82:83], -v[34:35]
	v_fma_f64 v[36:37], v[64:65], v[82:83], v[36:37]
	v_add_f64 v[2:3], v[2:3], v[32:33]
	v_add_f64 v[4:5], v[30:31], v[4:5]
	v_fma_f64 v[158:159], v[38:39], v[50:51], -v[26:27]
	v_fma_f64 v[160:161], v[40:41], v[50:51], v[28:29]
	v_mul_f64 v[26:27], v[48:49], v[52:53]
	v_mul_f64 v[28:29], v[46:47], v[52:53]
	v_fma_f64 v[38:39], v[38:39], v[54:55], -v[42:43]
	v_fma_f64 v[40:41], v[40:41], v[54:55], v[44:45]
	v_mul_f64 v[52:53], v[58:59], v[72:73]
	v_mul_f64 v[30:31], v[80:81], v[84:85]
	;; [unrolled: 1-line block ×4, first 2 shown]
	v_add_f64 v[14:15], v[14:15], v[158:159]
	v_add_f64 v[16:17], v[160:161], v[16:17]
	v_fma_f64 v[42:43], v[46:47], v[50:51], -v[26:27]
	v_fma_f64 v[44:45], v[48:49], v[50:51], v[28:29]
	v_mul_f64 v[26:27], v[48:49], v[56:57]
	v_mul_f64 v[28:29], v[46:47], v[56:57]
	;; [unrolled: 1-line block ×3, first 2 shown]
	v_fma_f64 v[52:53], v[60:61], v[70:71], v[52:53]
	v_add_f64 v[10:11], v[10:11], v[38:39]
	v_add_f64 v[12:13], v[40:41], v[12:13]
	s_waitcnt lgkmcnt(10)
	v_mul_f64 v[38:39], v[108:109], v[92:93]
	v_mul_f64 v[40:41], v[106:107], v[92:93]
	v_fma_f64 v[30:31], v[78:79], v[82:83], -v[30:31]
	v_fma_f64 v[32:33], v[80:81], v[82:83], v[32:33]
	s_waitcnt lgkmcnt(8)
	v_mul_f64 v[82:83], v[112:113], v[116:117]
	v_add_f64 v[6:7], v[6:7], v[42:43]
	v_add_f64 v[8:9], v[44:45], v[8:9]
	v_fma_f64 v[46:47], v[46:47], v[54:55], -v[26:27]
	v_fma_f64 v[48:49], v[48:49], v[54:55], v[28:29]
	v_mul_f64 v[26:27], v[60:61], v[68:69]
	v_mul_f64 v[28:29], v[58:59], v[68:69]
	v_fma_f64 v[50:51], v[58:59], v[70:71], -v[50:51]
	v_mul_f64 v[42:43], v[108:109], v[96:97]
	v_mul_f64 v[44:45], v[106:107], v[96:97]
	v_add_f64 v[12:13], v[52:53], v[12:13]
	s_waitcnt lgkmcnt(7)
	v_mul_f64 v[52:53], v[110:111], v[120:121]
	v_fma_f64 v[38:39], v[106:107], v[90:91], -v[38:39]
	v_fma_f64 v[40:41], v[108:109], v[90:91], v[40:41]
	v_add_f64 v[2:3], v[2:3], v[46:47]
	v_add_f64 v[4:5], v[48:49], v[4:5]
	v_fma_f64 v[54:55], v[58:59], v[66:67], -v[26:27]
	v_fma_f64 v[56:57], v[60:61], v[66:67], v[28:29]
	v_mul_f64 v[26:27], v[76:77], v[68:69]
	v_mul_f64 v[28:29], v[74:75], v[68:69]
	;; [unrolled: 1-line block ×3, first 2 shown]
	v_add_f64 v[10:11], v[10:11], v[50:51]
	v_mul_f64 v[46:47], v[104:105], v[116:117]
	v_mul_f64 v[48:49], v[102:103], v[116:117]
	;; [unrolled: 1-line block ×3, first 2 shown]
	v_fma_f64 v[42:43], v[106:107], v[94:95], -v[42:43]
	v_fma_f64 v[44:45], v[108:109], v[94:95], v[44:45]
	v_fma_f64 v[52:53], v[112:113], v[118:119], v[52:53]
	v_add_f64 v[14:15], v[14:15], v[54:55]
	v_add_f64 v[16:17], v[56:57], v[16:17]
	v_fma_f64 v[58:59], v[74:75], v[66:67], -v[26:27]
	v_fma_f64 v[60:61], v[76:77], v[66:67], v[28:29]
	v_mul_f64 v[66:67], v[76:77], v[72:73]
	v_mul_f64 v[72:73], v[64:65], v[88:89]
	v_fma_f64 v[68:69], v[76:77], v[70:71], v[68:69]
	v_mul_f64 v[76:77], v[100:101], v[92:93]
	v_fma_f64 v[64:65], v[64:65], v[86:87], v[150:151]
	v_mul_f64 v[92:93], v[102:103], v[120:121]
	s_waitcnt lgkmcnt(4)
	v_mul_f64 v[54:55], v[132:133], v[124:125]
	v_mul_f64 v[56:57], v[130:131], v[124:125]
	v_fma_f64 v[46:47], v[102:103], v[114:115], -v[46:47]
	v_fma_f64 v[48:49], v[104:105], v[114:115], v[48:49]
	v_fma_f64 v[50:51], v[110:111], v[118:119], -v[50:51]
	ds_read_b128 v[26:29], v24 offset:3840
	s_waitcnt lgkmcnt(0)
	s_barrier
	buffer_gl0_inv
	v_add_f64 v[14:15], v[14:15], v[34:35]
	v_add_f64 v[16:17], v[36:37], v[16:17]
	;; [unrolled: 1-line block ×4, first 2 shown]
	v_fma_f64 v[66:67], v[74:75], v[70:71], -v[66:67]
	v_mul_f64 v[70:71], v[80:81], v[88:89]
	v_mul_f64 v[74:75], v[78:79], v[88:89]
	;; [unrolled: 1-line block ×3, first 2 shown]
	v_fma_f64 v[62:63], v[62:63], v[86:87], -v[72:73]
	v_add_f64 v[4:5], v[68:69], v[4:5]
	v_mul_f64 v[72:73], v[104:105], v[120:121]
	v_mul_f64 v[96:97], v[110:111], v[116:117]
	v_fma_f64 v[68:69], v[100:101], v[90:91], v[84:85]
	v_add_f64 v[12:13], v[64:65], v[12:13]
	v_mul_f64 v[58:59], v[132:133], v[128:129]
	v_mul_f64 v[60:61], v[130:131], v[128:129]
	;; [unrolled: 1-line block ×5, first 2 shown]
	v_fma_f64 v[54:55], v[130:131], v[122:123], -v[54:55]
	v_fma_f64 v[56:57], v[132:133], v[122:123], v[56:57]
	v_add_f64 v[6:7], v[6:7], v[30:31]
	v_add_f64 v[8:9], v[32:33], v[8:9]
	;; [unrolled: 1-line block ×3, first 2 shown]
	v_fma_f64 v[70:71], v[78:79], v[86:87], -v[70:71]
	v_fma_f64 v[74:75], v[80:81], v[86:87], v[74:75]
	v_fma_f64 v[66:67], v[98:99], v[90:91], -v[76:77]
	v_fma_f64 v[76:77], v[98:99], v[94:95], -v[88:89]
	v_fma_f64 v[78:79], v[100:101], v[94:95], v[152:153]
	v_add_f64 v[10:11], v[10:11], v[62:63]
	v_mul_f64 v[30:31], v[140:141], v[124:125]
	v_mul_f64 v[32:33], v[138:139], v[124:125]
	v_fma_f64 v[80:81], v[112:113], v[114:115], v[96:97]
	v_add_f64 v[16:17], v[68:69], v[16:17]
	v_mul_f64 v[62:63], v[136:137], v[148:149]
	v_fma_f64 v[58:59], v[130:131], v[126:127], -v[58:59]
	v_fma_f64 v[60:61], v[132:133], v[126:127], v[60:61]
	v_fma_f64 v[34:35], v[138:139], v[126:127], -v[34:35]
	v_fma_f64 v[36:37], v[140:141], v[126:127], v[36:37]
	v_add_f64 v[6:7], v[6:7], v[38:39]
	v_add_f64 v[8:9], v[40:41], v[8:9]
	v_mul_f64 v[38:39], v[136:137], v[28:29]
	v_add_f64 v[2:3], v[2:3], v[70:71]
	v_add_f64 v[4:5], v[74:75], v[4:5]
	v_fma_f64 v[70:71], v[102:103], v[118:119], -v[72:73]
	v_fma_f64 v[72:73], v[104:105], v[118:119], v[92:93]
	v_fma_f64 v[74:75], v[110:111], v[114:115], -v[82:83]
	v_add_f64 v[14:15], v[14:15], v[66:67]
	v_add_f64 v[10:11], v[10:11], v[76:77]
	;; [unrolled: 1-line block ×3, first 2 shown]
	v_mul_f64 v[40:41], v[134:135], v[28:29]
	v_mul_f64 v[66:67], v[144:145], v[28:29]
	;; [unrolled: 1-line block ×3, first 2 shown]
	v_fma_f64 v[30:31], v[138:139], v[122:123], -v[30:31]
	v_fma_f64 v[32:33], v[140:141], v[122:123], v[32:33]
	v_add_f64 v[16:17], v[48:49], v[16:17]
	v_fma_f64 v[48:49], v[136:137], v[146:147], v[64:65]
	v_add_f64 v[8:9], v[80:81], v[8:9]
	v_fma_f64 v[38:39], v[134:135], v[26:27], -v[38:39]
	v_add_f64 v[2:3], v[2:3], v[42:43]
	v_add_f64 v[4:5], v[44:45], v[4:5]
	v_mul_f64 v[42:43], v[144:145], v[148:149]
	v_mul_f64 v[44:45], v[142:143], v[148:149]
	v_add_f64 v[6:7], v[6:7], v[74:75]
	v_add_f64 v[14:15], v[14:15], v[46:47]
	;; [unrolled: 1-line block ×4, first 2 shown]
	v_fma_f64 v[46:47], v[134:135], v[146:147], -v[62:63]
	v_fma_f64 v[40:41], v[136:137], v[26:27], v[40:41]
	v_add_f64 v[16:17], v[56:57], v[16:17]
	v_add_f64 v[8:9], v[32:33], v[8:9]
	;; [unrolled: 1-line block ×4, first 2 shown]
	v_fma_f64 v[42:43], v[142:143], v[146:147], -v[42:43]
	v_fma_f64 v[44:45], v[144:145], v[146:147], v[44:45]
	v_fma_f64 v[50:51], v[142:143], v[26:27], -v[66:67]
	v_fma_f64 v[26:27], v[144:145], v[26:27], v[28:29]
	v_add_f64 v[14:15], v[14:15], v[54:55]
	v_add_f64 v[10:11], v[10:11], v[58:59]
	;; [unrolled: 1-line block ×14, first 2 shown]
	s_cbranch_vccnz .LBB275_2
	s_branch .LBB275_4
.LBB275_3:
	v_mov_b32_e32 v14, 0
	v_mov_b32_e32 v16, 0
	;; [unrolled: 1-line block ×16, first 2 shown]
.LBB275_4:
	s_load_dwordx2 s[4:5], s[4:5], 0x90
	v_cmp_neq_f64_e64 s10, s[14:15], 0
	v_cmp_neq_f64_e64 s11, s[16:17], 0
	v_add_co_u32 v22, s8, s8, v1
	v_add_co_ci_u32_e64 v23, null, s9, 0, s8
	s_waitcnt lgkmcnt(0)
	s_lshl_b64 s[4:5], s[4:5], 4
	s_add_u32 s2, s2, s4
	s_addc_u32 s3, s3, s5
	v_add_co_u32 v0, s5, s6, v0
	v_add_co_ci_u32_e64 v1, null, s7, 0, s5
	s_or_b32 s4, s10, s11
	s_and_b32 vcc_lo, exec_lo, s4
	s_cbranch_vccnz .LBB275_6
; %bb.5:
	v_mul_f64 v[20:21], s[40:41], v[16:17]
	v_mul_f64 v[26:27], s[38:39], v[16:17]
	v_mul_f64 v[36:37], s[40:41], v[4:5]
	v_mul_f64 v[38:39], s[38:39], v[4:5]
	v_mul_lo_u32 v24, v23, s26
	v_mul_lo_u32 v25, v22, s27
	v_mad_u64_u32 v[18:19], null, v22, s26, 0
	v_mul_f64 v[28:29], s[40:41], v[12:13]
	v_mul_f64 v[30:31], s[38:39], v[12:13]
	;; [unrolled: 1-line block ×4, first 2 shown]
	s_lshl_b64 s[4:5], s[26:27], 8
	v_lshlrev_b64 v[40:41], 4, v[0:1]
	v_add3_u32 v19, v19, v25, v24
	v_lshlrev_b64 v[18:19], 4, v[18:19]
	v_fma_f64 v[24:25], s[38:39], v[14:15], -v[20:21]
	v_fma_f64 v[26:27], s[40:41], v[14:15], v[26:27]
	v_fma_f64 v[36:37], s[38:39], v[2:3], -v[36:37]
	v_add_co_u32 v42, vcc_lo, s2, v18
	v_add_co_ci_u32_e64 v43, null, s3, v19, vcc_lo
	v_fma_f64 v[18:19], s[40:41], v[2:3], v[38:39]
	v_fma_f64 v[28:29], s[38:39], v[10:11], -v[28:29]
	v_fma_f64 v[30:31], s[40:41], v[10:11], v[30:31]
	v_fma_f64 v[32:33], s[38:39], v[6:7], -v[32:33]
	v_fma_f64 v[34:35], s[40:41], v[6:7], v[34:35]
	v_add_co_u32 v20, vcc_lo, v42, s4
	v_add_co_ci_u32_e64 v21, null, s5, v43, vcc_lo
	v_add_co_u32 v38, vcc_lo, v20, v40
	v_add_co_ci_u32_e64 v39, null, v21, v41, vcc_lo
	;; [unrolled: 2-line block ×4, first 2 shown]
	flat_store_dwordx4 v[40:41], v[24:27]
	flat_store_dwordx4 v[40:41], v[28:31] offset:256
	flat_store_dwordx4 v[38:39], v[32:35]
	flat_store_dwordx2 v[38:39], v[36:37] offset:256
	s_cbranch_execz .LBB275_7
	s_branch .LBB275_8
.LBB275_6:
                                        ; implicit-def: $vgpr18_vgpr19
                                        ; implicit-def: $vgpr20_vgpr21
.LBB275_7:
	v_mul_lo_u32 v20, v23, s20
	v_mul_lo_u32 v21, v22, s21
	v_mad_u64_u32 v[18:19], null, v22, s20, 0
	s_lshl_b64 s[4:5], s[22:23], 4
	v_lshlrev_b64 v[0:1], 4, v[0:1]
	s_add_u32 s0, s0, s4
	s_addc_u32 s1, s1, s5
	v_mul_f64 v[26:27], s[40:41], v[16:17]
	v_mul_f64 v[16:17], s[38:39], v[16:17]
	v_add3_u32 v19, v19, v21, v20
	v_mul_lo_u32 v23, v23, s26
	v_lshlrev_b64 v[18:19], 4, v[18:19]
	v_add_co_u32 v30, vcc_lo, s0, v18
	v_add_co_ci_u32_e64 v31, null, s1, v19, vcc_lo
	s_lshl_b64 s[0:1], s[20:21], 8
	v_add_co_u32 v24, vcc_lo, v30, v0
	v_add_co_ci_u32_e64 v25, null, v31, v1, vcc_lo
	v_fma_f64 v[26:27], s[38:39], v[14:15], -v[26:27]
	v_fma_f64 v[16:17], s[40:41], v[14:15], v[16:17]
	flat_load_dwordx4 v[18:21], v[24:25]
	s_waitcnt vmcnt(0) lgkmcnt(0)
	v_mul_f64 v[28:29], s[16:17], v[20:21]
	v_mul_f64 v[20:21], s[14:15], v[20:21]
	v_fma_f64 v[14:15], s[14:15], v[18:19], -v[28:29]
	v_fma_f64 v[18:19], s[16:17], v[18:19], v[20:21]
	v_mul_lo_u32 v28, v22, s27
	v_mad_u64_u32 v[20:21], null, v22, s26, 0
	v_add3_u32 v21, v21, v28, v23
	v_add_f64 v[14:15], v[26:27], v[14:15]
	v_add_f64 v[16:17], v[16:17], v[18:19]
	v_lshlrev_b64 v[18:19], 4, v[20:21]
	v_mul_f64 v[20:21], s[40:41], v[12:13]
	v_mul_f64 v[12:13], s[38:39], v[12:13]
	v_add_co_u32 v26, vcc_lo, s2, v18
	v_add_co_ci_u32_e64 v27, null, s3, v19, vcc_lo
	v_add_co_u32 v18, vcc_lo, v26, v0
	v_add_co_ci_u32_e64 v19, null, v27, v1, vcc_lo
	flat_store_dwordx4 v[18:19], v[14:17]
	flat_load_dwordx4 v[14:17], v[24:25] offset:256
	v_fma_f64 v[20:21], s[38:39], v[10:11], -v[20:21]
	v_fma_f64 v[12:13], s[40:41], v[10:11], v[12:13]
	s_waitcnt vmcnt(0) lgkmcnt(0)
	v_mul_f64 v[22:23], s[16:17], v[16:17]
	v_mul_f64 v[16:17], s[14:15], v[16:17]
	v_fma_f64 v[10:11], s[14:15], v[14:15], -v[22:23]
	v_fma_f64 v[14:15], s[16:17], v[14:15], v[16:17]
	v_mul_f64 v[16:17], s[40:41], v[8:9]
	v_mul_f64 v[8:9], s[38:39], v[8:9]
	v_add_f64 v[10:11], v[20:21], v[10:11]
	v_add_f64 v[12:13], v[12:13], v[14:15]
	v_add_co_u32 v14, vcc_lo, v30, s0
	v_add_co_ci_u32_e64 v15, null, s1, v31, vcc_lo
	v_fma_f64 v[16:17], s[38:39], v[6:7], -v[16:17]
	v_add_co_u32 v14, vcc_lo, v14, v0
	v_add_co_ci_u32_e64 v15, null, v15, v1, vcc_lo
	v_fma_f64 v[8:9], s[40:41], v[6:7], v[8:9]
	s_lshl_b64 s[0:1], s[26:27], 8
	flat_store_dwordx4 v[18:19], v[10:13] offset:256
	flat_load_dwordx4 v[10:13], v[14:15]
	s_waitcnt vmcnt(0) lgkmcnt(0)
	v_mul_f64 v[18:19], s[16:17], v[12:13]
	v_mul_f64 v[12:13], s[14:15], v[12:13]
	v_fma_f64 v[6:7], s[14:15], v[10:11], -v[18:19]
	v_fma_f64 v[10:11], s[16:17], v[10:11], v[12:13]
	v_add_f64 v[6:7], v[16:17], v[6:7]
	v_add_f64 v[8:9], v[8:9], v[10:11]
	v_add_co_u32 v10, vcc_lo, v26, s0
	v_add_co_ci_u32_e64 v11, null, s1, v27, vcc_lo
	v_add_co_u32 v0, vcc_lo, v10, v0
	v_add_co_ci_u32_e64 v1, null, v11, v1, vcc_lo
	v_mul_f64 v[10:11], s[40:41], v[4:5]
	v_mul_f64 v[4:5], s[38:39], v[4:5]
	v_add_co_u32 v20, vcc_lo, 0x100, v0
	v_add_co_ci_u32_e64 v21, null, 0, v1, vcc_lo
	flat_store_dwordx4 v[0:1], v[6:9]
	flat_load_dwordx4 v[6:9], v[14:15] offset:256
	v_fma_f64 v[10:11], s[38:39], v[2:3], -v[10:11]
	v_fma_f64 v[2:3], s[40:41], v[2:3], v[4:5]
	s_waitcnt vmcnt(0) lgkmcnt(0)
	v_mul_f64 v[12:13], s[16:17], v[8:9]
	v_mul_f64 v[8:9], s[14:15], v[8:9]
	v_fma_f64 v[4:5], s[14:15], v[6:7], -v[12:13]
	v_fma_f64 v[6:7], s[16:17], v[6:7], v[8:9]
	v_add_f64 v[4:5], v[10:11], v[4:5]
	v_add_f64 v[18:19], v[2:3], v[6:7]
	flat_store_dwordx2 v[0:1], v[4:5] offset:256
.LBB275_8:
	flat_store_dwordx2 v[20:21], v[18:19] offset:8
	s_endpgm
	.section	.rodata,"a",@progbits
	.p2align	6, 0x0
	.amdhsa_kernel _ZN12_GLOBAL__N_127rocblas_gemm_batched_kernelI19rocblas_complex_numIdELi16ELi16ELi32ELi32ELi8ELi32ELi8ELi8ELi32ELc84ELc84EKPKS2_S5_KPS2_EEvlllT_PT11_llSA_llS8_PT12_llPT13_lli
		.amdhsa_group_segment_fixed_size 8192
		.amdhsa_private_segment_fixed_size 0
		.amdhsa_kernarg_size 156
		.amdhsa_user_sgpr_count 6
		.amdhsa_user_sgpr_private_segment_buffer 1
		.amdhsa_user_sgpr_dispatch_ptr 0
		.amdhsa_user_sgpr_queue_ptr 0
		.amdhsa_user_sgpr_kernarg_segment_ptr 1
		.amdhsa_user_sgpr_dispatch_id 0
		.amdhsa_user_sgpr_flat_scratch_init 0
		.amdhsa_user_sgpr_private_segment_size 0
		.amdhsa_wavefront_size32 1
		.amdhsa_uses_dynamic_stack 0
		.amdhsa_system_sgpr_private_segment_wavefront_offset 0
		.amdhsa_system_sgpr_workgroup_id_x 1
		.amdhsa_system_sgpr_workgroup_id_y 1
		.amdhsa_system_sgpr_workgroup_id_z 1
		.amdhsa_system_sgpr_workgroup_info 0
		.amdhsa_system_vgpr_workitem_id 1
		.amdhsa_next_free_vgpr 162
		.amdhsa_next_free_sgpr 52
		.amdhsa_reserve_vcc 1
		.amdhsa_reserve_flat_scratch 0
		.amdhsa_float_round_mode_32 0
		.amdhsa_float_round_mode_16_64 0
		.amdhsa_float_denorm_mode_32 3
		.amdhsa_float_denorm_mode_16_64 3
		.amdhsa_dx10_clamp 1
		.amdhsa_ieee_mode 1
		.amdhsa_fp16_overflow 0
		.amdhsa_workgroup_processor_mode 1
		.amdhsa_memory_ordered 1
		.amdhsa_forward_progress 1
		.amdhsa_shared_vgpr_count 0
		.amdhsa_exception_fp_ieee_invalid_op 0
		.amdhsa_exception_fp_denorm_src 0
		.amdhsa_exception_fp_ieee_div_zero 0
		.amdhsa_exception_fp_ieee_overflow 0
		.amdhsa_exception_fp_ieee_underflow 0
		.amdhsa_exception_fp_ieee_inexact 0
		.amdhsa_exception_int_div_zero 0
	.end_amdhsa_kernel
	.section	.text._ZN12_GLOBAL__N_127rocblas_gemm_batched_kernelI19rocblas_complex_numIdELi16ELi16ELi32ELi32ELi8ELi32ELi8ELi8ELi32ELc84ELc84EKPKS2_S5_KPS2_EEvlllT_PT11_llSA_llS8_PT12_llPT13_lli,"axG",@progbits,_ZN12_GLOBAL__N_127rocblas_gemm_batched_kernelI19rocblas_complex_numIdELi16ELi16ELi32ELi32ELi8ELi32ELi8ELi8ELi32ELc84ELc84EKPKS2_S5_KPS2_EEvlllT_PT11_llSA_llS8_PT12_llPT13_lli,comdat
.Lfunc_end275:
	.size	_ZN12_GLOBAL__N_127rocblas_gemm_batched_kernelI19rocblas_complex_numIdELi16ELi16ELi32ELi32ELi8ELi32ELi8ELi8ELi32ELc84ELc84EKPKS2_S5_KPS2_EEvlllT_PT11_llSA_llS8_PT12_llPT13_lli, .Lfunc_end275-_ZN12_GLOBAL__N_127rocblas_gemm_batched_kernelI19rocblas_complex_numIdELi16ELi16ELi32ELi32ELi8ELi32ELi8ELi8ELi32ELc84ELc84EKPKS2_S5_KPS2_EEvlllT_PT11_llSA_llS8_PT12_llPT13_lli
                                        ; -- End function
	.set _ZN12_GLOBAL__N_127rocblas_gemm_batched_kernelI19rocblas_complex_numIdELi16ELi16ELi32ELi32ELi8ELi32ELi8ELi8ELi32ELc84ELc84EKPKS2_S5_KPS2_EEvlllT_PT11_llSA_llS8_PT12_llPT13_lli.num_vgpr, 162
	.set _ZN12_GLOBAL__N_127rocblas_gemm_batched_kernelI19rocblas_complex_numIdELi16ELi16ELi32ELi32ELi8ELi32ELi8ELi8ELi32ELc84ELc84EKPKS2_S5_KPS2_EEvlllT_PT11_llSA_llS8_PT12_llPT13_lli.num_agpr, 0
	.set _ZN12_GLOBAL__N_127rocblas_gemm_batched_kernelI19rocblas_complex_numIdELi16ELi16ELi32ELi32ELi8ELi32ELi8ELi8ELi32ELc84ELc84EKPKS2_S5_KPS2_EEvlllT_PT11_llSA_llS8_PT12_llPT13_lli.numbered_sgpr, 52
	.set _ZN12_GLOBAL__N_127rocblas_gemm_batched_kernelI19rocblas_complex_numIdELi16ELi16ELi32ELi32ELi8ELi32ELi8ELi8ELi32ELc84ELc84EKPKS2_S5_KPS2_EEvlllT_PT11_llSA_llS8_PT12_llPT13_lli.num_named_barrier, 0
	.set _ZN12_GLOBAL__N_127rocblas_gemm_batched_kernelI19rocblas_complex_numIdELi16ELi16ELi32ELi32ELi8ELi32ELi8ELi8ELi32ELc84ELc84EKPKS2_S5_KPS2_EEvlllT_PT11_llSA_llS8_PT12_llPT13_lli.private_seg_size, 0
	.set _ZN12_GLOBAL__N_127rocblas_gemm_batched_kernelI19rocblas_complex_numIdELi16ELi16ELi32ELi32ELi8ELi32ELi8ELi8ELi32ELc84ELc84EKPKS2_S5_KPS2_EEvlllT_PT11_llSA_llS8_PT12_llPT13_lli.uses_vcc, 1
	.set _ZN12_GLOBAL__N_127rocblas_gemm_batched_kernelI19rocblas_complex_numIdELi16ELi16ELi32ELi32ELi8ELi32ELi8ELi8ELi32ELc84ELc84EKPKS2_S5_KPS2_EEvlllT_PT11_llSA_llS8_PT12_llPT13_lli.uses_flat_scratch, 0
	.set _ZN12_GLOBAL__N_127rocblas_gemm_batched_kernelI19rocblas_complex_numIdELi16ELi16ELi32ELi32ELi8ELi32ELi8ELi8ELi32ELc84ELc84EKPKS2_S5_KPS2_EEvlllT_PT11_llSA_llS8_PT12_llPT13_lli.has_dyn_sized_stack, 0
	.set _ZN12_GLOBAL__N_127rocblas_gemm_batched_kernelI19rocblas_complex_numIdELi16ELi16ELi32ELi32ELi8ELi32ELi8ELi8ELi32ELc84ELc84EKPKS2_S5_KPS2_EEvlllT_PT11_llSA_llS8_PT12_llPT13_lli.has_recursion, 0
	.set _ZN12_GLOBAL__N_127rocblas_gemm_batched_kernelI19rocblas_complex_numIdELi16ELi16ELi32ELi32ELi8ELi32ELi8ELi8ELi32ELc84ELc84EKPKS2_S5_KPS2_EEvlllT_PT11_llSA_llS8_PT12_llPT13_lli.has_indirect_call, 0
	.section	.AMDGPU.csdata,"",@progbits
; Kernel info:
; codeLenInByte = 3548
; TotalNumSgprs: 54
; NumVgprs: 162
; ScratchSize: 0
; MemoryBound: 0
; FloatMode: 240
; IeeeMode: 1
; LDSByteSize: 8192 bytes/workgroup (compile time only)
; SGPRBlocks: 0
; VGPRBlocks: 20
; NumSGPRsForWavesPerEU: 54
; NumVGPRsForWavesPerEU: 162
; Occupancy: 5
; WaveLimiterHint : 1
; COMPUTE_PGM_RSRC2:SCRATCH_EN: 0
; COMPUTE_PGM_RSRC2:USER_SGPR: 6
; COMPUTE_PGM_RSRC2:TRAP_HANDLER: 0
; COMPUTE_PGM_RSRC2:TGID_X_EN: 1
; COMPUTE_PGM_RSRC2:TGID_Y_EN: 1
; COMPUTE_PGM_RSRC2:TGID_Z_EN: 1
; COMPUTE_PGM_RSRC2:TIDIG_COMP_CNT: 1
	.section	.text._ZN12_GLOBAL__N_127rocblas_gemm_batched_kernelI19rocblas_complex_numIdELi16ELi16ELi32ELi32ELi8ELi32ELi8ELi8ELi32ELc67ELc67EKPKS2_S5_KPS2_EEvlllT_PT11_llSA_llS8_PT12_llPT13_lli,"axG",@progbits,_ZN12_GLOBAL__N_127rocblas_gemm_batched_kernelI19rocblas_complex_numIdELi16ELi16ELi32ELi32ELi8ELi32ELi8ELi8ELi32ELc67ELc67EKPKS2_S5_KPS2_EEvlllT_PT11_llSA_llS8_PT12_llPT13_lli,comdat
	.globl	_ZN12_GLOBAL__N_127rocblas_gemm_batched_kernelI19rocblas_complex_numIdELi16ELi16ELi32ELi32ELi8ELi32ELi8ELi8ELi32ELc67ELc67EKPKS2_S5_KPS2_EEvlllT_PT11_llSA_llS8_PT12_llPT13_lli ; -- Begin function _ZN12_GLOBAL__N_127rocblas_gemm_batched_kernelI19rocblas_complex_numIdELi16ELi16ELi32ELi32ELi8ELi32ELi8ELi8ELi32ELc67ELc67EKPKS2_S5_KPS2_EEvlllT_PT11_llSA_llS8_PT12_llPT13_lli
	.p2align	8
	.type	_ZN12_GLOBAL__N_127rocblas_gemm_batched_kernelI19rocblas_complex_numIdELi16ELi16ELi32ELi32ELi8ELi32ELi8ELi8ELi32ELc67ELc67EKPKS2_S5_KPS2_EEvlllT_PT11_llSA_llS8_PT12_llPT13_lli,@function
_ZN12_GLOBAL__N_127rocblas_gemm_batched_kernelI19rocblas_complex_numIdELi16ELi16ELi32ELi32ELi8ELi32ELi8ELi8ELi32ELc67ELc67EKPKS2_S5_KPS2_EEvlllT_PT11_llSA_llS8_PT12_llPT13_lli: ; @_ZN12_GLOBAL__N_127rocblas_gemm_batched_kernelI19rocblas_complex_numIdELi16ELi16ELi32ELi32ELi8ELi32ELi8ELi8ELi32ELc67ELc67EKPKS2_S5_KPS2_EEvlllT_PT11_llSA_llS8_PT12_llPT13_lli
; %bb.0:
	s_clause 0x1
	s_load_dwordx16 s[12:27], s[4:5], 0x50
	s_load_dwordx16 s[36:51], s[4:5], 0x10
	s_mov_b32 s9, 0
	s_mov_b32 s10, s7
	s_lshl_b64 s[0:1], s[8:9], 3
	s_waitcnt lgkmcnt(0)
	s_add_u32 s2, s18, s0
	s_addc_u32 s3, s19, s1
	s_add_u32 s8, s24, s0
	s_addc_u32 s9, s25, s1
	s_load_dwordx2 s[2:3], s[2:3], 0x0
	s_load_dwordx2 s[8:9], s[8:9], 0x0
	v_cmp_lt_i64_e64 s18, s[36:37], 1
	s_ashr_i32 s7, s6, 31
	s_ashr_i32 s11, s10, 31
	s_lshl_b64 s[6:7], s[6:7], 5
	s_lshl_b64 s[10:11], s[10:11], 5
	s_and_b32 vcc_lo, exec_lo, s18
	s_cbranch_vccnz .LBB276_3
; %bb.1:
	v_lshl_add_u32 v6, v1, 4, v0
	v_and_b32_e32 v7, 7, v0
	v_mov_b32_e32 v18, 0
	v_mov_b32_e32 v14, 0
	v_lshlrev_b32_e32 v24, 4, v0
	v_lshrrev_b32_e32 v8, 3, v6
	v_and_b32_e32 v9, 31, v6
	v_lshrrev_b32_e32 v12, 5, v6
	v_lshlrev_b32_e32 v13, 4, v7
	v_lshl_add_u32 v25, v1, 7, 0x1000
	v_add_co_u32 v2, s18, v8, s10
	v_add_co_ci_u32_e64 v3, null, 0, s11, s18
	v_add_co_u32 v4, s18, s6, v9
	v_add_co_ci_u32_e64 v5, null, s7, 0, s18
	v_mad_u64_u32 v[2:3], null, s50, v7, v[2:3]
	v_mul_lo_u32 v10, s45, v4
	v_mul_lo_u32 v11, s44, v5
	v_mad_u64_u32 v[4:5], null, s44, v4, 0
	s_add_u32 s18, s42, s0
	s_addc_u32 s19, s43, s1
	s_add_u32 s0, s48, s0
	s_addc_u32 s1, s49, s1
	s_load_dwordx2 s[18:19], s[18:19], 0x0
	s_load_dwordx2 s[0:1], s[0:1], 0x0
	v_add3_u32 v5, v5, v11, v10
	v_mad_u64_u32 v[6:7], null, s51, v7, v[3:4]
	v_lshlrev_b32_e32 v3, 4, v9
	s_lshl_b64 s[24:25], s[46:47], 4
	v_lshlrev_b64 v[4:5], 4, v[4:5]
	v_lshl_or_b32 v7, v8, 7, v13
	s_lshl_b64 s[12:13], s[12:13], 4
	v_lshl_or_b32 v22, v12, 9, v3
	v_mov_b32_e32 v3, v6
	v_lshlrev_b32_e32 v6, 4, v12
	v_add_co_u32 v4, vcc_lo, v4, s24
	v_add_co_ci_u32_e64 v5, null, s25, v5, vcc_lo
	v_lshlrev_b64 v[20:21], 4, v[2:3]
	v_add_co_u32 v4, vcc_lo, v4, v6
	v_add_co_ci_u32_e64 v5, null, 0, v5, vcc_lo
	s_waitcnt lgkmcnt(0)
	s_add_u32 s0, s0, s12
	v_add_co_u32 v16, vcc_lo, s18, v4
	v_add_co_ci_u32_e64 v17, null, s19, v5, vcc_lo
	s_addc_u32 s1, s1, s13
	v_add_co_u32 v20, vcc_lo, s0, v20
	v_add_nc_u32_e32 v23, 0x1000, v7
	v_mov_b32_e32 v4, 0
	v_mov_b32_e32 v2, 0
	;; [unrolled: 1-line block ×14, first 2 shown]
	v_add_co_ci_u32_e64 v21, null, s1, v21, vcc_lo
	s_lshl_b64 s[12:13], s[50:51], 7
	s_mov_b64 s[18:19], 0
.LBB276_2:                              ; =>This Inner Loop Header: Depth=1
	flat_load_dwordx4 v[26:29], v[16:17]
	s_add_u32 s18, s18, 8
	s_addc_u32 s19, s19, 0
	v_add_co_u32 v16, vcc_lo, 0x80, v16
	v_cmp_lt_i64_e64 s0, s[18:19], s[36:37]
	v_add_co_ci_u32_e64 v17, null, 0, v17, vcc_lo
	s_and_b32 vcc_lo, exec_lo, s0
	s_waitcnt vmcnt(0) lgkmcnt(0)
	v_xor_b32_e32 v29, 0x80000000, v29
	ds_write_b128 v22, v[26:29]
	flat_load_dwordx4 v[26:29], v[20:21]
	v_add_co_u32 v20, s0, v20, s12
	v_add_co_ci_u32_e64 v21, null, s13, v21, s0
	s_waitcnt vmcnt(0) lgkmcnt(0)
	v_xor_b32_e32 v29, 0x80000000, v29
	ds_write_b128 v23, v[26:29]
	s_waitcnt lgkmcnt(0)
	s_barrier
	buffer_gl0_inv
	ds_read_b128 v[26:29], v24
	ds_read_b128 v[30:33], v24 offset:256
	ds_read_b128 v[34:37], v25
	ds_read_b128 v[38:41], v25 offset:16
	ds_read_b128 v[42:45], v25 offset:2048
	;; [unrolled: 1-line block ×28, first 2 shown]
	s_waitcnt lgkmcnt(28)
	v_mul_f64 v[150:151], v[36:37], v[28:29]
	v_mul_f64 v[154:155], v[36:37], v[32:33]
	;; [unrolled: 1-line block ×4, first 2 shown]
	v_fma_f64 v[150:151], v[34:35], v[26:27], -v[150:151]
	v_fma_f64 v[34:35], v[34:35], v[30:31], -v[154:155]
	s_waitcnt lgkmcnt(26)
	v_mul_f64 v[154:155], v[44:45], v[28:29]
	v_mul_f64 v[28:29], v[42:43], v[28:29]
	v_fma_f64 v[152:153], v[36:37], v[26:27], v[152:153]
	v_fma_f64 v[36:37], v[36:37], v[30:31], v[156:157]
	v_add_f64 v[14:15], v[14:15], v[150:151]
	v_add_f64 v[10:11], v[10:11], v[34:35]
	v_fma_f64 v[154:155], v[42:43], v[26:27], -v[154:155]
	v_fma_f64 v[156:157], v[44:45], v[26:27], v[28:29]
	v_mul_f64 v[26:27], v[44:45], v[32:33]
	v_mul_f64 v[28:29], v[42:43], v[32:33]
	v_add_f64 v[18:19], v[152:153], v[18:19]
	v_add_f64 v[12:13], v[36:37], v[12:13]
	s_waitcnt lgkmcnt(16)
	v_mul_f64 v[34:35], v[64:65], v[84:85]
	v_mul_f64 v[36:37], v[62:63], v[84:85]
	s_waitcnt lgkmcnt(15)
	v_mul_f64 v[150:151], v[62:63], v[88:89]
	s_waitcnt lgkmcnt(12)
	v_mul_f64 v[152:153], v[98:99], v[96:97]
	v_add_f64 v[6:7], v[6:7], v[154:155]
	v_add_f64 v[8:9], v[156:157], v[8:9]
	v_fma_f64 v[32:33], v[42:43], v[30:31], -v[26:27]
	v_fma_f64 v[30:31], v[44:45], v[30:31], v[28:29]
	v_mul_f64 v[26:27], v[40:41], v[52:53]
	v_mul_f64 v[28:29], v[38:39], v[52:53]
	v_mul_f64 v[42:43], v[40:41], v[56:57]
	v_mul_f64 v[44:45], v[38:39], v[56:57]
	v_fma_f64 v[34:35], v[62:63], v[82:83], -v[34:35]
	v_fma_f64 v[36:37], v[64:65], v[82:83], v[36:37]
	v_add_f64 v[2:3], v[2:3], v[32:33]
	v_add_f64 v[4:5], v[30:31], v[4:5]
	v_fma_f64 v[158:159], v[38:39], v[50:51], -v[26:27]
	v_fma_f64 v[160:161], v[40:41], v[50:51], v[28:29]
	v_mul_f64 v[26:27], v[48:49], v[52:53]
	v_mul_f64 v[28:29], v[46:47], v[52:53]
	v_fma_f64 v[38:39], v[38:39], v[54:55], -v[42:43]
	v_fma_f64 v[40:41], v[40:41], v[54:55], v[44:45]
	v_mul_f64 v[52:53], v[58:59], v[72:73]
	v_mul_f64 v[30:31], v[80:81], v[84:85]
	;; [unrolled: 1-line block ×4, first 2 shown]
	v_add_f64 v[14:15], v[14:15], v[158:159]
	v_add_f64 v[18:19], v[160:161], v[18:19]
	v_fma_f64 v[42:43], v[46:47], v[50:51], -v[26:27]
	v_fma_f64 v[44:45], v[48:49], v[50:51], v[28:29]
	v_mul_f64 v[26:27], v[48:49], v[56:57]
	v_mul_f64 v[28:29], v[46:47], v[56:57]
	;; [unrolled: 1-line block ×3, first 2 shown]
	v_fma_f64 v[52:53], v[60:61], v[70:71], v[52:53]
	v_add_f64 v[10:11], v[10:11], v[38:39]
	v_add_f64 v[12:13], v[40:41], v[12:13]
	s_waitcnt lgkmcnt(10)
	v_mul_f64 v[38:39], v[108:109], v[92:93]
	v_mul_f64 v[40:41], v[106:107], v[92:93]
	v_fma_f64 v[30:31], v[78:79], v[82:83], -v[30:31]
	v_fma_f64 v[32:33], v[80:81], v[82:83], v[32:33]
	s_waitcnt lgkmcnt(8)
	v_mul_f64 v[82:83], v[112:113], v[116:117]
	v_add_f64 v[6:7], v[6:7], v[42:43]
	v_add_f64 v[8:9], v[44:45], v[8:9]
	v_fma_f64 v[46:47], v[46:47], v[54:55], -v[26:27]
	v_fma_f64 v[48:49], v[48:49], v[54:55], v[28:29]
	v_mul_f64 v[26:27], v[60:61], v[68:69]
	v_mul_f64 v[28:29], v[58:59], v[68:69]
	v_fma_f64 v[50:51], v[58:59], v[70:71], -v[50:51]
	v_mul_f64 v[42:43], v[108:109], v[96:97]
	v_mul_f64 v[44:45], v[106:107], v[96:97]
	v_add_f64 v[12:13], v[52:53], v[12:13]
	s_waitcnt lgkmcnt(7)
	v_mul_f64 v[52:53], v[110:111], v[120:121]
	v_fma_f64 v[38:39], v[106:107], v[90:91], -v[38:39]
	v_fma_f64 v[40:41], v[108:109], v[90:91], v[40:41]
	v_add_f64 v[2:3], v[2:3], v[46:47]
	v_add_f64 v[4:5], v[48:49], v[4:5]
	v_fma_f64 v[54:55], v[58:59], v[66:67], -v[26:27]
	v_fma_f64 v[56:57], v[60:61], v[66:67], v[28:29]
	v_mul_f64 v[26:27], v[76:77], v[68:69]
	v_mul_f64 v[28:29], v[74:75], v[68:69]
	;; [unrolled: 1-line block ×3, first 2 shown]
	v_add_f64 v[10:11], v[10:11], v[50:51]
	v_mul_f64 v[46:47], v[104:105], v[116:117]
	v_mul_f64 v[48:49], v[102:103], v[116:117]
	;; [unrolled: 1-line block ×3, first 2 shown]
	v_fma_f64 v[42:43], v[106:107], v[94:95], -v[42:43]
	v_fma_f64 v[44:45], v[108:109], v[94:95], v[44:45]
	v_fma_f64 v[52:53], v[112:113], v[118:119], v[52:53]
	v_add_f64 v[14:15], v[14:15], v[54:55]
	v_add_f64 v[18:19], v[56:57], v[18:19]
	v_fma_f64 v[58:59], v[74:75], v[66:67], -v[26:27]
	v_fma_f64 v[60:61], v[76:77], v[66:67], v[28:29]
	v_mul_f64 v[66:67], v[76:77], v[72:73]
	v_mul_f64 v[72:73], v[64:65], v[88:89]
	v_fma_f64 v[68:69], v[76:77], v[70:71], v[68:69]
	v_mul_f64 v[76:77], v[100:101], v[92:93]
	v_fma_f64 v[64:65], v[64:65], v[86:87], v[150:151]
	v_mul_f64 v[92:93], v[102:103], v[120:121]
	s_waitcnt lgkmcnt(4)
	v_mul_f64 v[54:55], v[132:133], v[124:125]
	v_mul_f64 v[56:57], v[130:131], v[124:125]
	v_fma_f64 v[46:47], v[102:103], v[114:115], -v[46:47]
	v_fma_f64 v[48:49], v[104:105], v[114:115], v[48:49]
	v_fma_f64 v[50:51], v[110:111], v[118:119], -v[50:51]
	ds_read_b128 v[26:29], v24 offset:3840
	s_waitcnt lgkmcnt(0)
	s_barrier
	buffer_gl0_inv
	v_add_f64 v[14:15], v[14:15], v[34:35]
	v_add_f64 v[18:19], v[36:37], v[18:19]
	;; [unrolled: 1-line block ×4, first 2 shown]
	v_fma_f64 v[66:67], v[74:75], v[70:71], -v[66:67]
	v_mul_f64 v[70:71], v[80:81], v[88:89]
	v_mul_f64 v[74:75], v[78:79], v[88:89]
	;; [unrolled: 1-line block ×3, first 2 shown]
	v_fma_f64 v[62:63], v[62:63], v[86:87], -v[72:73]
	v_add_f64 v[4:5], v[68:69], v[4:5]
	v_mul_f64 v[72:73], v[104:105], v[120:121]
	v_mul_f64 v[96:97], v[110:111], v[116:117]
	v_fma_f64 v[68:69], v[100:101], v[90:91], v[84:85]
	v_add_f64 v[12:13], v[64:65], v[12:13]
	v_mul_f64 v[58:59], v[132:133], v[128:129]
	v_mul_f64 v[60:61], v[130:131], v[128:129]
	;; [unrolled: 1-line block ×5, first 2 shown]
	v_fma_f64 v[54:55], v[130:131], v[122:123], -v[54:55]
	v_fma_f64 v[56:57], v[132:133], v[122:123], v[56:57]
	v_add_f64 v[6:7], v[6:7], v[30:31]
	v_add_f64 v[8:9], v[32:33], v[8:9]
	v_add_f64 v[2:3], v[2:3], v[66:67]
	v_fma_f64 v[70:71], v[78:79], v[86:87], -v[70:71]
	v_fma_f64 v[74:75], v[80:81], v[86:87], v[74:75]
	v_fma_f64 v[66:67], v[98:99], v[90:91], -v[76:77]
	v_fma_f64 v[76:77], v[98:99], v[94:95], -v[88:89]
	v_fma_f64 v[78:79], v[100:101], v[94:95], v[152:153]
	v_add_f64 v[10:11], v[10:11], v[62:63]
	v_mul_f64 v[30:31], v[140:141], v[124:125]
	v_mul_f64 v[32:33], v[138:139], v[124:125]
	v_fma_f64 v[80:81], v[112:113], v[114:115], v[96:97]
	v_add_f64 v[18:19], v[68:69], v[18:19]
	v_mul_f64 v[62:63], v[136:137], v[148:149]
	v_fma_f64 v[58:59], v[130:131], v[126:127], -v[58:59]
	v_fma_f64 v[60:61], v[132:133], v[126:127], v[60:61]
	v_fma_f64 v[34:35], v[138:139], v[126:127], -v[34:35]
	v_fma_f64 v[36:37], v[140:141], v[126:127], v[36:37]
	v_add_f64 v[6:7], v[6:7], v[38:39]
	v_add_f64 v[8:9], v[40:41], v[8:9]
	v_mul_f64 v[38:39], v[136:137], v[28:29]
	v_add_f64 v[2:3], v[2:3], v[70:71]
	v_add_f64 v[4:5], v[74:75], v[4:5]
	v_fma_f64 v[70:71], v[102:103], v[118:119], -v[72:73]
	v_fma_f64 v[72:73], v[104:105], v[118:119], v[92:93]
	v_fma_f64 v[74:75], v[110:111], v[114:115], -v[82:83]
	v_add_f64 v[14:15], v[14:15], v[66:67]
	v_add_f64 v[10:11], v[10:11], v[76:77]
	;; [unrolled: 1-line block ×3, first 2 shown]
	v_mul_f64 v[40:41], v[134:135], v[28:29]
	v_mul_f64 v[66:67], v[144:145], v[28:29]
	v_mul_f64 v[28:29], v[142:143], v[28:29]
	v_fma_f64 v[30:31], v[138:139], v[122:123], -v[30:31]
	v_fma_f64 v[32:33], v[140:141], v[122:123], v[32:33]
	v_add_f64 v[18:19], v[48:49], v[18:19]
	v_fma_f64 v[48:49], v[136:137], v[146:147], v[64:65]
	v_add_f64 v[8:9], v[80:81], v[8:9]
	v_fma_f64 v[38:39], v[134:135], v[26:27], -v[38:39]
	v_add_f64 v[2:3], v[2:3], v[42:43]
	v_add_f64 v[4:5], v[44:45], v[4:5]
	v_mul_f64 v[42:43], v[144:145], v[148:149]
	v_mul_f64 v[44:45], v[142:143], v[148:149]
	v_add_f64 v[6:7], v[6:7], v[74:75]
	v_add_f64 v[14:15], v[14:15], v[46:47]
	v_add_f64 v[10:11], v[10:11], v[70:71]
	v_add_f64 v[12:13], v[72:73], v[12:13]
	v_fma_f64 v[46:47], v[134:135], v[146:147], -v[62:63]
	v_fma_f64 v[40:41], v[136:137], v[26:27], v[40:41]
	v_add_f64 v[18:19], v[56:57], v[18:19]
	v_add_f64 v[8:9], v[32:33], v[8:9]
	;; [unrolled: 1-line block ×4, first 2 shown]
	v_fma_f64 v[42:43], v[142:143], v[146:147], -v[42:43]
	v_fma_f64 v[44:45], v[144:145], v[146:147], v[44:45]
	v_fma_f64 v[50:51], v[142:143], v[26:27], -v[66:67]
	v_fma_f64 v[26:27], v[144:145], v[26:27], v[28:29]
	v_add_f64 v[14:15], v[14:15], v[54:55]
	v_add_f64 v[10:11], v[10:11], v[58:59]
	;; [unrolled: 1-line block ×14, first 2 shown]
	s_cbranch_vccnz .LBB276_2
	s_branch .LBB276_4
.LBB276_3:
	v_mov_b32_e32 v14, 0
	v_mov_b32_e32 v18, 0
	;; [unrolled: 1-line block ×16, first 2 shown]
.LBB276_4:
	s_load_dwordx2 s[0:1], s[4:5], 0x90
	v_cmp_neq_f64_e64 s4, s[14:15], 0
	v_cmp_neq_f64_e64 s5, s[16:17], 0
	v_add_co_u32 v22, s10, s10, v1
	v_add_co_ci_u32_e64 v23, null, s11, 0, s10
	s_waitcnt lgkmcnt(0)
	s_lshl_b64 s[0:1], s[0:1], 4
	s_add_u32 s0, s8, s0
	s_addc_u32 s1, s9, s1
	s_or_b32 s4, s4, s5
	v_add_co_u32 v0, s5, s6, v0
	v_add_co_ci_u32_e64 v1, null, s7, 0, s5
	s_and_b32 vcc_lo, exec_lo, s4
	s_cbranch_vccnz .LBB276_6
; %bb.5:
	v_mul_f64 v[20:21], s[40:41], v[18:19]
	v_mul_f64 v[26:27], s[38:39], v[18:19]
	;; [unrolled: 1-line block ×4, first 2 shown]
	v_mul_lo_u32 v24, v23, s26
	v_mul_lo_u32 v25, v22, s27
	v_mad_u64_u32 v[16:17], null, v22, s26, 0
	v_mul_f64 v[28:29], s[40:41], v[12:13]
	v_mul_f64 v[30:31], s[38:39], v[12:13]
	;; [unrolled: 1-line block ×4, first 2 shown]
	s_lshl_b64 s[4:5], s[26:27], 8
	v_lshlrev_b64 v[40:41], 4, v[0:1]
	v_add3_u32 v17, v17, v25, v24
	v_lshlrev_b64 v[16:17], 4, v[16:17]
	v_fma_f64 v[24:25], s[38:39], v[14:15], -v[20:21]
	v_fma_f64 v[26:27], s[40:41], v[14:15], v[26:27]
	v_fma_f64 v[36:37], s[38:39], v[2:3], -v[36:37]
	v_add_co_u32 v42, vcc_lo, s0, v16
	v_add_co_ci_u32_e64 v43, null, s1, v17, vcc_lo
	v_fma_f64 v[16:17], s[40:41], v[2:3], v[38:39]
	v_fma_f64 v[28:29], s[38:39], v[10:11], -v[28:29]
	v_fma_f64 v[30:31], s[40:41], v[10:11], v[30:31]
	v_fma_f64 v[32:33], s[38:39], v[6:7], -v[32:33]
	v_fma_f64 v[34:35], s[40:41], v[6:7], v[34:35]
	v_add_co_u32 v20, vcc_lo, v42, s4
	v_add_co_ci_u32_e64 v21, null, s5, v43, vcc_lo
	v_add_co_u32 v38, vcc_lo, v20, v40
	v_add_co_ci_u32_e64 v39, null, v21, v41, vcc_lo
	;; [unrolled: 2-line block ×4, first 2 shown]
	flat_store_dwordx4 v[40:41], v[24:27]
	flat_store_dwordx4 v[40:41], v[28:31] offset:256
	flat_store_dwordx4 v[38:39], v[32:35]
	flat_store_dwordx2 v[38:39], v[36:37] offset:256
	s_cbranch_execz .LBB276_7
	s_branch .LBB276_8
.LBB276_6:
                                        ; implicit-def: $vgpr16_vgpr17
                                        ; implicit-def: $vgpr20_vgpr21
.LBB276_7:
	v_mul_lo_u32 v20, v23, s20
	v_mul_lo_u32 v21, v22, s21
	v_mad_u64_u32 v[16:17], null, v22, s20, 0
	s_lshl_b64 s[4:5], s[22:23], 4
	v_lshlrev_b64 v[0:1], 4, v[0:1]
	s_add_u32 s2, s2, s4
	s_addc_u32 s3, s3, s5
	v_add3_u32 v17, v17, v21, v20
	v_lshlrev_b64 v[16:17], 4, v[16:17]
	v_add_co_u32 v30, vcc_lo, s2, v16
	v_add_co_ci_u32_e64 v31, null, s3, v17, vcc_lo
	v_mul_f64 v[16:17], s[40:41], v[18:19]
	v_add_co_u32 v20, vcc_lo, v30, v0
	v_add_co_ci_u32_e64 v21, null, v31, v1, vcc_lo
	v_mul_f64 v[18:19], s[38:39], v[18:19]
	flat_load_dwordx4 v[24:27], v[20:21]
	v_fma_f64 v[16:17], s[38:39], v[14:15], -v[16:17]
	v_fma_f64 v[18:19], s[40:41], v[14:15], v[18:19]
	s_waitcnt vmcnt(0) lgkmcnt(0)
	v_mul_f64 v[28:29], s[16:17], v[26:27]
	v_mul_f64 v[26:27], s[14:15], v[26:27]
	v_fma_f64 v[14:15], s[14:15], v[24:25], -v[28:29]
	v_fma_f64 v[24:25], s[16:17], v[24:25], v[26:27]
	v_mul_lo_u32 v26, v23, s26
	v_mul_lo_u32 v27, v22, s27
	v_mad_u64_u32 v[22:23], null, v22, s26, 0
	v_add3_u32 v23, v23, v27, v26
	v_add_f64 v[14:15], v[16:17], v[14:15]
	v_add_f64 v[16:17], v[18:19], v[24:25]
	v_lshlrev_b64 v[18:19], 4, v[22:23]
	v_add_co_u32 v24, vcc_lo, s0, v18
	v_add_co_ci_u32_e64 v25, null, s1, v19, vcc_lo
	s_lshl_b64 s[0:1], s[20:21], 8
	v_add_co_u32 v18, vcc_lo, v24, v0
	v_add_co_ci_u32_e64 v19, null, v25, v1, vcc_lo
	flat_store_dwordx4 v[18:19], v[14:17]
	flat_load_dwordx4 v[14:17], v[20:21] offset:256
	v_mul_f64 v[20:21], s[40:41], v[12:13]
	v_mul_f64 v[12:13], s[38:39], v[12:13]
	v_fma_f64 v[20:21], s[38:39], v[10:11], -v[20:21]
	v_fma_f64 v[12:13], s[40:41], v[10:11], v[12:13]
	s_waitcnt vmcnt(0) lgkmcnt(0)
	v_mul_f64 v[22:23], s[16:17], v[16:17]
	v_mul_f64 v[16:17], s[14:15], v[16:17]
	v_fma_f64 v[10:11], s[14:15], v[14:15], -v[22:23]
	v_fma_f64 v[14:15], s[16:17], v[14:15], v[16:17]
	v_mul_f64 v[16:17], s[40:41], v[8:9]
	v_mul_f64 v[8:9], s[38:39], v[8:9]
	v_add_f64 v[10:11], v[20:21], v[10:11]
	v_add_f64 v[12:13], v[12:13], v[14:15]
	v_add_co_u32 v14, vcc_lo, v30, s0
	v_add_co_ci_u32_e64 v15, null, s1, v31, vcc_lo
	v_fma_f64 v[16:17], s[38:39], v[6:7], -v[16:17]
	v_add_co_u32 v14, vcc_lo, v14, v0
	v_add_co_ci_u32_e64 v15, null, v15, v1, vcc_lo
	v_fma_f64 v[8:9], s[40:41], v[6:7], v[8:9]
	s_lshl_b64 s[0:1], s[26:27], 8
	flat_store_dwordx4 v[18:19], v[10:13] offset:256
	flat_load_dwordx4 v[10:13], v[14:15]
	s_waitcnt vmcnt(0) lgkmcnt(0)
	v_mul_f64 v[18:19], s[16:17], v[12:13]
	v_mul_f64 v[12:13], s[14:15], v[12:13]
	v_fma_f64 v[6:7], s[14:15], v[10:11], -v[18:19]
	v_fma_f64 v[10:11], s[16:17], v[10:11], v[12:13]
	v_add_f64 v[6:7], v[16:17], v[6:7]
	v_add_f64 v[8:9], v[8:9], v[10:11]
	v_add_co_u32 v10, vcc_lo, v24, s0
	v_add_co_ci_u32_e64 v11, null, s1, v25, vcc_lo
	v_add_co_u32 v0, vcc_lo, v10, v0
	v_add_co_ci_u32_e64 v1, null, v11, v1, vcc_lo
	v_mul_f64 v[10:11], s[40:41], v[4:5]
	v_mul_f64 v[4:5], s[38:39], v[4:5]
	v_add_co_u32 v20, vcc_lo, 0x100, v0
	v_add_co_ci_u32_e64 v21, null, 0, v1, vcc_lo
	flat_store_dwordx4 v[0:1], v[6:9]
	flat_load_dwordx4 v[6:9], v[14:15] offset:256
	v_fma_f64 v[10:11], s[38:39], v[2:3], -v[10:11]
	v_fma_f64 v[2:3], s[40:41], v[2:3], v[4:5]
	s_waitcnt vmcnt(0) lgkmcnt(0)
	v_mul_f64 v[12:13], s[16:17], v[8:9]
	v_mul_f64 v[8:9], s[14:15], v[8:9]
	v_fma_f64 v[4:5], s[14:15], v[6:7], -v[12:13]
	v_fma_f64 v[6:7], s[16:17], v[6:7], v[8:9]
	v_add_f64 v[4:5], v[10:11], v[4:5]
	v_add_f64 v[16:17], v[2:3], v[6:7]
	flat_store_dwordx2 v[0:1], v[4:5] offset:256
.LBB276_8:
	flat_store_dwordx2 v[20:21], v[16:17] offset:8
	s_endpgm
	.section	.rodata,"a",@progbits
	.p2align	6, 0x0
	.amdhsa_kernel _ZN12_GLOBAL__N_127rocblas_gemm_batched_kernelI19rocblas_complex_numIdELi16ELi16ELi32ELi32ELi8ELi32ELi8ELi8ELi32ELc67ELc67EKPKS2_S5_KPS2_EEvlllT_PT11_llSA_llS8_PT12_llPT13_lli
		.amdhsa_group_segment_fixed_size 8192
		.amdhsa_private_segment_fixed_size 0
		.amdhsa_kernarg_size 156
		.amdhsa_user_sgpr_count 6
		.amdhsa_user_sgpr_private_segment_buffer 1
		.amdhsa_user_sgpr_dispatch_ptr 0
		.amdhsa_user_sgpr_queue_ptr 0
		.amdhsa_user_sgpr_kernarg_segment_ptr 1
		.amdhsa_user_sgpr_dispatch_id 0
		.amdhsa_user_sgpr_flat_scratch_init 0
		.amdhsa_user_sgpr_private_segment_size 0
		.amdhsa_wavefront_size32 1
		.amdhsa_uses_dynamic_stack 0
		.amdhsa_system_sgpr_private_segment_wavefront_offset 0
		.amdhsa_system_sgpr_workgroup_id_x 1
		.amdhsa_system_sgpr_workgroup_id_y 1
		.amdhsa_system_sgpr_workgroup_id_z 1
		.amdhsa_system_sgpr_workgroup_info 0
		.amdhsa_system_vgpr_workitem_id 1
		.amdhsa_next_free_vgpr 162
		.amdhsa_next_free_sgpr 52
		.amdhsa_reserve_vcc 1
		.amdhsa_reserve_flat_scratch 0
		.amdhsa_float_round_mode_32 0
		.amdhsa_float_round_mode_16_64 0
		.amdhsa_float_denorm_mode_32 3
		.amdhsa_float_denorm_mode_16_64 3
		.amdhsa_dx10_clamp 1
		.amdhsa_ieee_mode 1
		.amdhsa_fp16_overflow 0
		.amdhsa_workgroup_processor_mode 1
		.amdhsa_memory_ordered 1
		.amdhsa_forward_progress 1
		.amdhsa_shared_vgpr_count 0
		.amdhsa_exception_fp_ieee_invalid_op 0
		.amdhsa_exception_fp_denorm_src 0
		.amdhsa_exception_fp_ieee_div_zero 0
		.amdhsa_exception_fp_ieee_overflow 0
		.amdhsa_exception_fp_ieee_underflow 0
		.amdhsa_exception_fp_ieee_inexact 0
		.amdhsa_exception_int_div_zero 0
	.end_amdhsa_kernel
	.section	.text._ZN12_GLOBAL__N_127rocblas_gemm_batched_kernelI19rocblas_complex_numIdELi16ELi16ELi32ELi32ELi8ELi32ELi8ELi8ELi32ELc67ELc67EKPKS2_S5_KPS2_EEvlllT_PT11_llSA_llS8_PT12_llPT13_lli,"axG",@progbits,_ZN12_GLOBAL__N_127rocblas_gemm_batched_kernelI19rocblas_complex_numIdELi16ELi16ELi32ELi32ELi8ELi32ELi8ELi8ELi32ELc67ELc67EKPKS2_S5_KPS2_EEvlllT_PT11_llSA_llS8_PT12_llPT13_lli,comdat
.Lfunc_end276:
	.size	_ZN12_GLOBAL__N_127rocblas_gemm_batched_kernelI19rocblas_complex_numIdELi16ELi16ELi32ELi32ELi8ELi32ELi8ELi8ELi32ELc67ELc67EKPKS2_S5_KPS2_EEvlllT_PT11_llSA_llS8_PT12_llPT13_lli, .Lfunc_end276-_ZN12_GLOBAL__N_127rocblas_gemm_batched_kernelI19rocblas_complex_numIdELi16ELi16ELi32ELi32ELi8ELi32ELi8ELi8ELi32ELc67ELc67EKPKS2_S5_KPS2_EEvlllT_PT11_llSA_llS8_PT12_llPT13_lli
                                        ; -- End function
	.set _ZN12_GLOBAL__N_127rocblas_gemm_batched_kernelI19rocblas_complex_numIdELi16ELi16ELi32ELi32ELi8ELi32ELi8ELi8ELi32ELc67ELc67EKPKS2_S5_KPS2_EEvlllT_PT11_llSA_llS8_PT12_llPT13_lli.num_vgpr, 162
	.set _ZN12_GLOBAL__N_127rocblas_gemm_batched_kernelI19rocblas_complex_numIdELi16ELi16ELi32ELi32ELi8ELi32ELi8ELi8ELi32ELc67ELc67EKPKS2_S5_KPS2_EEvlllT_PT11_llSA_llS8_PT12_llPT13_lli.num_agpr, 0
	.set _ZN12_GLOBAL__N_127rocblas_gemm_batched_kernelI19rocblas_complex_numIdELi16ELi16ELi32ELi32ELi8ELi32ELi8ELi8ELi32ELc67ELc67EKPKS2_S5_KPS2_EEvlllT_PT11_llSA_llS8_PT12_llPT13_lli.numbered_sgpr, 52
	.set _ZN12_GLOBAL__N_127rocblas_gemm_batched_kernelI19rocblas_complex_numIdELi16ELi16ELi32ELi32ELi8ELi32ELi8ELi8ELi32ELc67ELc67EKPKS2_S5_KPS2_EEvlllT_PT11_llSA_llS8_PT12_llPT13_lli.num_named_barrier, 0
	.set _ZN12_GLOBAL__N_127rocblas_gemm_batched_kernelI19rocblas_complex_numIdELi16ELi16ELi32ELi32ELi8ELi32ELi8ELi8ELi32ELc67ELc67EKPKS2_S5_KPS2_EEvlllT_PT11_llSA_llS8_PT12_llPT13_lli.private_seg_size, 0
	.set _ZN12_GLOBAL__N_127rocblas_gemm_batched_kernelI19rocblas_complex_numIdELi16ELi16ELi32ELi32ELi8ELi32ELi8ELi8ELi32ELc67ELc67EKPKS2_S5_KPS2_EEvlllT_PT11_llSA_llS8_PT12_llPT13_lli.uses_vcc, 1
	.set _ZN12_GLOBAL__N_127rocblas_gemm_batched_kernelI19rocblas_complex_numIdELi16ELi16ELi32ELi32ELi8ELi32ELi8ELi8ELi32ELc67ELc67EKPKS2_S5_KPS2_EEvlllT_PT11_llSA_llS8_PT12_llPT13_lli.uses_flat_scratch, 0
	.set _ZN12_GLOBAL__N_127rocblas_gemm_batched_kernelI19rocblas_complex_numIdELi16ELi16ELi32ELi32ELi8ELi32ELi8ELi8ELi32ELc67ELc67EKPKS2_S5_KPS2_EEvlllT_PT11_llSA_llS8_PT12_llPT13_lli.has_dyn_sized_stack, 0
	.set _ZN12_GLOBAL__N_127rocblas_gemm_batched_kernelI19rocblas_complex_numIdELi16ELi16ELi32ELi32ELi8ELi32ELi8ELi8ELi32ELc67ELc67EKPKS2_S5_KPS2_EEvlllT_PT11_llSA_llS8_PT12_llPT13_lli.has_recursion, 0
	.set _ZN12_GLOBAL__N_127rocblas_gemm_batched_kernelI19rocblas_complex_numIdELi16ELi16ELi32ELi32ELi8ELi32ELi8ELi8ELi32ELc67ELc67EKPKS2_S5_KPS2_EEvlllT_PT11_llSA_llS8_PT12_llPT13_lli.has_indirect_call, 0
	.section	.AMDGPU.csdata,"",@progbits
; Kernel info:
; codeLenInByte = 3564
; TotalNumSgprs: 54
; NumVgprs: 162
; ScratchSize: 0
; MemoryBound: 0
; FloatMode: 240
; IeeeMode: 1
; LDSByteSize: 8192 bytes/workgroup (compile time only)
; SGPRBlocks: 0
; VGPRBlocks: 20
; NumSGPRsForWavesPerEU: 54
; NumVGPRsForWavesPerEU: 162
; Occupancy: 5
; WaveLimiterHint : 1
; COMPUTE_PGM_RSRC2:SCRATCH_EN: 0
; COMPUTE_PGM_RSRC2:USER_SGPR: 6
; COMPUTE_PGM_RSRC2:TRAP_HANDLER: 0
; COMPUTE_PGM_RSRC2:TGID_X_EN: 1
; COMPUTE_PGM_RSRC2:TGID_Y_EN: 1
; COMPUTE_PGM_RSRC2:TGID_Z_EN: 1
; COMPUTE_PGM_RSRC2:TIDIG_COMP_CNT: 1
	.section	.text._ZN12_GLOBAL__N_127rocblas_gemm_batched_kernelI19rocblas_complex_numIdELi16ELi16ELi32ELi32ELi8ELi32ELi8ELi8ELi32ELc67ELc78EKPKS2_S5_KPS2_EEvlllT_PT11_llSA_llS8_PT12_llPT13_lli,"axG",@progbits,_ZN12_GLOBAL__N_127rocblas_gemm_batched_kernelI19rocblas_complex_numIdELi16ELi16ELi32ELi32ELi8ELi32ELi8ELi8ELi32ELc67ELc78EKPKS2_S5_KPS2_EEvlllT_PT11_llSA_llS8_PT12_llPT13_lli,comdat
	.globl	_ZN12_GLOBAL__N_127rocblas_gemm_batched_kernelI19rocblas_complex_numIdELi16ELi16ELi32ELi32ELi8ELi32ELi8ELi8ELi32ELc67ELc78EKPKS2_S5_KPS2_EEvlllT_PT11_llSA_llS8_PT12_llPT13_lli ; -- Begin function _ZN12_GLOBAL__N_127rocblas_gemm_batched_kernelI19rocblas_complex_numIdELi16ELi16ELi32ELi32ELi8ELi32ELi8ELi8ELi32ELc67ELc78EKPKS2_S5_KPS2_EEvlllT_PT11_llSA_llS8_PT12_llPT13_lli
	.p2align	8
	.type	_ZN12_GLOBAL__N_127rocblas_gemm_batched_kernelI19rocblas_complex_numIdELi16ELi16ELi32ELi32ELi8ELi32ELi8ELi8ELi32ELc67ELc78EKPKS2_S5_KPS2_EEvlllT_PT11_llSA_llS8_PT12_llPT13_lli,@function
_ZN12_GLOBAL__N_127rocblas_gemm_batched_kernelI19rocblas_complex_numIdELi16ELi16ELi32ELi32ELi8ELi32ELi8ELi8ELi32ELc67ELc78EKPKS2_S5_KPS2_EEvlllT_PT11_llSA_llS8_PT12_llPT13_lli: ; @_ZN12_GLOBAL__N_127rocblas_gemm_batched_kernelI19rocblas_complex_numIdELi16ELi16ELi32ELi32ELi8ELi32ELi8ELi8ELi32ELc67ELc78EKPKS2_S5_KPS2_EEvlllT_PT11_llSA_llS8_PT12_llPT13_lli
; %bb.0:
	s_clause 0x1
	s_load_dwordx16 s[12:27], s[4:5], 0x50
	s_load_dwordx16 s[36:51], s[4:5], 0x10
	s_mov_b32 s9, 0
	s_mov_b32 s28, s7
	s_lshl_b64 s[10:11], s[8:9], 3
	s_waitcnt lgkmcnt(0)
	s_add_u32 s0, s18, s10
	s_addc_u32 s1, s19, s11
	s_add_u32 s2, s24, s10
	s_addc_u32 s3, s25, s11
	s_load_dwordx2 s[0:1], s[0:1], 0x0
	s_load_dwordx2 s[2:3], s[2:3], 0x0
	v_cmp_lt_i64_e64 s8, s[36:37], 1
	s_ashr_i32 s7, s6, 31
	s_ashr_i32 s29, s28, 31
	s_lshl_b64 s[6:7], s[6:7], 5
	s_and_b32 vcc_lo, exec_lo, s8
	s_lshl_b64 s[8:9], s[28:29], 5
	s_cbranch_vccnz .LBB277_3
; %bb.1:
	v_lshl_add_u32 v4, v1, 4, v0
	v_and_b32_e32 v2, 7, v0
	s_add_u32 s18, s42, s10
	s_addc_u32 s19, s43, s11
	s_add_u32 s10, s48, s10
	v_and_b32_e32 v5, 31, v4
	v_lshrrev_b32_e32 v7, 3, v4
	v_lshlrev_b32_e32 v8, 4, v2
	v_lshrrev_b32_e32 v12, 5, v4
	s_load_dwordx2 s[18:19], s[18:19], 0x0
	v_add_co_u32 v3, s24, s6, v5
	v_add_co_ci_u32_e64 v6, null, s7, 0, s24
	v_add_co_u32 v10, s24, v7, s8
	v_mul_lo_u32 v9, s45, v3
	v_mul_lo_u32 v6, s44, v6
	v_mad_u64_u32 v[2:3], null, s44, v3, 0
	v_add_co_ci_u32_e64 v11, null, 0, s9, s24
	v_lshlrev_b32_e32 v13, 4, v5
	v_mad_u64_u32 v[4:5], null, s50, v10, 0
	s_addc_u32 s11, s49, s11
	v_add3_u32 v3, v3, v6, v9
	v_mul_lo_u32 v6, s51, v10
	v_mul_lo_u32 v9, s50, v11
	v_lshl_or_b32 v7, v7, 7, v8
	s_load_dwordx2 s[10:11], s[10:11], 0x0
	v_lshlrev_b64 v[2:3], 4, v[2:3]
	s_lshl_b64 s[24:25], s[46:47], 4
	s_lshl_b64 s[12:13], s[12:13], 4
	v_add_nc_u32_e32 v23, 0x1000, v7
	v_lshlrev_b32_e32 v7, 4, v12
	v_add3_u32 v5, v5, v9, v6
	v_add_co_u32 v6, vcc_lo, v2, s24
	v_add_co_ci_u32_e64 v9, null, s25, v3, vcc_lo
	v_lshlrev_b64 v[2:3], 4, v[4:5]
	v_add_co_u32 v4, vcc_lo, v6, v7
	v_add_co_ci_u32_e64 v5, null, 0, v9, vcc_lo
	v_lshl_or_b32 v22, v12, 9, v13
	v_add_co_u32 v2, vcc_lo, v2, s12
	v_add_co_ci_u32_e64 v3, null, s13, v3, vcc_lo
	s_waitcnt lgkmcnt(0)
	v_add_co_u32 v18, vcc_lo, s18, v4
	v_add_co_ci_u32_e64 v19, null, s19, v5, vcc_lo
	v_add_co_u32 v20, vcc_lo, v2, v8
	v_add_co_ci_u32_e64 v21, null, 0, v3, vcc_lo
	v_mov_b32_e32 v4, 0
	v_add_co_u32 v20, vcc_lo, s10, v20
	v_mov_b32_e32 v2, 0
	v_mov_b32_e32 v8, 0
	;; [unrolled: 1-line block ×7, first 2 shown]
	v_lshlrev_b32_e32 v24, 4, v0
	v_lshl_add_u32 v25, v1, 7, 0x1000
	v_mov_b32_e32 v5, 0
	v_mov_b32_e32 v3, 0
	;; [unrolled: 1-line block ×8, first 2 shown]
	v_add_co_ci_u32_e64 v21, null, s11, v21, vcc_lo
	s_mov_b64 s[10:11], 0
.LBB277_2:                              ; =>This Inner Loop Header: Depth=1
	flat_load_dwordx4 v[26:29], v[18:19]
	flat_load_dwordx4 v[30:33], v[20:21]
	s_add_u32 s10, s10, 8
	s_addc_u32 s11, s11, 0
	v_add_co_u32 v18, vcc_lo, 0x80, v18
	v_cmp_lt_i64_e64 s12, s[10:11], s[36:37]
	v_add_co_ci_u32_e64 v19, null, 0, v19, vcc_lo
	v_add_co_u32 v20, vcc_lo, 0x80, v20
	v_add_co_ci_u32_e64 v21, null, 0, v21, vcc_lo
	s_and_b32 vcc_lo, exec_lo, s12
	s_waitcnt vmcnt(1) lgkmcnt(1)
	v_xor_b32_e32 v29, 0x80000000, v29
	s_waitcnt vmcnt(0) lgkmcnt(0)
	ds_write2_b64 v23, v[30:31], v[32:33] offset1:1
	ds_write_b128 v22, v[26:29]
	s_waitcnt lgkmcnt(0)
	s_barrier
	buffer_gl0_inv
	ds_read_b128 v[26:29], v24
	ds_read_b128 v[30:33], v24 offset:256
	ds_read_b128 v[34:37], v25
	ds_read_b128 v[38:41], v25 offset:16
	ds_read_b128 v[42:45], v25 offset:2048
	ds_read_b128 v[46:49], v25 offset:2064
	ds_read_b128 v[50:53], v24 offset:512
	ds_read_b128 v[54:57], v24 offset:768
	ds_read_b128 v[58:61], v25 offset:32
	ds_read_b128 v[62:65], v25 offset:48
	ds_read_b128 v[66:69], v24 offset:1024
	ds_read_b128 v[70:73], v24 offset:1280
	ds_read_b128 v[74:77], v25 offset:2080
	ds_read_b128 v[78:81], v25 offset:2096
	ds_read_b128 v[82:85], v24 offset:1536
	ds_read_b128 v[86:89], v24 offset:1792
	ds_read_b128 v[90:93], v24 offset:2048
	ds_read_b128 v[94:97], v24 offset:2304
	ds_read_b128 v[98:101], v25 offset:64
	ds_read_b128 v[102:105], v25 offset:80
	ds_read_b128 v[106:109], v25 offset:2112
	ds_read_b128 v[110:113], v25 offset:2128
	ds_read_b128 v[114:117], v24 offset:2560
	ds_read_b128 v[118:121], v24 offset:2816
	ds_read_b128 v[122:125], v24 offset:3072
	ds_read_b128 v[126:129], v24 offset:3328
	ds_read_b128 v[130:133], v25 offset:96
	ds_read_b128 v[134:137], v25 offset:112
	ds_read_b128 v[138:141], v25 offset:2144
	ds_read_b128 v[142:145], v25 offset:2160
	ds_read_b128 v[146:149], v24 offset:3584
	s_waitcnt lgkmcnt(28)
	v_mul_f64 v[150:151], v[36:37], v[28:29]
	v_mul_f64 v[154:155], v[36:37], v[32:33]
	;; [unrolled: 1-line block ×4, first 2 shown]
	v_fma_f64 v[150:151], v[34:35], v[26:27], -v[150:151]
	v_fma_f64 v[34:35], v[34:35], v[30:31], -v[154:155]
	s_waitcnt lgkmcnt(26)
	v_mul_f64 v[154:155], v[44:45], v[28:29]
	v_mul_f64 v[28:29], v[42:43], v[28:29]
	v_fma_f64 v[152:153], v[36:37], v[26:27], v[152:153]
	v_fma_f64 v[36:37], v[36:37], v[30:31], v[156:157]
	v_add_f64 v[14:15], v[14:15], v[150:151]
	v_add_f64 v[10:11], v[10:11], v[34:35]
	v_fma_f64 v[154:155], v[42:43], v[26:27], -v[154:155]
	v_fma_f64 v[156:157], v[44:45], v[26:27], v[28:29]
	v_mul_f64 v[26:27], v[44:45], v[32:33]
	v_mul_f64 v[28:29], v[42:43], v[32:33]
	v_add_f64 v[16:17], v[152:153], v[16:17]
	v_add_f64 v[12:13], v[36:37], v[12:13]
	s_waitcnt lgkmcnt(16)
	v_mul_f64 v[34:35], v[64:65], v[84:85]
	v_mul_f64 v[36:37], v[62:63], v[84:85]
	s_waitcnt lgkmcnt(15)
	v_mul_f64 v[150:151], v[62:63], v[88:89]
	s_waitcnt lgkmcnt(12)
	v_mul_f64 v[152:153], v[98:99], v[96:97]
	v_add_f64 v[6:7], v[6:7], v[154:155]
	v_add_f64 v[8:9], v[156:157], v[8:9]
	v_fma_f64 v[32:33], v[42:43], v[30:31], -v[26:27]
	v_fma_f64 v[30:31], v[44:45], v[30:31], v[28:29]
	v_mul_f64 v[26:27], v[40:41], v[52:53]
	v_mul_f64 v[28:29], v[38:39], v[52:53]
	;; [unrolled: 1-line block ×4, first 2 shown]
	v_fma_f64 v[34:35], v[62:63], v[82:83], -v[34:35]
	v_fma_f64 v[36:37], v[64:65], v[82:83], v[36:37]
	v_add_f64 v[2:3], v[2:3], v[32:33]
	v_add_f64 v[4:5], v[30:31], v[4:5]
	v_fma_f64 v[158:159], v[38:39], v[50:51], -v[26:27]
	v_fma_f64 v[160:161], v[40:41], v[50:51], v[28:29]
	v_mul_f64 v[26:27], v[48:49], v[52:53]
	v_mul_f64 v[28:29], v[46:47], v[52:53]
	v_fma_f64 v[38:39], v[38:39], v[54:55], -v[42:43]
	v_fma_f64 v[40:41], v[40:41], v[54:55], v[44:45]
	v_mul_f64 v[52:53], v[58:59], v[72:73]
	v_mul_f64 v[30:31], v[80:81], v[84:85]
	v_mul_f64 v[32:33], v[78:79], v[84:85]
	v_mul_f64 v[84:85], v[98:99], v[92:93]
	v_add_f64 v[14:15], v[14:15], v[158:159]
	v_add_f64 v[16:17], v[160:161], v[16:17]
	v_fma_f64 v[42:43], v[46:47], v[50:51], -v[26:27]
	v_fma_f64 v[44:45], v[48:49], v[50:51], v[28:29]
	v_mul_f64 v[26:27], v[48:49], v[56:57]
	v_mul_f64 v[28:29], v[46:47], v[56:57]
	;; [unrolled: 1-line block ×3, first 2 shown]
	v_fma_f64 v[52:53], v[60:61], v[70:71], v[52:53]
	v_add_f64 v[10:11], v[10:11], v[38:39]
	v_add_f64 v[12:13], v[40:41], v[12:13]
	s_waitcnt lgkmcnt(10)
	v_mul_f64 v[38:39], v[108:109], v[92:93]
	v_mul_f64 v[40:41], v[106:107], v[92:93]
	v_fma_f64 v[30:31], v[78:79], v[82:83], -v[30:31]
	v_fma_f64 v[32:33], v[80:81], v[82:83], v[32:33]
	s_waitcnt lgkmcnt(8)
	v_mul_f64 v[82:83], v[112:113], v[116:117]
	v_add_f64 v[6:7], v[6:7], v[42:43]
	v_add_f64 v[8:9], v[44:45], v[8:9]
	v_fma_f64 v[46:47], v[46:47], v[54:55], -v[26:27]
	v_fma_f64 v[48:49], v[48:49], v[54:55], v[28:29]
	v_mul_f64 v[26:27], v[60:61], v[68:69]
	v_mul_f64 v[28:29], v[58:59], v[68:69]
	v_fma_f64 v[50:51], v[58:59], v[70:71], -v[50:51]
	v_mul_f64 v[42:43], v[108:109], v[96:97]
	v_mul_f64 v[44:45], v[106:107], v[96:97]
	v_add_f64 v[12:13], v[52:53], v[12:13]
	s_waitcnt lgkmcnt(7)
	v_mul_f64 v[52:53], v[110:111], v[120:121]
	v_fma_f64 v[38:39], v[106:107], v[90:91], -v[38:39]
	v_fma_f64 v[40:41], v[108:109], v[90:91], v[40:41]
	v_add_f64 v[2:3], v[2:3], v[46:47]
	v_add_f64 v[4:5], v[48:49], v[4:5]
	v_fma_f64 v[54:55], v[58:59], v[66:67], -v[26:27]
	v_fma_f64 v[56:57], v[60:61], v[66:67], v[28:29]
	v_mul_f64 v[26:27], v[76:77], v[68:69]
	v_mul_f64 v[28:29], v[74:75], v[68:69]
	;; [unrolled: 1-line block ×3, first 2 shown]
	v_add_f64 v[10:11], v[10:11], v[50:51]
	v_mul_f64 v[46:47], v[104:105], v[116:117]
	v_mul_f64 v[48:49], v[102:103], v[116:117]
	;; [unrolled: 1-line block ×3, first 2 shown]
	v_fma_f64 v[42:43], v[106:107], v[94:95], -v[42:43]
	v_fma_f64 v[44:45], v[108:109], v[94:95], v[44:45]
	v_fma_f64 v[52:53], v[112:113], v[118:119], v[52:53]
	v_add_f64 v[14:15], v[14:15], v[54:55]
	v_add_f64 v[16:17], v[56:57], v[16:17]
	v_fma_f64 v[58:59], v[74:75], v[66:67], -v[26:27]
	v_fma_f64 v[60:61], v[76:77], v[66:67], v[28:29]
	v_mul_f64 v[66:67], v[76:77], v[72:73]
	v_mul_f64 v[72:73], v[64:65], v[88:89]
	v_fma_f64 v[68:69], v[76:77], v[70:71], v[68:69]
	v_mul_f64 v[76:77], v[100:101], v[92:93]
	v_fma_f64 v[64:65], v[64:65], v[86:87], v[150:151]
	v_mul_f64 v[92:93], v[102:103], v[120:121]
	s_waitcnt lgkmcnt(4)
	v_mul_f64 v[54:55], v[132:133], v[124:125]
	v_mul_f64 v[56:57], v[130:131], v[124:125]
	v_fma_f64 v[46:47], v[102:103], v[114:115], -v[46:47]
	v_fma_f64 v[48:49], v[104:105], v[114:115], v[48:49]
	v_fma_f64 v[50:51], v[110:111], v[118:119], -v[50:51]
	ds_read_b128 v[26:29], v24 offset:3840
	s_waitcnt lgkmcnt(0)
	s_barrier
	buffer_gl0_inv
	v_add_f64 v[14:15], v[14:15], v[34:35]
	v_add_f64 v[16:17], v[36:37], v[16:17]
	;; [unrolled: 1-line block ×4, first 2 shown]
	v_fma_f64 v[66:67], v[74:75], v[70:71], -v[66:67]
	v_mul_f64 v[70:71], v[80:81], v[88:89]
	v_mul_f64 v[74:75], v[78:79], v[88:89]
	v_mul_f64 v[88:89], v[100:101], v[96:97]
	v_fma_f64 v[62:63], v[62:63], v[86:87], -v[72:73]
	v_add_f64 v[4:5], v[68:69], v[4:5]
	v_mul_f64 v[72:73], v[104:105], v[120:121]
	v_mul_f64 v[96:97], v[110:111], v[116:117]
	v_fma_f64 v[68:69], v[100:101], v[90:91], v[84:85]
	v_add_f64 v[12:13], v[64:65], v[12:13]
	v_mul_f64 v[58:59], v[132:133], v[128:129]
	v_mul_f64 v[60:61], v[130:131], v[128:129]
	;; [unrolled: 1-line block ×5, first 2 shown]
	v_fma_f64 v[54:55], v[130:131], v[122:123], -v[54:55]
	v_fma_f64 v[56:57], v[132:133], v[122:123], v[56:57]
	v_add_f64 v[6:7], v[6:7], v[30:31]
	v_add_f64 v[8:9], v[32:33], v[8:9]
	;; [unrolled: 1-line block ×3, first 2 shown]
	v_fma_f64 v[70:71], v[78:79], v[86:87], -v[70:71]
	v_fma_f64 v[74:75], v[80:81], v[86:87], v[74:75]
	v_fma_f64 v[66:67], v[98:99], v[90:91], -v[76:77]
	v_fma_f64 v[76:77], v[98:99], v[94:95], -v[88:89]
	v_fma_f64 v[78:79], v[100:101], v[94:95], v[152:153]
	v_add_f64 v[10:11], v[10:11], v[62:63]
	v_mul_f64 v[30:31], v[140:141], v[124:125]
	v_mul_f64 v[32:33], v[138:139], v[124:125]
	v_fma_f64 v[80:81], v[112:113], v[114:115], v[96:97]
	v_add_f64 v[16:17], v[68:69], v[16:17]
	v_mul_f64 v[62:63], v[136:137], v[148:149]
	v_fma_f64 v[58:59], v[130:131], v[126:127], -v[58:59]
	v_fma_f64 v[60:61], v[132:133], v[126:127], v[60:61]
	v_fma_f64 v[34:35], v[138:139], v[126:127], -v[34:35]
	v_fma_f64 v[36:37], v[140:141], v[126:127], v[36:37]
	v_add_f64 v[6:7], v[6:7], v[38:39]
	v_add_f64 v[8:9], v[40:41], v[8:9]
	v_mul_f64 v[38:39], v[136:137], v[28:29]
	v_add_f64 v[2:3], v[2:3], v[70:71]
	v_add_f64 v[4:5], v[74:75], v[4:5]
	v_fma_f64 v[70:71], v[102:103], v[118:119], -v[72:73]
	v_fma_f64 v[72:73], v[104:105], v[118:119], v[92:93]
	v_fma_f64 v[74:75], v[110:111], v[114:115], -v[82:83]
	v_add_f64 v[14:15], v[14:15], v[66:67]
	v_add_f64 v[10:11], v[10:11], v[76:77]
	;; [unrolled: 1-line block ×3, first 2 shown]
	v_mul_f64 v[40:41], v[134:135], v[28:29]
	v_mul_f64 v[66:67], v[144:145], v[28:29]
	;; [unrolled: 1-line block ×3, first 2 shown]
	v_fma_f64 v[30:31], v[138:139], v[122:123], -v[30:31]
	v_fma_f64 v[32:33], v[140:141], v[122:123], v[32:33]
	v_add_f64 v[16:17], v[48:49], v[16:17]
	v_fma_f64 v[48:49], v[136:137], v[146:147], v[64:65]
	v_add_f64 v[8:9], v[80:81], v[8:9]
	v_fma_f64 v[38:39], v[134:135], v[26:27], -v[38:39]
	v_add_f64 v[2:3], v[2:3], v[42:43]
	v_add_f64 v[4:5], v[44:45], v[4:5]
	v_mul_f64 v[42:43], v[144:145], v[148:149]
	v_mul_f64 v[44:45], v[142:143], v[148:149]
	v_add_f64 v[6:7], v[6:7], v[74:75]
	v_add_f64 v[14:15], v[14:15], v[46:47]
	;; [unrolled: 1-line block ×4, first 2 shown]
	v_fma_f64 v[46:47], v[134:135], v[146:147], -v[62:63]
	v_fma_f64 v[40:41], v[136:137], v[26:27], v[40:41]
	v_add_f64 v[16:17], v[56:57], v[16:17]
	v_add_f64 v[8:9], v[32:33], v[8:9]
	;; [unrolled: 1-line block ×4, first 2 shown]
	v_fma_f64 v[42:43], v[142:143], v[146:147], -v[42:43]
	v_fma_f64 v[44:45], v[144:145], v[146:147], v[44:45]
	v_fma_f64 v[50:51], v[142:143], v[26:27], -v[66:67]
	v_fma_f64 v[26:27], v[144:145], v[26:27], v[28:29]
	v_add_f64 v[14:15], v[14:15], v[54:55]
	v_add_f64 v[10:11], v[10:11], v[58:59]
	;; [unrolled: 1-line block ×14, first 2 shown]
	s_cbranch_vccnz .LBB277_2
	s_branch .LBB277_4
.LBB277_3:
	v_mov_b32_e32 v14, 0
	v_mov_b32_e32 v16, 0
	v_mov_b32_e32 v10, 0
	v_mov_b32_e32 v12, 0
	v_mov_b32_e32 v6, 0
	v_mov_b32_e32 v8, 0
	v_mov_b32_e32 v2, 0
	v_mov_b32_e32 v4, 0
	v_mov_b32_e32 v15, 0
	v_mov_b32_e32 v17, 0
	v_mov_b32_e32 v11, 0
	v_mov_b32_e32 v13, 0
	v_mov_b32_e32 v7, 0
	v_mov_b32_e32 v9, 0
	v_mov_b32_e32 v3, 0
	v_mov_b32_e32 v5, 0
.LBB277_4:
	s_load_dwordx2 s[4:5], s[4:5], 0x90
	v_cmp_neq_f64_e64 s10, s[14:15], 0
	v_cmp_neq_f64_e64 s11, s[16:17], 0
	v_add_co_u32 v22, s8, s8, v1
	v_add_co_ci_u32_e64 v23, null, s9, 0, s8
	s_waitcnt lgkmcnt(0)
	s_lshl_b64 s[4:5], s[4:5], 4
	s_add_u32 s2, s2, s4
	s_addc_u32 s3, s3, s5
	v_add_co_u32 v0, s5, s6, v0
	v_add_co_ci_u32_e64 v1, null, s7, 0, s5
	s_or_b32 s4, s10, s11
	s_and_b32 vcc_lo, exec_lo, s4
	s_cbranch_vccnz .LBB277_6
; %bb.5:
	v_mul_f64 v[20:21], s[40:41], v[16:17]
	v_mul_f64 v[26:27], s[38:39], v[16:17]
	;; [unrolled: 1-line block ×4, first 2 shown]
	v_mul_lo_u32 v24, v23, s26
	v_mul_lo_u32 v25, v22, s27
	v_mad_u64_u32 v[18:19], null, v22, s26, 0
	v_mul_f64 v[28:29], s[40:41], v[12:13]
	v_mul_f64 v[30:31], s[38:39], v[12:13]
	;; [unrolled: 1-line block ×4, first 2 shown]
	s_lshl_b64 s[4:5], s[26:27], 8
	v_lshlrev_b64 v[40:41], 4, v[0:1]
	v_add3_u32 v19, v19, v25, v24
	v_lshlrev_b64 v[18:19], 4, v[18:19]
	v_fma_f64 v[24:25], s[38:39], v[14:15], -v[20:21]
	v_fma_f64 v[26:27], s[40:41], v[14:15], v[26:27]
	v_fma_f64 v[36:37], s[38:39], v[2:3], -v[36:37]
	v_add_co_u32 v42, vcc_lo, s2, v18
	v_add_co_ci_u32_e64 v43, null, s3, v19, vcc_lo
	v_fma_f64 v[18:19], s[40:41], v[2:3], v[38:39]
	v_fma_f64 v[28:29], s[38:39], v[10:11], -v[28:29]
	v_fma_f64 v[30:31], s[40:41], v[10:11], v[30:31]
	v_fma_f64 v[32:33], s[38:39], v[6:7], -v[32:33]
	v_fma_f64 v[34:35], s[40:41], v[6:7], v[34:35]
	v_add_co_u32 v20, vcc_lo, v42, s4
	v_add_co_ci_u32_e64 v21, null, s5, v43, vcc_lo
	v_add_co_u32 v38, vcc_lo, v20, v40
	v_add_co_ci_u32_e64 v39, null, v21, v41, vcc_lo
	;; [unrolled: 2-line block ×4, first 2 shown]
	flat_store_dwordx4 v[40:41], v[24:27]
	flat_store_dwordx4 v[40:41], v[28:31] offset:256
	flat_store_dwordx4 v[38:39], v[32:35]
	flat_store_dwordx2 v[38:39], v[36:37] offset:256
	s_cbranch_execz .LBB277_7
	s_branch .LBB277_8
.LBB277_6:
                                        ; implicit-def: $vgpr18_vgpr19
                                        ; implicit-def: $vgpr20_vgpr21
.LBB277_7:
	v_mul_lo_u32 v20, v23, s20
	v_mul_lo_u32 v21, v22, s21
	v_mad_u64_u32 v[18:19], null, v22, s20, 0
	s_lshl_b64 s[4:5], s[22:23], 4
	v_lshlrev_b64 v[0:1], 4, v[0:1]
	s_add_u32 s0, s0, s4
	s_addc_u32 s1, s1, s5
	v_mul_f64 v[26:27], s[40:41], v[16:17]
	v_mul_f64 v[16:17], s[38:39], v[16:17]
	v_add3_u32 v19, v19, v21, v20
	v_mul_lo_u32 v23, v23, s26
	v_lshlrev_b64 v[18:19], 4, v[18:19]
	v_add_co_u32 v30, vcc_lo, s0, v18
	v_add_co_ci_u32_e64 v31, null, s1, v19, vcc_lo
	s_lshl_b64 s[0:1], s[20:21], 8
	v_add_co_u32 v24, vcc_lo, v30, v0
	v_add_co_ci_u32_e64 v25, null, v31, v1, vcc_lo
	v_fma_f64 v[26:27], s[38:39], v[14:15], -v[26:27]
	v_fma_f64 v[16:17], s[40:41], v[14:15], v[16:17]
	flat_load_dwordx4 v[18:21], v[24:25]
	s_waitcnt vmcnt(0) lgkmcnt(0)
	v_mul_f64 v[28:29], s[16:17], v[20:21]
	v_mul_f64 v[20:21], s[14:15], v[20:21]
	v_fma_f64 v[14:15], s[14:15], v[18:19], -v[28:29]
	v_fma_f64 v[18:19], s[16:17], v[18:19], v[20:21]
	v_mul_lo_u32 v28, v22, s27
	v_mad_u64_u32 v[20:21], null, v22, s26, 0
	v_add3_u32 v21, v21, v28, v23
	v_add_f64 v[14:15], v[26:27], v[14:15]
	v_add_f64 v[16:17], v[16:17], v[18:19]
	v_lshlrev_b64 v[18:19], 4, v[20:21]
	v_mul_f64 v[20:21], s[40:41], v[12:13]
	v_mul_f64 v[12:13], s[38:39], v[12:13]
	v_add_co_u32 v26, vcc_lo, s2, v18
	v_add_co_ci_u32_e64 v27, null, s3, v19, vcc_lo
	v_add_co_u32 v18, vcc_lo, v26, v0
	v_add_co_ci_u32_e64 v19, null, v27, v1, vcc_lo
	flat_store_dwordx4 v[18:19], v[14:17]
	flat_load_dwordx4 v[14:17], v[24:25] offset:256
	v_fma_f64 v[20:21], s[38:39], v[10:11], -v[20:21]
	v_fma_f64 v[12:13], s[40:41], v[10:11], v[12:13]
	s_waitcnt vmcnt(0) lgkmcnt(0)
	v_mul_f64 v[22:23], s[16:17], v[16:17]
	v_mul_f64 v[16:17], s[14:15], v[16:17]
	v_fma_f64 v[10:11], s[14:15], v[14:15], -v[22:23]
	v_fma_f64 v[14:15], s[16:17], v[14:15], v[16:17]
	v_mul_f64 v[16:17], s[40:41], v[8:9]
	v_mul_f64 v[8:9], s[38:39], v[8:9]
	v_add_f64 v[10:11], v[20:21], v[10:11]
	v_add_f64 v[12:13], v[12:13], v[14:15]
	v_add_co_u32 v14, vcc_lo, v30, s0
	v_add_co_ci_u32_e64 v15, null, s1, v31, vcc_lo
	v_fma_f64 v[16:17], s[38:39], v[6:7], -v[16:17]
	v_add_co_u32 v14, vcc_lo, v14, v0
	v_add_co_ci_u32_e64 v15, null, v15, v1, vcc_lo
	v_fma_f64 v[8:9], s[40:41], v[6:7], v[8:9]
	s_lshl_b64 s[0:1], s[26:27], 8
	flat_store_dwordx4 v[18:19], v[10:13] offset:256
	flat_load_dwordx4 v[10:13], v[14:15]
	s_waitcnt vmcnt(0) lgkmcnt(0)
	v_mul_f64 v[18:19], s[16:17], v[12:13]
	v_mul_f64 v[12:13], s[14:15], v[12:13]
	v_fma_f64 v[6:7], s[14:15], v[10:11], -v[18:19]
	v_fma_f64 v[10:11], s[16:17], v[10:11], v[12:13]
	v_add_f64 v[6:7], v[16:17], v[6:7]
	v_add_f64 v[8:9], v[8:9], v[10:11]
	v_add_co_u32 v10, vcc_lo, v26, s0
	v_add_co_ci_u32_e64 v11, null, s1, v27, vcc_lo
	v_add_co_u32 v0, vcc_lo, v10, v0
	v_add_co_ci_u32_e64 v1, null, v11, v1, vcc_lo
	v_mul_f64 v[10:11], s[40:41], v[4:5]
	v_mul_f64 v[4:5], s[38:39], v[4:5]
	v_add_co_u32 v20, vcc_lo, 0x100, v0
	v_add_co_ci_u32_e64 v21, null, 0, v1, vcc_lo
	flat_store_dwordx4 v[0:1], v[6:9]
	flat_load_dwordx4 v[6:9], v[14:15] offset:256
	v_fma_f64 v[10:11], s[38:39], v[2:3], -v[10:11]
	v_fma_f64 v[2:3], s[40:41], v[2:3], v[4:5]
	s_waitcnt vmcnt(0) lgkmcnt(0)
	v_mul_f64 v[12:13], s[16:17], v[8:9]
	v_mul_f64 v[8:9], s[14:15], v[8:9]
	v_fma_f64 v[4:5], s[14:15], v[6:7], -v[12:13]
	v_fma_f64 v[6:7], s[16:17], v[6:7], v[8:9]
	v_add_f64 v[4:5], v[10:11], v[4:5]
	v_add_f64 v[18:19], v[2:3], v[6:7]
	flat_store_dwordx2 v[0:1], v[4:5] offset:256
.LBB277_8:
	flat_store_dwordx2 v[20:21], v[18:19] offset:8
	s_endpgm
	.section	.rodata,"a",@progbits
	.p2align	6, 0x0
	.amdhsa_kernel _ZN12_GLOBAL__N_127rocblas_gemm_batched_kernelI19rocblas_complex_numIdELi16ELi16ELi32ELi32ELi8ELi32ELi8ELi8ELi32ELc67ELc78EKPKS2_S5_KPS2_EEvlllT_PT11_llSA_llS8_PT12_llPT13_lli
		.amdhsa_group_segment_fixed_size 8192
		.amdhsa_private_segment_fixed_size 0
		.amdhsa_kernarg_size 156
		.amdhsa_user_sgpr_count 6
		.amdhsa_user_sgpr_private_segment_buffer 1
		.amdhsa_user_sgpr_dispatch_ptr 0
		.amdhsa_user_sgpr_queue_ptr 0
		.amdhsa_user_sgpr_kernarg_segment_ptr 1
		.amdhsa_user_sgpr_dispatch_id 0
		.amdhsa_user_sgpr_flat_scratch_init 0
		.amdhsa_user_sgpr_private_segment_size 0
		.amdhsa_wavefront_size32 1
		.amdhsa_uses_dynamic_stack 0
		.amdhsa_system_sgpr_private_segment_wavefront_offset 0
		.amdhsa_system_sgpr_workgroup_id_x 1
		.amdhsa_system_sgpr_workgroup_id_y 1
		.amdhsa_system_sgpr_workgroup_id_z 1
		.amdhsa_system_sgpr_workgroup_info 0
		.amdhsa_system_vgpr_workitem_id 1
		.amdhsa_next_free_vgpr 162
		.amdhsa_next_free_sgpr 52
		.amdhsa_reserve_vcc 1
		.amdhsa_reserve_flat_scratch 0
		.amdhsa_float_round_mode_32 0
		.amdhsa_float_round_mode_16_64 0
		.amdhsa_float_denorm_mode_32 3
		.amdhsa_float_denorm_mode_16_64 3
		.amdhsa_dx10_clamp 1
		.amdhsa_ieee_mode 1
		.amdhsa_fp16_overflow 0
		.amdhsa_workgroup_processor_mode 1
		.amdhsa_memory_ordered 1
		.amdhsa_forward_progress 1
		.amdhsa_shared_vgpr_count 0
		.amdhsa_exception_fp_ieee_invalid_op 0
		.amdhsa_exception_fp_denorm_src 0
		.amdhsa_exception_fp_ieee_div_zero 0
		.amdhsa_exception_fp_ieee_overflow 0
		.amdhsa_exception_fp_ieee_underflow 0
		.amdhsa_exception_fp_ieee_inexact 0
		.amdhsa_exception_int_div_zero 0
	.end_amdhsa_kernel
	.section	.text._ZN12_GLOBAL__N_127rocblas_gemm_batched_kernelI19rocblas_complex_numIdELi16ELi16ELi32ELi32ELi8ELi32ELi8ELi8ELi32ELc67ELc78EKPKS2_S5_KPS2_EEvlllT_PT11_llSA_llS8_PT12_llPT13_lli,"axG",@progbits,_ZN12_GLOBAL__N_127rocblas_gemm_batched_kernelI19rocblas_complex_numIdELi16ELi16ELi32ELi32ELi8ELi32ELi8ELi8ELi32ELc67ELc78EKPKS2_S5_KPS2_EEvlllT_PT11_llSA_llS8_PT12_llPT13_lli,comdat
.Lfunc_end277:
	.size	_ZN12_GLOBAL__N_127rocblas_gemm_batched_kernelI19rocblas_complex_numIdELi16ELi16ELi32ELi32ELi8ELi32ELi8ELi8ELi32ELc67ELc78EKPKS2_S5_KPS2_EEvlllT_PT11_llSA_llS8_PT12_llPT13_lli, .Lfunc_end277-_ZN12_GLOBAL__N_127rocblas_gemm_batched_kernelI19rocblas_complex_numIdELi16ELi16ELi32ELi32ELi8ELi32ELi8ELi8ELi32ELc67ELc78EKPKS2_S5_KPS2_EEvlllT_PT11_llSA_llS8_PT12_llPT13_lli
                                        ; -- End function
	.set _ZN12_GLOBAL__N_127rocblas_gemm_batched_kernelI19rocblas_complex_numIdELi16ELi16ELi32ELi32ELi8ELi32ELi8ELi8ELi32ELc67ELc78EKPKS2_S5_KPS2_EEvlllT_PT11_llSA_llS8_PT12_llPT13_lli.num_vgpr, 162
	.set _ZN12_GLOBAL__N_127rocblas_gemm_batched_kernelI19rocblas_complex_numIdELi16ELi16ELi32ELi32ELi8ELi32ELi8ELi8ELi32ELc67ELc78EKPKS2_S5_KPS2_EEvlllT_PT11_llSA_llS8_PT12_llPT13_lli.num_agpr, 0
	.set _ZN12_GLOBAL__N_127rocblas_gemm_batched_kernelI19rocblas_complex_numIdELi16ELi16ELi32ELi32ELi8ELi32ELi8ELi8ELi32ELc67ELc78EKPKS2_S5_KPS2_EEvlllT_PT11_llSA_llS8_PT12_llPT13_lli.numbered_sgpr, 52
	.set _ZN12_GLOBAL__N_127rocblas_gemm_batched_kernelI19rocblas_complex_numIdELi16ELi16ELi32ELi32ELi8ELi32ELi8ELi8ELi32ELc67ELc78EKPKS2_S5_KPS2_EEvlllT_PT11_llSA_llS8_PT12_llPT13_lli.num_named_barrier, 0
	.set _ZN12_GLOBAL__N_127rocblas_gemm_batched_kernelI19rocblas_complex_numIdELi16ELi16ELi32ELi32ELi8ELi32ELi8ELi8ELi32ELc67ELc78EKPKS2_S5_KPS2_EEvlllT_PT11_llSA_llS8_PT12_llPT13_lli.private_seg_size, 0
	.set _ZN12_GLOBAL__N_127rocblas_gemm_batched_kernelI19rocblas_complex_numIdELi16ELi16ELi32ELi32ELi8ELi32ELi8ELi8ELi32ELc67ELc78EKPKS2_S5_KPS2_EEvlllT_PT11_llSA_llS8_PT12_llPT13_lli.uses_vcc, 1
	.set _ZN12_GLOBAL__N_127rocblas_gemm_batched_kernelI19rocblas_complex_numIdELi16ELi16ELi32ELi32ELi8ELi32ELi8ELi8ELi32ELc67ELc78EKPKS2_S5_KPS2_EEvlllT_PT11_llSA_llS8_PT12_llPT13_lli.uses_flat_scratch, 0
	.set _ZN12_GLOBAL__N_127rocblas_gemm_batched_kernelI19rocblas_complex_numIdELi16ELi16ELi32ELi32ELi8ELi32ELi8ELi8ELi32ELc67ELc78EKPKS2_S5_KPS2_EEvlllT_PT11_llSA_llS8_PT12_llPT13_lli.has_dyn_sized_stack, 0
	.set _ZN12_GLOBAL__N_127rocblas_gemm_batched_kernelI19rocblas_complex_numIdELi16ELi16ELi32ELi32ELi8ELi32ELi8ELi8ELi32ELc67ELc78EKPKS2_S5_KPS2_EEvlllT_PT11_llSA_llS8_PT12_llPT13_lli.has_recursion, 0
	.set _ZN12_GLOBAL__N_127rocblas_gemm_batched_kernelI19rocblas_complex_numIdELi16ELi16ELi32ELi32ELi8ELi32ELi8ELi8ELi32ELc67ELc78EKPKS2_S5_KPS2_EEvlllT_PT11_llSA_llS8_PT12_llPT13_lli.has_indirect_call, 0
	.section	.AMDGPU.csdata,"",@progbits
; Kernel info:
; codeLenInByte = 3592
; TotalNumSgprs: 54
; NumVgprs: 162
; ScratchSize: 0
; MemoryBound: 0
; FloatMode: 240
; IeeeMode: 1
; LDSByteSize: 8192 bytes/workgroup (compile time only)
; SGPRBlocks: 0
; VGPRBlocks: 20
; NumSGPRsForWavesPerEU: 54
; NumVGPRsForWavesPerEU: 162
; Occupancy: 5
; WaveLimiterHint : 1
; COMPUTE_PGM_RSRC2:SCRATCH_EN: 0
; COMPUTE_PGM_RSRC2:USER_SGPR: 6
; COMPUTE_PGM_RSRC2:TRAP_HANDLER: 0
; COMPUTE_PGM_RSRC2:TGID_X_EN: 1
; COMPUTE_PGM_RSRC2:TGID_Y_EN: 1
; COMPUTE_PGM_RSRC2:TGID_Z_EN: 1
; COMPUTE_PGM_RSRC2:TIDIG_COMP_CNT: 1
	.section	.text._ZN12_GLOBAL__N_127rocblas_gemm_batched_kernelI19rocblas_complex_numIdELi16ELi16ELi32ELi32ELi8ELi32ELi8ELi8ELi32ELc67ELc84EKPKS2_S5_KPS2_EEvlllT_PT11_llSA_llS8_PT12_llPT13_lli,"axG",@progbits,_ZN12_GLOBAL__N_127rocblas_gemm_batched_kernelI19rocblas_complex_numIdELi16ELi16ELi32ELi32ELi8ELi32ELi8ELi8ELi32ELc67ELc84EKPKS2_S5_KPS2_EEvlllT_PT11_llSA_llS8_PT12_llPT13_lli,comdat
	.globl	_ZN12_GLOBAL__N_127rocblas_gemm_batched_kernelI19rocblas_complex_numIdELi16ELi16ELi32ELi32ELi8ELi32ELi8ELi8ELi32ELc67ELc84EKPKS2_S5_KPS2_EEvlllT_PT11_llSA_llS8_PT12_llPT13_lli ; -- Begin function _ZN12_GLOBAL__N_127rocblas_gemm_batched_kernelI19rocblas_complex_numIdELi16ELi16ELi32ELi32ELi8ELi32ELi8ELi8ELi32ELc67ELc84EKPKS2_S5_KPS2_EEvlllT_PT11_llSA_llS8_PT12_llPT13_lli
	.p2align	8
	.type	_ZN12_GLOBAL__N_127rocblas_gemm_batched_kernelI19rocblas_complex_numIdELi16ELi16ELi32ELi32ELi8ELi32ELi8ELi8ELi32ELc67ELc84EKPKS2_S5_KPS2_EEvlllT_PT11_llSA_llS8_PT12_llPT13_lli,@function
_ZN12_GLOBAL__N_127rocblas_gemm_batched_kernelI19rocblas_complex_numIdELi16ELi16ELi32ELi32ELi8ELi32ELi8ELi8ELi32ELc67ELc84EKPKS2_S5_KPS2_EEvlllT_PT11_llSA_llS8_PT12_llPT13_lli: ; @_ZN12_GLOBAL__N_127rocblas_gemm_batched_kernelI19rocblas_complex_numIdELi16ELi16ELi32ELi32ELi8ELi32ELi8ELi8ELi32ELc67ELc84EKPKS2_S5_KPS2_EEvlllT_PT11_llSA_llS8_PT12_llPT13_lli
; %bb.0:
	s_clause 0x1
	s_load_dwordx16 s[12:27], s[4:5], 0x50
	s_load_dwordx16 s[36:51], s[4:5], 0x10
	s_mov_b32 s9, 0
	s_mov_b32 s28, s7
	s_lshl_b64 s[10:11], s[8:9], 3
	s_waitcnt lgkmcnt(0)
	s_add_u32 s0, s18, s10
	s_addc_u32 s1, s19, s11
	s_add_u32 s2, s24, s10
	s_addc_u32 s3, s25, s11
	s_load_dwordx2 s[0:1], s[0:1], 0x0
	s_load_dwordx2 s[2:3], s[2:3], 0x0
	v_cmp_lt_i64_e64 s8, s[36:37], 1
	s_ashr_i32 s7, s6, 31
	s_ashr_i32 s29, s28, 31
	s_lshl_b64 s[6:7], s[6:7], 5
	s_and_b32 vcc_lo, exec_lo, s8
	s_lshl_b64 s[8:9], s[28:29], 5
	s_cbranch_vccnz .LBB278_3
; %bb.1:
	v_lshl_add_u32 v6, v1, 4, v0
	v_and_b32_e32 v7, 7, v0
	v_mov_b32_e32 v16, 0
	v_mov_b32_e32 v14, 0
	v_lshlrev_b32_e32 v24, 4, v0
	v_lshrrev_b32_e32 v8, 3, v6
	v_and_b32_e32 v9, 31, v6
	v_lshrrev_b32_e32 v12, 5, v6
	v_lshlrev_b32_e32 v13, 4, v7
	v_lshl_add_u32 v25, v1, 7, 0x1000
	v_add_co_u32 v2, s18, v8, s8
	v_add_co_ci_u32_e64 v3, null, 0, s9, s18
	v_add_co_u32 v4, s18, s6, v9
	v_add_co_ci_u32_e64 v5, null, s7, 0, s18
	v_mad_u64_u32 v[2:3], null, s50, v7, v[2:3]
	v_mul_lo_u32 v10, s45, v4
	v_mul_lo_u32 v11, s44, v5
	v_mad_u64_u32 v[4:5], null, s44, v4, 0
	s_add_u32 s18, s42, s10
	s_addc_u32 s19, s43, s11
	s_add_u32 s10, s48, s10
	s_addc_u32 s11, s49, s11
	s_load_dwordx2 s[18:19], s[18:19], 0x0
	s_load_dwordx2 s[10:11], s[10:11], 0x0
	v_add3_u32 v5, v5, v11, v10
	v_mad_u64_u32 v[6:7], null, s51, v7, v[3:4]
	v_lshlrev_b32_e32 v3, 4, v9
	s_lshl_b64 s[24:25], s[46:47], 4
	v_lshlrev_b64 v[4:5], 4, v[4:5]
	v_lshl_or_b32 v7, v8, 7, v13
	s_lshl_b64 s[12:13], s[12:13], 4
	v_lshl_or_b32 v22, v12, 9, v3
	v_mov_b32_e32 v3, v6
	v_lshlrev_b32_e32 v6, 4, v12
	v_add_co_u32 v4, vcc_lo, v4, s24
	v_add_co_ci_u32_e64 v5, null, s25, v5, vcc_lo
	v_lshlrev_b64 v[20:21], 4, v[2:3]
	v_add_co_u32 v4, vcc_lo, v4, v6
	v_add_co_ci_u32_e64 v5, null, 0, v5, vcc_lo
	s_waitcnt lgkmcnt(0)
	s_add_u32 s10, s10, s12
	v_add_co_u32 v18, vcc_lo, s18, v4
	v_add_co_ci_u32_e64 v19, null, s19, v5, vcc_lo
	s_addc_u32 s11, s11, s13
	v_add_co_u32 v20, vcc_lo, s10, v20
	v_add_nc_u32_e32 v23, 0x1000, v7
	v_mov_b32_e32 v4, 0
	v_mov_b32_e32 v2, 0
	;; [unrolled: 1-line block ×14, first 2 shown]
	v_add_co_ci_u32_e64 v21, null, s11, v21, vcc_lo
	s_lshl_b64 s[10:11], s[50:51], 7
	s_mov_b64 s[12:13], 0
.LBB278_2:                              ; =>This Inner Loop Header: Depth=1
	flat_load_dwordx4 v[26:29], v[18:19]
	flat_load_dwordx4 v[30:33], v[20:21]
	s_add_u32 s12, s12, 8
	s_addc_u32 s13, s13, 0
	v_add_co_u32 v18, vcc_lo, 0x80, v18
	v_cmp_lt_i64_e64 s18, s[12:13], s[36:37]
	v_add_co_ci_u32_e64 v19, null, 0, v19, vcc_lo
	v_add_co_u32 v20, vcc_lo, v20, s10
	v_add_co_ci_u32_e64 v21, null, s11, v21, vcc_lo
	s_and_b32 vcc_lo, exec_lo, s18
	s_waitcnt vmcnt(1) lgkmcnt(1)
	v_xor_b32_e32 v29, 0x80000000, v29
	s_waitcnt vmcnt(0) lgkmcnt(0)
	ds_write2_b64 v23, v[30:31], v[32:33] offset1:1
	ds_write_b128 v22, v[26:29]
	s_waitcnt lgkmcnt(0)
	s_barrier
	buffer_gl0_inv
	ds_read_b128 v[26:29], v24
	ds_read_b128 v[30:33], v24 offset:256
	ds_read_b128 v[34:37], v25
	ds_read_b128 v[38:41], v25 offset:16
	ds_read_b128 v[42:45], v25 offset:2048
	;; [unrolled: 1-line block ×28, first 2 shown]
	s_waitcnt lgkmcnt(28)
	v_mul_f64 v[150:151], v[36:37], v[28:29]
	v_mul_f64 v[154:155], v[36:37], v[32:33]
	;; [unrolled: 1-line block ×4, first 2 shown]
	v_fma_f64 v[150:151], v[34:35], v[26:27], -v[150:151]
	v_fma_f64 v[34:35], v[34:35], v[30:31], -v[154:155]
	s_waitcnt lgkmcnt(26)
	v_mul_f64 v[154:155], v[44:45], v[28:29]
	v_mul_f64 v[28:29], v[42:43], v[28:29]
	v_fma_f64 v[152:153], v[36:37], v[26:27], v[152:153]
	v_fma_f64 v[36:37], v[36:37], v[30:31], v[156:157]
	v_add_f64 v[14:15], v[14:15], v[150:151]
	v_add_f64 v[10:11], v[10:11], v[34:35]
	v_fma_f64 v[154:155], v[42:43], v[26:27], -v[154:155]
	v_fma_f64 v[156:157], v[44:45], v[26:27], v[28:29]
	v_mul_f64 v[26:27], v[44:45], v[32:33]
	v_mul_f64 v[28:29], v[42:43], v[32:33]
	v_add_f64 v[16:17], v[152:153], v[16:17]
	v_add_f64 v[12:13], v[36:37], v[12:13]
	s_waitcnt lgkmcnt(16)
	v_mul_f64 v[34:35], v[64:65], v[84:85]
	v_mul_f64 v[36:37], v[62:63], v[84:85]
	s_waitcnt lgkmcnt(15)
	v_mul_f64 v[150:151], v[62:63], v[88:89]
	s_waitcnt lgkmcnt(12)
	v_mul_f64 v[152:153], v[98:99], v[96:97]
	v_add_f64 v[6:7], v[6:7], v[154:155]
	v_add_f64 v[8:9], v[156:157], v[8:9]
	v_fma_f64 v[32:33], v[42:43], v[30:31], -v[26:27]
	v_fma_f64 v[30:31], v[44:45], v[30:31], v[28:29]
	v_mul_f64 v[26:27], v[40:41], v[52:53]
	v_mul_f64 v[28:29], v[38:39], v[52:53]
	;; [unrolled: 1-line block ×4, first 2 shown]
	v_fma_f64 v[34:35], v[62:63], v[82:83], -v[34:35]
	v_fma_f64 v[36:37], v[64:65], v[82:83], v[36:37]
	v_add_f64 v[2:3], v[2:3], v[32:33]
	v_add_f64 v[4:5], v[30:31], v[4:5]
	v_fma_f64 v[158:159], v[38:39], v[50:51], -v[26:27]
	v_fma_f64 v[160:161], v[40:41], v[50:51], v[28:29]
	v_mul_f64 v[26:27], v[48:49], v[52:53]
	v_mul_f64 v[28:29], v[46:47], v[52:53]
	v_fma_f64 v[38:39], v[38:39], v[54:55], -v[42:43]
	v_fma_f64 v[40:41], v[40:41], v[54:55], v[44:45]
	v_mul_f64 v[52:53], v[58:59], v[72:73]
	v_mul_f64 v[30:31], v[80:81], v[84:85]
	;; [unrolled: 1-line block ×4, first 2 shown]
	v_add_f64 v[14:15], v[14:15], v[158:159]
	v_add_f64 v[16:17], v[160:161], v[16:17]
	v_fma_f64 v[42:43], v[46:47], v[50:51], -v[26:27]
	v_fma_f64 v[44:45], v[48:49], v[50:51], v[28:29]
	v_mul_f64 v[26:27], v[48:49], v[56:57]
	v_mul_f64 v[28:29], v[46:47], v[56:57]
	;; [unrolled: 1-line block ×3, first 2 shown]
	v_fma_f64 v[52:53], v[60:61], v[70:71], v[52:53]
	v_add_f64 v[10:11], v[10:11], v[38:39]
	v_add_f64 v[12:13], v[40:41], v[12:13]
	s_waitcnt lgkmcnt(10)
	v_mul_f64 v[38:39], v[108:109], v[92:93]
	v_mul_f64 v[40:41], v[106:107], v[92:93]
	v_fma_f64 v[30:31], v[78:79], v[82:83], -v[30:31]
	v_fma_f64 v[32:33], v[80:81], v[82:83], v[32:33]
	s_waitcnt lgkmcnt(8)
	v_mul_f64 v[82:83], v[112:113], v[116:117]
	v_add_f64 v[6:7], v[6:7], v[42:43]
	v_add_f64 v[8:9], v[44:45], v[8:9]
	v_fma_f64 v[46:47], v[46:47], v[54:55], -v[26:27]
	v_fma_f64 v[48:49], v[48:49], v[54:55], v[28:29]
	v_mul_f64 v[26:27], v[60:61], v[68:69]
	v_mul_f64 v[28:29], v[58:59], v[68:69]
	v_fma_f64 v[50:51], v[58:59], v[70:71], -v[50:51]
	v_mul_f64 v[42:43], v[108:109], v[96:97]
	v_mul_f64 v[44:45], v[106:107], v[96:97]
	v_add_f64 v[12:13], v[52:53], v[12:13]
	s_waitcnt lgkmcnt(7)
	v_mul_f64 v[52:53], v[110:111], v[120:121]
	v_fma_f64 v[38:39], v[106:107], v[90:91], -v[38:39]
	v_fma_f64 v[40:41], v[108:109], v[90:91], v[40:41]
	v_add_f64 v[2:3], v[2:3], v[46:47]
	v_add_f64 v[4:5], v[48:49], v[4:5]
	v_fma_f64 v[54:55], v[58:59], v[66:67], -v[26:27]
	v_fma_f64 v[56:57], v[60:61], v[66:67], v[28:29]
	v_mul_f64 v[26:27], v[76:77], v[68:69]
	v_mul_f64 v[28:29], v[74:75], v[68:69]
	;; [unrolled: 1-line block ×3, first 2 shown]
	v_add_f64 v[10:11], v[10:11], v[50:51]
	v_mul_f64 v[46:47], v[104:105], v[116:117]
	v_mul_f64 v[48:49], v[102:103], v[116:117]
	;; [unrolled: 1-line block ×3, first 2 shown]
	v_fma_f64 v[42:43], v[106:107], v[94:95], -v[42:43]
	v_fma_f64 v[44:45], v[108:109], v[94:95], v[44:45]
	v_fma_f64 v[52:53], v[112:113], v[118:119], v[52:53]
	v_add_f64 v[14:15], v[14:15], v[54:55]
	v_add_f64 v[16:17], v[56:57], v[16:17]
	v_fma_f64 v[58:59], v[74:75], v[66:67], -v[26:27]
	v_fma_f64 v[60:61], v[76:77], v[66:67], v[28:29]
	v_mul_f64 v[66:67], v[76:77], v[72:73]
	v_mul_f64 v[72:73], v[64:65], v[88:89]
	v_fma_f64 v[68:69], v[76:77], v[70:71], v[68:69]
	v_mul_f64 v[76:77], v[100:101], v[92:93]
	v_fma_f64 v[64:65], v[64:65], v[86:87], v[150:151]
	v_mul_f64 v[92:93], v[102:103], v[120:121]
	s_waitcnt lgkmcnt(4)
	v_mul_f64 v[54:55], v[132:133], v[124:125]
	v_mul_f64 v[56:57], v[130:131], v[124:125]
	v_fma_f64 v[46:47], v[102:103], v[114:115], -v[46:47]
	v_fma_f64 v[48:49], v[104:105], v[114:115], v[48:49]
	v_fma_f64 v[50:51], v[110:111], v[118:119], -v[50:51]
	ds_read_b128 v[26:29], v24 offset:3840
	s_waitcnt lgkmcnt(0)
	s_barrier
	buffer_gl0_inv
	v_add_f64 v[14:15], v[14:15], v[34:35]
	v_add_f64 v[16:17], v[36:37], v[16:17]
	;; [unrolled: 1-line block ×4, first 2 shown]
	v_fma_f64 v[66:67], v[74:75], v[70:71], -v[66:67]
	v_mul_f64 v[70:71], v[80:81], v[88:89]
	v_mul_f64 v[74:75], v[78:79], v[88:89]
	;; [unrolled: 1-line block ×3, first 2 shown]
	v_fma_f64 v[62:63], v[62:63], v[86:87], -v[72:73]
	v_add_f64 v[4:5], v[68:69], v[4:5]
	v_mul_f64 v[72:73], v[104:105], v[120:121]
	v_mul_f64 v[96:97], v[110:111], v[116:117]
	v_fma_f64 v[68:69], v[100:101], v[90:91], v[84:85]
	v_add_f64 v[12:13], v[64:65], v[12:13]
	v_mul_f64 v[58:59], v[132:133], v[128:129]
	v_mul_f64 v[60:61], v[130:131], v[128:129]
	;; [unrolled: 1-line block ×5, first 2 shown]
	v_fma_f64 v[54:55], v[130:131], v[122:123], -v[54:55]
	v_fma_f64 v[56:57], v[132:133], v[122:123], v[56:57]
	v_add_f64 v[6:7], v[6:7], v[30:31]
	v_add_f64 v[8:9], v[32:33], v[8:9]
	;; [unrolled: 1-line block ×3, first 2 shown]
	v_fma_f64 v[70:71], v[78:79], v[86:87], -v[70:71]
	v_fma_f64 v[74:75], v[80:81], v[86:87], v[74:75]
	v_fma_f64 v[66:67], v[98:99], v[90:91], -v[76:77]
	v_fma_f64 v[76:77], v[98:99], v[94:95], -v[88:89]
	v_fma_f64 v[78:79], v[100:101], v[94:95], v[152:153]
	v_add_f64 v[10:11], v[10:11], v[62:63]
	v_mul_f64 v[30:31], v[140:141], v[124:125]
	v_mul_f64 v[32:33], v[138:139], v[124:125]
	v_fma_f64 v[80:81], v[112:113], v[114:115], v[96:97]
	v_add_f64 v[16:17], v[68:69], v[16:17]
	v_mul_f64 v[62:63], v[136:137], v[148:149]
	v_fma_f64 v[58:59], v[130:131], v[126:127], -v[58:59]
	v_fma_f64 v[60:61], v[132:133], v[126:127], v[60:61]
	v_fma_f64 v[34:35], v[138:139], v[126:127], -v[34:35]
	v_fma_f64 v[36:37], v[140:141], v[126:127], v[36:37]
	v_add_f64 v[6:7], v[6:7], v[38:39]
	v_add_f64 v[8:9], v[40:41], v[8:9]
	v_mul_f64 v[38:39], v[136:137], v[28:29]
	v_add_f64 v[2:3], v[2:3], v[70:71]
	v_add_f64 v[4:5], v[74:75], v[4:5]
	v_fma_f64 v[70:71], v[102:103], v[118:119], -v[72:73]
	v_fma_f64 v[72:73], v[104:105], v[118:119], v[92:93]
	v_fma_f64 v[74:75], v[110:111], v[114:115], -v[82:83]
	v_add_f64 v[14:15], v[14:15], v[66:67]
	v_add_f64 v[10:11], v[10:11], v[76:77]
	;; [unrolled: 1-line block ×3, first 2 shown]
	v_mul_f64 v[40:41], v[134:135], v[28:29]
	v_mul_f64 v[66:67], v[144:145], v[28:29]
	;; [unrolled: 1-line block ×3, first 2 shown]
	v_fma_f64 v[30:31], v[138:139], v[122:123], -v[30:31]
	v_fma_f64 v[32:33], v[140:141], v[122:123], v[32:33]
	v_add_f64 v[16:17], v[48:49], v[16:17]
	v_fma_f64 v[48:49], v[136:137], v[146:147], v[64:65]
	v_add_f64 v[8:9], v[80:81], v[8:9]
	v_fma_f64 v[38:39], v[134:135], v[26:27], -v[38:39]
	v_add_f64 v[2:3], v[2:3], v[42:43]
	v_add_f64 v[4:5], v[44:45], v[4:5]
	v_mul_f64 v[42:43], v[144:145], v[148:149]
	v_mul_f64 v[44:45], v[142:143], v[148:149]
	v_add_f64 v[6:7], v[6:7], v[74:75]
	v_add_f64 v[14:15], v[14:15], v[46:47]
	;; [unrolled: 1-line block ×4, first 2 shown]
	v_fma_f64 v[46:47], v[134:135], v[146:147], -v[62:63]
	v_fma_f64 v[40:41], v[136:137], v[26:27], v[40:41]
	v_add_f64 v[16:17], v[56:57], v[16:17]
	v_add_f64 v[8:9], v[32:33], v[8:9]
	;; [unrolled: 1-line block ×4, first 2 shown]
	v_fma_f64 v[42:43], v[142:143], v[146:147], -v[42:43]
	v_fma_f64 v[44:45], v[144:145], v[146:147], v[44:45]
	v_fma_f64 v[50:51], v[142:143], v[26:27], -v[66:67]
	v_fma_f64 v[26:27], v[144:145], v[26:27], v[28:29]
	v_add_f64 v[14:15], v[14:15], v[54:55]
	v_add_f64 v[10:11], v[10:11], v[58:59]
	;; [unrolled: 1-line block ×14, first 2 shown]
	s_cbranch_vccnz .LBB278_2
	s_branch .LBB278_4
.LBB278_3:
	v_mov_b32_e32 v14, 0
	v_mov_b32_e32 v16, 0
	;; [unrolled: 1-line block ×16, first 2 shown]
.LBB278_4:
	s_load_dwordx2 s[4:5], s[4:5], 0x90
	v_cmp_neq_f64_e64 s10, s[14:15], 0
	v_cmp_neq_f64_e64 s11, s[16:17], 0
	v_add_co_u32 v22, s8, s8, v1
	v_add_co_ci_u32_e64 v23, null, s9, 0, s8
	s_waitcnt lgkmcnt(0)
	s_lshl_b64 s[4:5], s[4:5], 4
	s_add_u32 s2, s2, s4
	s_addc_u32 s3, s3, s5
	v_add_co_u32 v0, s5, s6, v0
	v_add_co_ci_u32_e64 v1, null, s7, 0, s5
	s_or_b32 s4, s10, s11
	s_and_b32 vcc_lo, exec_lo, s4
	s_cbranch_vccnz .LBB278_6
; %bb.5:
	v_mul_f64 v[20:21], s[40:41], v[16:17]
	v_mul_f64 v[26:27], s[38:39], v[16:17]
	;; [unrolled: 1-line block ×4, first 2 shown]
	v_mul_lo_u32 v24, v23, s26
	v_mul_lo_u32 v25, v22, s27
	v_mad_u64_u32 v[18:19], null, v22, s26, 0
	v_mul_f64 v[28:29], s[40:41], v[12:13]
	v_mul_f64 v[30:31], s[38:39], v[12:13]
	v_mul_f64 v[32:33], s[40:41], v[8:9]
	v_mul_f64 v[34:35], s[38:39], v[8:9]
	s_lshl_b64 s[4:5], s[26:27], 8
	v_lshlrev_b64 v[40:41], 4, v[0:1]
	v_add3_u32 v19, v19, v25, v24
	v_lshlrev_b64 v[18:19], 4, v[18:19]
	v_fma_f64 v[24:25], s[38:39], v[14:15], -v[20:21]
	v_fma_f64 v[26:27], s[40:41], v[14:15], v[26:27]
	v_fma_f64 v[36:37], s[38:39], v[2:3], -v[36:37]
	v_add_co_u32 v42, vcc_lo, s2, v18
	v_add_co_ci_u32_e64 v43, null, s3, v19, vcc_lo
	v_fma_f64 v[18:19], s[40:41], v[2:3], v[38:39]
	v_fma_f64 v[28:29], s[38:39], v[10:11], -v[28:29]
	v_fma_f64 v[30:31], s[40:41], v[10:11], v[30:31]
	v_fma_f64 v[32:33], s[38:39], v[6:7], -v[32:33]
	v_fma_f64 v[34:35], s[40:41], v[6:7], v[34:35]
	v_add_co_u32 v20, vcc_lo, v42, s4
	v_add_co_ci_u32_e64 v21, null, s5, v43, vcc_lo
	v_add_co_u32 v38, vcc_lo, v20, v40
	v_add_co_ci_u32_e64 v39, null, v21, v41, vcc_lo
	v_add_co_u32 v40, vcc_lo, v42, v40
	v_add_co_ci_u32_e64 v41, null, v43, v41, vcc_lo
	v_add_co_u32 v20, vcc_lo, 0x100, v38
	v_add_co_ci_u32_e64 v21, null, 0, v39, vcc_lo
	flat_store_dwordx4 v[40:41], v[24:27]
	flat_store_dwordx4 v[40:41], v[28:31] offset:256
	flat_store_dwordx4 v[38:39], v[32:35]
	flat_store_dwordx2 v[38:39], v[36:37] offset:256
	s_cbranch_execz .LBB278_7
	s_branch .LBB278_8
.LBB278_6:
                                        ; implicit-def: $vgpr18_vgpr19
                                        ; implicit-def: $vgpr20_vgpr21
.LBB278_7:
	v_mul_lo_u32 v20, v23, s20
	v_mul_lo_u32 v21, v22, s21
	v_mad_u64_u32 v[18:19], null, v22, s20, 0
	s_lshl_b64 s[4:5], s[22:23], 4
	v_lshlrev_b64 v[0:1], 4, v[0:1]
	s_add_u32 s0, s0, s4
	s_addc_u32 s1, s1, s5
	v_mul_f64 v[26:27], s[40:41], v[16:17]
	v_mul_f64 v[16:17], s[38:39], v[16:17]
	v_add3_u32 v19, v19, v21, v20
	v_mul_lo_u32 v23, v23, s26
	v_lshlrev_b64 v[18:19], 4, v[18:19]
	v_add_co_u32 v30, vcc_lo, s0, v18
	v_add_co_ci_u32_e64 v31, null, s1, v19, vcc_lo
	s_lshl_b64 s[0:1], s[20:21], 8
	v_add_co_u32 v24, vcc_lo, v30, v0
	v_add_co_ci_u32_e64 v25, null, v31, v1, vcc_lo
	v_fma_f64 v[26:27], s[38:39], v[14:15], -v[26:27]
	v_fma_f64 v[16:17], s[40:41], v[14:15], v[16:17]
	flat_load_dwordx4 v[18:21], v[24:25]
	s_waitcnt vmcnt(0) lgkmcnt(0)
	v_mul_f64 v[28:29], s[16:17], v[20:21]
	v_mul_f64 v[20:21], s[14:15], v[20:21]
	v_fma_f64 v[14:15], s[14:15], v[18:19], -v[28:29]
	v_fma_f64 v[18:19], s[16:17], v[18:19], v[20:21]
	v_mul_lo_u32 v28, v22, s27
	v_mad_u64_u32 v[20:21], null, v22, s26, 0
	v_add3_u32 v21, v21, v28, v23
	v_add_f64 v[14:15], v[26:27], v[14:15]
	v_add_f64 v[16:17], v[16:17], v[18:19]
	v_lshlrev_b64 v[18:19], 4, v[20:21]
	v_mul_f64 v[20:21], s[40:41], v[12:13]
	v_mul_f64 v[12:13], s[38:39], v[12:13]
	v_add_co_u32 v26, vcc_lo, s2, v18
	v_add_co_ci_u32_e64 v27, null, s3, v19, vcc_lo
	v_add_co_u32 v18, vcc_lo, v26, v0
	v_add_co_ci_u32_e64 v19, null, v27, v1, vcc_lo
	flat_store_dwordx4 v[18:19], v[14:17]
	flat_load_dwordx4 v[14:17], v[24:25] offset:256
	v_fma_f64 v[20:21], s[38:39], v[10:11], -v[20:21]
	v_fma_f64 v[12:13], s[40:41], v[10:11], v[12:13]
	s_waitcnt vmcnt(0) lgkmcnt(0)
	v_mul_f64 v[22:23], s[16:17], v[16:17]
	v_mul_f64 v[16:17], s[14:15], v[16:17]
	v_fma_f64 v[10:11], s[14:15], v[14:15], -v[22:23]
	v_fma_f64 v[14:15], s[16:17], v[14:15], v[16:17]
	v_mul_f64 v[16:17], s[40:41], v[8:9]
	v_mul_f64 v[8:9], s[38:39], v[8:9]
	v_add_f64 v[10:11], v[20:21], v[10:11]
	v_add_f64 v[12:13], v[12:13], v[14:15]
	v_add_co_u32 v14, vcc_lo, v30, s0
	v_add_co_ci_u32_e64 v15, null, s1, v31, vcc_lo
	v_fma_f64 v[16:17], s[38:39], v[6:7], -v[16:17]
	v_add_co_u32 v14, vcc_lo, v14, v0
	v_add_co_ci_u32_e64 v15, null, v15, v1, vcc_lo
	v_fma_f64 v[8:9], s[40:41], v[6:7], v[8:9]
	s_lshl_b64 s[0:1], s[26:27], 8
	flat_store_dwordx4 v[18:19], v[10:13] offset:256
	flat_load_dwordx4 v[10:13], v[14:15]
	s_waitcnt vmcnt(0) lgkmcnt(0)
	v_mul_f64 v[18:19], s[16:17], v[12:13]
	v_mul_f64 v[12:13], s[14:15], v[12:13]
	v_fma_f64 v[6:7], s[14:15], v[10:11], -v[18:19]
	v_fma_f64 v[10:11], s[16:17], v[10:11], v[12:13]
	v_add_f64 v[6:7], v[16:17], v[6:7]
	v_add_f64 v[8:9], v[8:9], v[10:11]
	v_add_co_u32 v10, vcc_lo, v26, s0
	v_add_co_ci_u32_e64 v11, null, s1, v27, vcc_lo
	v_add_co_u32 v0, vcc_lo, v10, v0
	v_add_co_ci_u32_e64 v1, null, v11, v1, vcc_lo
	v_mul_f64 v[10:11], s[40:41], v[4:5]
	v_mul_f64 v[4:5], s[38:39], v[4:5]
	v_add_co_u32 v20, vcc_lo, 0x100, v0
	v_add_co_ci_u32_e64 v21, null, 0, v1, vcc_lo
	flat_store_dwordx4 v[0:1], v[6:9]
	flat_load_dwordx4 v[6:9], v[14:15] offset:256
	v_fma_f64 v[10:11], s[38:39], v[2:3], -v[10:11]
	v_fma_f64 v[2:3], s[40:41], v[2:3], v[4:5]
	s_waitcnt vmcnt(0) lgkmcnt(0)
	v_mul_f64 v[12:13], s[16:17], v[8:9]
	v_mul_f64 v[8:9], s[14:15], v[8:9]
	v_fma_f64 v[4:5], s[14:15], v[6:7], -v[12:13]
	v_fma_f64 v[6:7], s[16:17], v[6:7], v[8:9]
	v_add_f64 v[4:5], v[10:11], v[4:5]
	v_add_f64 v[18:19], v[2:3], v[6:7]
	flat_store_dwordx2 v[0:1], v[4:5] offset:256
.LBB278_8:
	flat_store_dwordx2 v[20:21], v[18:19] offset:8
	s_endpgm
	.section	.rodata,"a",@progbits
	.p2align	6, 0x0
	.amdhsa_kernel _ZN12_GLOBAL__N_127rocblas_gemm_batched_kernelI19rocblas_complex_numIdELi16ELi16ELi32ELi32ELi8ELi32ELi8ELi8ELi32ELc67ELc84EKPKS2_S5_KPS2_EEvlllT_PT11_llSA_llS8_PT12_llPT13_lli
		.amdhsa_group_segment_fixed_size 8192
		.amdhsa_private_segment_fixed_size 0
		.amdhsa_kernarg_size 156
		.amdhsa_user_sgpr_count 6
		.amdhsa_user_sgpr_private_segment_buffer 1
		.amdhsa_user_sgpr_dispatch_ptr 0
		.amdhsa_user_sgpr_queue_ptr 0
		.amdhsa_user_sgpr_kernarg_segment_ptr 1
		.amdhsa_user_sgpr_dispatch_id 0
		.amdhsa_user_sgpr_flat_scratch_init 0
		.amdhsa_user_sgpr_private_segment_size 0
		.amdhsa_wavefront_size32 1
		.amdhsa_uses_dynamic_stack 0
		.amdhsa_system_sgpr_private_segment_wavefront_offset 0
		.amdhsa_system_sgpr_workgroup_id_x 1
		.amdhsa_system_sgpr_workgroup_id_y 1
		.amdhsa_system_sgpr_workgroup_id_z 1
		.amdhsa_system_sgpr_workgroup_info 0
		.amdhsa_system_vgpr_workitem_id 1
		.amdhsa_next_free_vgpr 162
		.amdhsa_next_free_sgpr 52
		.amdhsa_reserve_vcc 1
		.amdhsa_reserve_flat_scratch 0
		.amdhsa_float_round_mode_32 0
		.amdhsa_float_round_mode_16_64 0
		.amdhsa_float_denorm_mode_32 3
		.amdhsa_float_denorm_mode_16_64 3
		.amdhsa_dx10_clamp 1
		.amdhsa_ieee_mode 1
		.amdhsa_fp16_overflow 0
		.amdhsa_workgroup_processor_mode 1
		.amdhsa_memory_ordered 1
		.amdhsa_forward_progress 1
		.amdhsa_shared_vgpr_count 0
		.amdhsa_exception_fp_ieee_invalid_op 0
		.amdhsa_exception_fp_denorm_src 0
		.amdhsa_exception_fp_ieee_div_zero 0
		.amdhsa_exception_fp_ieee_overflow 0
		.amdhsa_exception_fp_ieee_underflow 0
		.amdhsa_exception_fp_ieee_inexact 0
		.amdhsa_exception_int_div_zero 0
	.end_amdhsa_kernel
	.section	.text._ZN12_GLOBAL__N_127rocblas_gemm_batched_kernelI19rocblas_complex_numIdELi16ELi16ELi32ELi32ELi8ELi32ELi8ELi8ELi32ELc67ELc84EKPKS2_S5_KPS2_EEvlllT_PT11_llSA_llS8_PT12_llPT13_lli,"axG",@progbits,_ZN12_GLOBAL__N_127rocblas_gemm_batched_kernelI19rocblas_complex_numIdELi16ELi16ELi32ELi32ELi8ELi32ELi8ELi8ELi32ELc67ELc84EKPKS2_S5_KPS2_EEvlllT_PT11_llSA_llS8_PT12_llPT13_lli,comdat
.Lfunc_end278:
	.size	_ZN12_GLOBAL__N_127rocblas_gemm_batched_kernelI19rocblas_complex_numIdELi16ELi16ELi32ELi32ELi8ELi32ELi8ELi8ELi32ELc67ELc84EKPKS2_S5_KPS2_EEvlllT_PT11_llSA_llS8_PT12_llPT13_lli, .Lfunc_end278-_ZN12_GLOBAL__N_127rocblas_gemm_batched_kernelI19rocblas_complex_numIdELi16ELi16ELi32ELi32ELi8ELi32ELi8ELi8ELi32ELc67ELc84EKPKS2_S5_KPS2_EEvlllT_PT11_llSA_llS8_PT12_llPT13_lli
                                        ; -- End function
	.set _ZN12_GLOBAL__N_127rocblas_gemm_batched_kernelI19rocblas_complex_numIdELi16ELi16ELi32ELi32ELi8ELi32ELi8ELi8ELi32ELc67ELc84EKPKS2_S5_KPS2_EEvlllT_PT11_llSA_llS8_PT12_llPT13_lli.num_vgpr, 162
	.set _ZN12_GLOBAL__N_127rocblas_gemm_batched_kernelI19rocblas_complex_numIdELi16ELi16ELi32ELi32ELi8ELi32ELi8ELi8ELi32ELc67ELc84EKPKS2_S5_KPS2_EEvlllT_PT11_llSA_llS8_PT12_llPT13_lli.num_agpr, 0
	.set _ZN12_GLOBAL__N_127rocblas_gemm_batched_kernelI19rocblas_complex_numIdELi16ELi16ELi32ELi32ELi8ELi32ELi8ELi8ELi32ELc67ELc84EKPKS2_S5_KPS2_EEvlllT_PT11_llSA_llS8_PT12_llPT13_lli.numbered_sgpr, 52
	.set _ZN12_GLOBAL__N_127rocblas_gemm_batched_kernelI19rocblas_complex_numIdELi16ELi16ELi32ELi32ELi8ELi32ELi8ELi8ELi32ELc67ELc84EKPKS2_S5_KPS2_EEvlllT_PT11_llSA_llS8_PT12_llPT13_lli.num_named_barrier, 0
	.set _ZN12_GLOBAL__N_127rocblas_gemm_batched_kernelI19rocblas_complex_numIdELi16ELi16ELi32ELi32ELi8ELi32ELi8ELi8ELi32ELc67ELc84EKPKS2_S5_KPS2_EEvlllT_PT11_llSA_llS8_PT12_llPT13_lli.private_seg_size, 0
	.set _ZN12_GLOBAL__N_127rocblas_gemm_batched_kernelI19rocblas_complex_numIdELi16ELi16ELi32ELi32ELi8ELi32ELi8ELi8ELi32ELc67ELc84EKPKS2_S5_KPS2_EEvlllT_PT11_llSA_llS8_PT12_llPT13_lli.uses_vcc, 1
	.set _ZN12_GLOBAL__N_127rocblas_gemm_batched_kernelI19rocblas_complex_numIdELi16ELi16ELi32ELi32ELi8ELi32ELi8ELi8ELi32ELc67ELc84EKPKS2_S5_KPS2_EEvlllT_PT11_llSA_llS8_PT12_llPT13_lli.uses_flat_scratch, 0
	.set _ZN12_GLOBAL__N_127rocblas_gemm_batched_kernelI19rocblas_complex_numIdELi16ELi16ELi32ELi32ELi8ELi32ELi8ELi8ELi32ELc67ELc84EKPKS2_S5_KPS2_EEvlllT_PT11_llSA_llS8_PT12_llPT13_lli.has_dyn_sized_stack, 0
	.set _ZN12_GLOBAL__N_127rocblas_gemm_batched_kernelI19rocblas_complex_numIdELi16ELi16ELi32ELi32ELi8ELi32ELi8ELi8ELi32ELc67ELc84EKPKS2_S5_KPS2_EEvlllT_PT11_llSA_llS8_PT12_llPT13_lli.has_recursion, 0
	.set _ZN12_GLOBAL__N_127rocblas_gemm_batched_kernelI19rocblas_complex_numIdELi16ELi16ELi32ELi32ELi8ELi32ELi8ELi8ELi32ELc67ELc84EKPKS2_S5_KPS2_EEvlllT_PT11_llSA_llS8_PT12_llPT13_lli.has_indirect_call, 0
	.section	.AMDGPU.csdata,"",@progbits
; Kernel info:
; codeLenInByte = 3556
; TotalNumSgprs: 54
; NumVgprs: 162
; ScratchSize: 0
; MemoryBound: 0
; FloatMode: 240
; IeeeMode: 1
; LDSByteSize: 8192 bytes/workgroup (compile time only)
; SGPRBlocks: 0
; VGPRBlocks: 20
; NumSGPRsForWavesPerEU: 54
; NumVGPRsForWavesPerEU: 162
; Occupancy: 5
; WaveLimiterHint : 1
; COMPUTE_PGM_RSRC2:SCRATCH_EN: 0
; COMPUTE_PGM_RSRC2:USER_SGPR: 6
; COMPUTE_PGM_RSRC2:TRAP_HANDLER: 0
; COMPUTE_PGM_RSRC2:TGID_X_EN: 1
; COMPUTE_PGM_RSRC2:TGID_Y_EN: 1
; COMPUTE_PGM_RSRC2:TGID_Z_EN: 1
; COMPUTE_PGM_RSRC2:TIDIG_COMP_CNT: 1
	.section	.text._ZN12_GLOBAL__N_127rocblas_gemm_batched_kernelI19rocblas_complex_numIdELi16ELi16ELi32ELi32ELi8ELi32ELi8ELi8ELi32ELc78ELc67EKPKS2_S5_KPS2_EEvlllT_PT11_llSA_llS8_PT12_llPT13_lli,"axG",@progbits,_ZN12_GLOBAL__N_127rocblas_gemm_batched_kernelI19rocblas_complex_numIdELi16ELi16ELi32ELi32ELi8ELi32ELi8ELi8ELi32ELc78ELc67EKPKS2_S5_KPS2_EEvlllT_PT11_llSA_llS8_PT12_llPT13_lli,comdat
	.globl	_ZN12_GLOBAL__N_127rocblas_gemm_batched_kernelI19rocblas_complex_numIdELi16ELi16ELi32ELi32ELi8ELi32ELi8ELi8ELi32ELc78ELc67EKPKS2_S5_KPS2_EEvlllT_PT11_llSA_llS8_PT12_llPT13_lli ; -- Begin function _ZN12_GLOBAL__N_127rocblas_gemm_batched_kernelI19rocblas_complex_numIdELi16ELi16ELi32ELi32ELi8ELi32ELi8ELi8ELi32ELc78ELc67EKPKS2_S5_KPS2_EEvlllT_PT11_llSA_llS8_PT12_llPT13_lli
	.p2align	8
	.type	_ZN12_GLOBAL__N_127rocblas_gemm_batched_kernelI19rocblas_complex_numIdELi16ELi16ELi32ELi32ELi8ELi32ELi8ELi8ELi32ELc78ELc67EKPKS2_S5_KPS2_EEvlllT_PT11_llSA_llS8_PT12_llPT13_lli,@function
_ZN12_GLOBAL__N_127rocblas_gemm_batched_kernelI19rocblas_complex_numIdELi16ELi16ELi32ELi32ELi8ELi32ELi8ELi8ELi32ELc78ELc67EKPKS2_S5_KPS2_EEvlllT_PT11_llSA_llS8_PT12_llPT13_lli: ; @_ZN12_GLOBAL__N_127rocblas_gemm_batched_kernelI19rocblas_complex_numIdELi16ELi16ELi32ELi32ELi8ELi32ELi8ELi8ELi32ELc78ELc67EKPKS2_S5_KPS2_EEvlllT_PT11_llSA_llS8_PT12_llPT13_lli
; %bb.0:
	s_clause 0x1
	s_load_dwordx16 s[12:27], s[4:5], 0x50
	s_load_dwordx16 s[36:51], s[4:5], 0x10
	s_mov_b32 s9, 0
	s_mov_b32 s10, s7
	s_lshl_b64 s[0:1], s[8:9], 3
	s_waitcnt lgkmcnt(0)
	s_add_u32 s2, s18, s0
	s_addc_u32 s3, s19, s1
	s_add_u32 s8, s24, s0
	s_addc_u32 s9, s25, s1
	s_load_dwordx2 s[2:3], s[2:3], 0x0
	s_load_dwordx2 s[8:9], s[8:9], 0x0
	v_cmp_lt_i64_e64 s18, s[36:37], 1
	s_ashr_i32 s7, s6, 31
	s_ashr_i32 s11, s10, 31
	s_lshl_b64 s[6:7], s[6:7], 5
	s_lshl_b64 s[10:11], s[10:11], 5
	s_and_b32 vcc_lo, exec_lo, s18
	s_cbranch_vccnz .LBB279_3
; %bb.1:
	v_lshl_add_u32 v6, v1, 4, v0
	v_and_b32_e32 v8, 7, v0
	s_add_u32 s18, s42, s0
	s_addc_u32 s19, s43, s1
	s_add_u32 s0, s48, s0
	v_lshrrev_b32_e32 v10, 3, v6
	v_lshrrev_b32_e32 v9, 5, v6
	s_load_dwordx2 s[18:19], s[18:19], 0x0
	s_addc_u32 s1, s49, s1
	v_and_b32_e32 v11, 31, v6
	v_add_co_u32 v4, s24, v10, s10
	v_add_co_ci_u32_e64 v5, null, 0, s11, s24
	v_mad_u64_u32 v[2:3], null, s44, v9, s[6:7]
	s_load_dwordx2 s[0:1], s[0:1], 0x0
	v_mad_u64_u32 v[4:5], null, s50, v8, v[4:5]
	v_lshlrev_b32_e32 v12, 4, v8
	s_lshl_b64 s[24:25], s[46:47], 4
	v_mov_b32_e32 v18, 0
	v_mov_b32_e32 v14, 0
	v_lshlrev_b32_e32 v22, 4, v0
	v_lshl_or_b32 v10, v10, 7, v12
	v_mad_u64_u32 v[6:7], null, s45, v9, v[3:4]
	v_mov_b32_e32 v3, v5
	v_add_co_u32 v5, vcc_lo, v2, v11
	v_lshlrev_b32_e32 v7, 4, v11
	s_waitcnt lgkmcnt(0)
	s_add_u32 s18, s18, s24
	v_mad_u64_u32 v[2:3], null, s51, v8, v[3:4]
	v_add_co_ci_u32_e64 v6, null, 0, v6, vcc_lo
	v_lshl_or_b32 v24, v9, 9, v7
	s_addc_u32 s19, s19, s25
	s_lshl_b64 s[12:13], s[12:13], 4
	v_lshlrev_b64 v[6:7], 4, v[5:6]
	v_mov_b32_e32 v5, v2
	v_add_nc_u32_e32 v25, 0x1000, v10
	v_mov_b32_e32 v2, 0
	v_mov_b32_e32 v8, 0
	v_mov_b32_e32 v12, 0
	v_lshlrev_b64 v[20:21], 4, v[4:5]
	v_add_co_u32 v16, vcc_lo, s18, v6
	v_add_co_ci_u32_e64 v17, null, s19, v7, vcc_lo
	s_lshl_b64 s[18:19], s[44:45], 7
	s_add_u32 s0, s0, s12
	s_addc_u32 s1, s1, s13
	v_add_co_u32 v20, vcc_lo, s0, v20
	v_mov_b32_e32 v4, 0
	v_mov_b32_e32 v6, 0
	;; [unrolled: 1-line block ×3, first 2 shown]
	v_lshl_add_u32 v23, v1, 7, 0x1000
	v_mov_b32_e32 v5, 0
	v_mov_b32_e32 v3, 0
	;; [unrolled: 1-line block ×8, first 2 shown]
	v_add_co_ci_u32_e64 v21, null, s1, v21, vcc_lo
	s_lshl_b64 s[12:13], s[50:51], 7
	s_mov_b64 s[24:25], 0
.LBB279_2:                              ; =>This Inner Loop Header: Depth=1
	flat_load_dwordx4 v[26:29], v[16:17]
	s_add_u32 s24, s24, 8
	s_addc_u32 s25, s25, 0
	v_add_co_u32 v16, vcc_lo, v16, s18
	v_cmp_lt_i64_e64 s0, s[24:25], s[36:37]
	v_add_co_ci_u32_e64 v17, null, s19, v17, vcc_lo
	s_and_b32 vcc_lo, exec_lo, s0
	s_waitcnt vmcnt(0) lgkmcnt(0)
	ds_write2_b64 v24, v[26:27], v[28:29] offset1:1
	flat_load_dwordx4 v[26:29], v[20:21]
	v_add_co_u32 v20, s0, v20, s12
	v_add_co_ci_u32_e64 v21, null, s13, v21, s0
	s_waitcnt vmcnt(0) lgkmcnt(0)
	v_xor_b32_e32 v29, 0x80000000, v29
	ds_write_b128 v25, v[26:29]
	s_waitcnt lgkmcnt(0)
	s_barrier
	buffer_gl0_inv
	ds_read_b128 v[26:29], v22
	ds_read_b128 v[30:33], v22 offset:256
	ds_read_b128 v[34:37], v23
	ds_read_b128 v[38:41], v23 offset:16
	ds_read_b128 v[42:45], v23 offset:2048
	;; [unrolled: 1-line block ×28, first 2 shown]
	s_waitcnt lgkmcnt(28)
	v_mul_f64 v[150:151], v[36:37], v[28:29]
	v_mul_f64 v[154:155], v[36:37], v[32:33]
	;; [unrolled: 1-line block ×4, first 2 shown]
	v_fma_f64 v[150:151], v[34:35], v[26:27], -v[150:151]
	v_fma_f64 v[34:35], v[34:35], v[30:31], -v[154:155]
	s_waitcnt lgkmcnt(26)
	v_mul_f64 v[154:155], v[44:45], v[28:29]
	v_mul_f64 v[28:29], v[42:43], v[28:29]
	v_fma_f64 v[152:153], v[36:37], v[26:27], v[152:153]
	v_fma_f64 v[36:37], v[36:37], v[30:31], v[156:157]
	v_add_f64 v[14:15], v[14:15], v[150:151]
	v_add_f64 v[10:11], v[10:11], v[34:35]
	v_fma_f64 v[154:155], v[42:43], v[26:27], -v[154:155]
	v_fma_f64 v[156:157], v[44:45], v[26:27], v[28:29]
	v_mul_f64 v[26:27], v[44:45], v[32:33]
	v_mul_f64 v[28:29], v[42:43], v[32:33]
	v_add_f64 v[18:19], v[152:153], v[18:19]
	v_add_f64 v[12:13], v[36:37], v[12:13]
	s_waitcnt lgkmcnt(16)
	v_mul_f64 v[34:35], v[64:65], v[84:85]
	v_mul_f64 v[36:37], v[62:63], v[84:85]
	s_waitcnt lgkmcnt(15)
	v_mul_f64 v[150:151], v[62:63], v[88:89]
	s_waitcnt lgkmcnt(12)
	v_mul_f64 v[152:153], v[98:99], v[96:97]
	v_add_f64 v[6:7], v[6:7], v[154:155]
	v_add_f64 v[8:9], v[156:157], v[8:9]
	v_fma_f64 v[32:33], v[42:43], v[30:31], -v[26:27]
	v_fma_f64 v[30:31], v[44:45], v[30:31], v[28:29]
	v_mul_f64 v[26:27], v[40:41], v[52:53]
	v_mul_f64 v[28:29], v[38:39], v[52:53]
	v_mul_f64 v[42:43], v[40:41], v[56:57]
	v_mul_f64 v[44:45], v[38:39], v[56:57]
	v_fma_f64 v[34:35], v[62:63], v[82:83], -v[34:35]
	v_fma_f64 v[36:37], v[64:65], v[82:83], v[36:37]
	v_add_f64 v[2:3], v[2:3], v[32:33]
	v_add_f64 v[4:5], v[30:31], v[4:5]
	v_fma_f64 v[158:159], v[38:39], v[50:51], -v[26:27]
	v_fma_f64 v[160:161], v[40:41], v[50:51], v[28:29]
	v_mul_f64 v[26:27], v[48:49], v[52:53]
	v_mul_f64 v[28:29], v[46:47], v[52:53]
	v_fma_f64 v[38:39], v[38:39], v[54:55], -v[42:43]
	v_fma_f64 v[40:41], v[40:41], v[54:55], v[44:45]
	v_mul_f64 v[52:53], v[58:59], v[72:73]
	v_mul_f64 v[30:31], v[80:81], v[84:85]
	;; [unrolled: 1-line block ×4, first 2 shown]
	v_add_f64 v[14:15], v[14:15], v[158:159]
	v_add_f64 v[18:19], v[160:161], v[18:19]
	v_fma_f64 v[42:43], v[46:47], v[50:51], -v[26:27]
	v_fma_f64 v[44:45], v[48:49], v[50:51], v[28:29]
	v_mul_f64 v[26:27], v[48:49], v[56:57]
	v_mul_f64 v[28:29], v[46:47], v[56:57]
	;; [unrolled: 1-line block ×3, first 2 shown]
	v_fma_f64 v[52:53], v[60:61], v[70:71], v[52:53]
	v_add_f64 v[10:11], v[10:11], v[38:39]
	v_add_f64 v[12:13], v[40:41], v[12:13]
	s_waitcnt lgkmcnt(10)
	v_mul_f64 v[38:39], v[108:109], v[92:93]
	v_mul_f64 v[40:41], v[106:107], v[92:93]
	v_fma_f64 v[30:31], v[78:79], v[82:83], -v[30:31]
	v_fma_f64 v[32:33], v[80:81], v[82:83], v[32:33]
	s_waitcnt lgkmcnt(8)
	v_mul_f64 v[82:83], v[112:113], v[116:117]
	v_add_f64 v[6:7], v[6:7], v[42:43]
	v_add_f64 v[8:9], v[44:45], v[8:9]
	v_fma_f64 v[46:47], v[46:47], v[54:55], -v[26:27]
	v_fma_f64 v[48:49], v[48:49], v[54:55], v[28:29]
	v_mul_f64 v[26:27], v[60:61], v[68:69]
	v_mul_f64 v[28:29], v[58:59], v[68:69]
	v_fma_f64 v[50:51], v[58:59], v[70:71], -v[50:51]
	v_mul_f64 v[42:43], v[108:109], v[96:97]
	v_mul_f64 v[44:45], v[106:107], v[96:97]
	v_add_f64 v[12:13], v[52:53], v[12:13]
	s_waitcnt lgkmcnt(7)
	v_mul_f64 v[52:53], v[110:111], v[120:121]
	v_fma_f64 v[38:39], v[106:107], v[90:91], -v[38:39]
	v_fma_f64 v[40:41], v[108:109], v[90:91], v[40:41]
	v_add_f64 v[2:3], v[2:3], v[46:47]
	v_add_f64 v[4:5], v[48:49], v[4:5]
	v_fma_f64 v[54:55], v[58:59], v[66:67], -v[26:27]
	v_fma_f64 v[56:57], v[60:61], v[66:67], v[28:29]
	v_mul_f64 v[26:27], v[76:77], v[68:69]
	v_mul_f64 v[28:29], v[74:75], v[68:69]
	;; [unrolled: 1-line block ×3, first 2 shown]
	v_add_f64 v[10:11], v[10:11], v[50:51]
	v_mul_f64 v[46:47], v[104:105], v[116:117]
	v_mul_f64 v[48:49], v[102:103], v[116:117]
	;; [unrolled: 1-line block ×3, first 2 shown]
	v_fma_f64 v[42:43], v[106:107], v[94:95], -v[42:43]
	v_fma_f64 v[44:45], v[108:109], v[94:95], v[44:45]
	v_fma_f64 v[52:53], v[112:113], v[118:119], v[52:53]
	v_add_f64 v[14:15], v[14:15], v[54:55]
	v_add_f64 v[18:19], v[56:57], v[18:19]
	v_fma_f64 v[58:59], v[74:75], v[66:67], -v[26:27]
	v_fma_f64 v[60:61], v[76:77], v[66:67], v[28:29]
	v_mul_f64 v[66:67], v[76:77], v[72:73]
	v_mul_f64 v[72:73], v[64:65], v[88:89]
	v_fma_f64 v[68:69], v[76:77], v[70:71], v[68:69]
	v_mul_f64 v[76:77], v[100:101], v[92:93]
	v_fma_f64 v[64:65], v[64:65], v[86:87], v[150:151]
	v_mul_f64 v[92:93], v[102:103], v[120:121]
	s_waitcnt lgkmcnt(4)
	v_mul_f64 v[54:55], v[132:133], v[124:125]
	v_mul_f64 v[56:57], v[130:131], v[124:125]
	v_fma_f64 v[46:47], v[102:103], v[114:115], -v[46:47]
	v_fma_f64 v[48:49], v[104:105], v[114:115], v[48:49]
	v_fma_f64 v[50:51], v[110:111], v[118:119], -v[50:51]
	ds_read_b128 v[26:29], v22 offset:3840
	s_waitcnt lgkmcnt(0)
	s_barrier
	buffer_gl0_inv
	v_add_f64 v[14:15], v[14:15], v[34:35]
	v_add_f64 v[18:19], v[36:37], v[18:19]
	v_add_f64 v[6:7], v[6:7], v[58:59]
	v_add_f64 v[8:9], v[60:61], v[8:9]
	v_fma_f64 v[66:67], v[74:75], v[70:71], -v[66:67]
	v_mul_f64 v[70:71], v[80:81], v[88:89]
	v_mul_f64 v[74:75], v[78:79], v[88:89]
	;; [unrolled: 1-line block ×3, first 2 shown]
	v_fma_f64 v[62:63], v[62:63], v[86:87], -v[72:73]
	v_add_f64 v[4:5], v[68:69], v[4:5]
	v_mul_f64 v[72:73], v[104:105], v[120:121]
	v_mul_f64 v[96:97], v[110:111], v[116:117]
	v_fma_f64 v[68:69], v[100:101], v[90:91], v[84:85]
	v_add_f64 v[12:13], v[64:65], v[12:13]
	v_mul_f64 v[58:59], v[132:133], v[128:129]
	v_mul_f64 v[60:61], v[130:131], v[128:129]
	;; [unrolled: 1-line block ×5, first 2 shown]
	v_fma_f64 v[54:55], v[130:131], v[122:123], -v[54:55]
	v_fma_f64 v[56:57], v[132:133], v[122:123], v[56:57]
	v_add_f64 v[6:7], v[6:7], v[30:31]
	v_add_f64 v[8:9], v[32:33], v[8:9]
	;; [unrolled: 1-line block ×3, first 2 shown]
	v_fma_f64 v[70:71], v[78:79], v[86:87], -v[70:71]
	v_fma_f64 v[74:75], v[80:81], v[86:87], v[74:75]
	v_fma_f64 v[66:67], v[98:99], v[90:91], -v[76:77]
	v_fma_f64 v[76:77], v[98:99], v[94:95], -v[88:89]
	v_fma_f64 v[78:79], v[100:101], v[94:95], v[152:153]
	v_add_f64 v[10:11], v[10:11], v[62:63]
	v_mul_f64 v[30:31], v[140:141], v[124:125]
	v_mul_f64 v[32:33], v[138:139], v[124:125]
	v_fma_f64 v[80:81], v[112:113], v[114:115], v[96:97]
	v_add_f64 v[18:19], v[68:69], v[18:19]
	v_mul_f64 v[62:63], v[136:137], v[148:149]
	v_fma_f64 v[58:59], v[130:131], v[126:127], -v[58:59]
	v_fma_f64 v[60:61], v[132:133], v[126:127], v[60:61]
	v_fma_f64 v[34:35], v[138:139], v[126:127], -v[34:35]
	v_fma_f64 v[36:37], v[140:141], v[126:127], v[36:37]
	v_add_f64 v[6:7], v[6:7], v[38:39]
	v_add_f64 v[8:9], v[40:41], v[8:9]
	v_mul_f64 v[38:39], v[136:137], v[28:29]
	v_add_f64 v[2:3], v[2:3], v[70:71]
	v_add_f64 v[4:5], v[74:75], v[4:5]
	v_fma_f64 v[70:71], v[102:103], v[118:119], -v[72:73]
	v_fma_f64 v[72:73], v[104:105], v[118:119], v[92:93]
	v_fma_f64 v[74:75], v[110:111], v[114:115], -v[82:83]
	v_add_f64 v[14:15], v[14:15], v[66:67]
	v_add_f64 v[10:11], v[10:11], v[76:77]
	;; [unrolled: 1-line block ×3, first 2 shown]
	v_mul_f64 v[40:41], v[134:135], v[28:29]
	v_mul_f64 v[66:67], v[144:145], v[28:29]
	;; [unrolled: 1-line block ×3, first 2 shown]
	v_fma_f64 v[30:31], v[138:139], v[122:123], -v[30:31]
	v_fma_f64 v[32:33], v[140:141], v[122:123], v[32:33]
	v_add_f64 v[18:19], v[48:49], v[18:19]
	v_fma_f64 v[48:49], v[136:137], v[146:147], v[64:65]
	v_add_f64 v[8:9], v[80:81], v[8:9]
	v_fma_f64 v[38:39], v[134:135], v[26:27], -v[38:39]
	v_add_f64 v[2:3], v[2:3], v[42:43]
	v_add_f64 v[4:5], v[44:45], v[4:5]
	v_mul_f64 v[42:43], v[144:145], v[148:149]
	v_mul_f64 v[44:45], v[142:143], v[148:149]
	v_add_f64 v[6:7], v[6:7], v[74:75]
	v_add_f64 v[14:15], v[14:15], v[46:47]
	;; [unrolled: 1-line block ×4, first 2 shown]
	v_fma_f64 v[46:47], v[134:135], v[146:147], -v[62:63]
	v_fma_f64 v[40:41], v[136:137], v[26:27], v[40:41]
	v_add_f64 v[18:19], v[56:57], v[18:19]
	v_add_f64 v[8:9], v[32:33], v[8:9]
	;; [unrolled: 1-line block ×4, first 2 shown]
	v_fma_f64 v[42:43], v[142:143], v[146:147], -v[42:43]
	v_fma_f64 v[44:45], v[144:145], v[146:147], v[44:45]
	v_fma_f64 v[50:51], v[142:143], v[26:27], -v[66:67]
	v_fma_f64 v[26:27], v[144:145], v[26:27], v[28:29]
	v_add_f64 v[14:15], v[14:15], v[54:55]
	v_add_f64 v[10:11], v[10:11], v[58:59]
	v_add_f64 v[12:13], v[60:61], v[12:13]
	v_add_f64 v[6:7], v[6:7], v[30:31]
	v_add_f64 v[18:19], v[48:49], v[18:19]
	v_add_f64 v[2:3], v[2:3], v[34:35]
	v_add_f64 v[4:5], v[36:37], v[4:5]
	v_add_f64 v[8:9], v[44:45], v[8:9]
	v_add_f64 v[14:15], v[14:15], v[46:47]
	v_add_f64 v[10:11], v[10:11], v[38:39]
	v_add_f64 v[12:13], v[40:41], v[12:13]
	v_add_f64 v[6:7], v[6:7], v[42:43]
	v_add_f64 v[2:3], v[2:3], v[50:51]
	v_add_f64 v[4:5], v[26:27], v[4:5]
	s_cbranch_vccnz .LBB279_2
	s_branch .LBB279_4
.LBB279_3:
	v_mov_b32_e32 v14, 0
	v_mov_b32_e32 v18, 0
	;; [unrolled: 1-line block ×16, first 2 shown]
.LBB279_4:
	s_load_dwordx2 s[0:1], s[4:5], 0x90
	v_cmp_neq_f64_e64 s4, s[14:15], 0
	v_cmp_neq_f64_e64 s5, s[16:17], 0
	v_add_co_u32 v22, s10, s10, v1
	v_add_co_ci_u32_e64 v23, null, s11, 0, s10
	s_waitcnt lgkmcnt(0)
	s_lshl_b64 s[0:1], s[0:1], 4
	s_add_u32 s0, s8, s0
	s_addc_u32 s1, s9, s1
	s_or_b32 s4, s4, s5
	v_add_co_u32 v0, s5, s6, v0
	v_add_co_ci_u32_e64 v1, null, s7, 0, s5
	s_and_b32 vcc_lo, exec_lo, s4
	s_cbranch_vccnz .LBB279_6
; %bb.5:
	v_mul_f64 v[20:21], s[40:41], v[18:19]
	v_mul_f64 v[26:27], s[38:39], v[18:19]
	v_mul_f64 v[36:37], s[40:41], v[4:5]
	v_mul_f64 v[38:39], s[38:39], v[4:5]
	v_mul_lo_u32 v24, v23, s26
	v_mul_lo_u32 v25, v22, s27
	v_mad_u64_u32 v[16:17], null, v22, s26, 0
	v_mul_f64 v[28:29], s[40:41], v[12:13]
	v_mul_f64 v[30:31], s[38:39], v[12:13]
	;; [unrolled: 1-line block ×4, first 2 shown]
	s_lshl_b64 s[4:5], s[26:27], 8
	v_lshlrev_b64 v[40:41], 4, v[0:1]
	v_add3_u32 v17, v17, v25, v24
	v_lshlrev_b64 v[16:17], 4, v[16:17]
	v_fma_f64 v[24:25], s[38:39], v[14:15], -v[20:21]
	v_fma_f64 v[26:27], s[40:41], v[14:15], v[26:27]
	v_fma_f64 v[36:37], s[38:39], v[2:3], -v[36:37]
	v_add_co_u32 v42, vcc_lo, s0, v16
	v_add_co_ci_u32_e64 v43, null, s1, v17, vcc_lo
	v_fma_f64 v[16:17], s[40:41], v[2:3], v[38:39]
	v_fma_f64 v[28:29], s[38:39], v[10:11], -v[28:29]
	v_fma_f64 v[30:31], s[40:41], v[10:11], v[30:31]
	v_fma_f64 v[32:33], s[38:39], v[6:7], -v[32:33]
	v_fma_f64 v[34:35], s[40:41], v[6:7], v[34:35]
	v_add_co_u32 v20, vcc_lo, v42, s4
	v_add_co_ci_u32_e64 v21, null, s5, v43, vcc_lo
	v_add_co_u32 v38, vcc_lo, v20, v40
	v_add_co_ci_u32_e64 v39, null, v21, v41, vcc_lo
	;; [unrolled: 2-line block ×4, first 2 shown]
	flat_store_dwordx4 v[40:41], v[24:27]
	flat_store_dwordx4 v[40:41], v[28:31] offset:256
	flat_store_dwordx4 v[38:39], v[32:35]
	flat_store_dwordx2 v[38:39], v[36:37] offset:256
	s_cbranch_execz .LBB279_7
	s_branch .LBB279_8
.LBB279_6:
                                        ; implicit-def: $vgpr16_vgpr17
                                        ; implicit-def: $vgpr20_vgpr21
.LBB279_7:
	v_mul_lo_u32 v20, v23, s20
	v_mul_lo_u32 v21, v22, s21
	v_mad_u64_u32 v[16:17], null, v22, s20, 0
	s_lshl_b64 s[4:5], s[22:23], 4
	v_lshlrev_b64 v[0:1], 4, v[0:1]
	s_add_u32 s2, s2, s4
	s_addc_u32 s3, s3, s5
	v_add3_u32 v17, v17, v21, v20
	v_lshlrev_b64 v[16:17], 4, v[16:17]
	v_add_co_u32 v30, vcc_lo, s2, v16
	v_add_co_ci_u32_e64 v31, null, s3, v17, vcc_lo
	v_mul_f64 v[16:17], s[40:41], v[18:19]
	v_add_co_u32 v20, vcc_lo, v30, v0
	v_add_co_ci_u32_e64 v21, null, v31, v1, vcc_lo
	v_mul_f64 v[18:19], s[38:39], v[18:19]
	flat_load_dwordx4 v[24:27], v[20:21]
	v_fma_f64 v[16:17], s[38:39], v[14:15], -v[16:17]
	v_fma_f64 v[18:19], s[40:41], v[14:15], v[18:19]
	s_waitcnt vmcnt(0) lgkmcnt(0)
	v_mul_f64 v[28:29], s[16:17], v[26:27]
	v_mul_f64 v[26:27], s[14:15], v[26:27]
	v_fma_f64 v[14:15], s[14:15], v[24:25], -v[28:29]
	v_fma_f64 v[24:25], s[16:17], v[24:25], v[26:27]
	v_mul_lo_u32 v26, v23, s26
	v_mul_lo_u32 v27, v22, s27
	v_mad_u64_u32 v[22:23], null, v22, s26, 0
	v_add3_u32 v23, v23, v27, v26
	v_add_f64 v[14:15], v[16:17], v[14:15]
	v_add_f64 v[16:17], v[18:19], v[24:25]
	v_lshlrev_b64 v[18:19], 4, v[22:23]
	v_add_co_u32 v24, vcc_lo, s0, v18
	v_add_co_ci_u32_e64 v25, null, s1, v19, vcc_lo
	s_lshl_b64 s[0:1], s[20:21], 8
	v_add_co_u32 v18, vcc_lo, v24, v0
	v_add_co_ci_u32_e64 v19, null, v25, v1, vcc_lo
	flat_store_dwordx4 v[18:19], v[14:17]
	flat_load_dwordx4 v[14:17], v[20:21] offset:256
	v_mul_f64 v[20:21], s[40:41], v[12:13]
	v_mul_f64 v[12:13], s[38:39], v[12:13]
	v_fma_f64 v[20:21], s[38:39], v[10:11], -v[20:21]
	v_fma_f64 v[12:13], s[40:41], v[10:11], v[12:13]
	s_waitcnt vmcnt(0) lgkmcnt(0)
	v_mul_f64 v[22:23], s[16:17], v[16:17]
	v_mul_f64 v[16:17], s[14:15], v[16:17]
	v_fma_f64 v[10:11], s[14:15], v[14:15], -v[22:23]
	v_fma_f64 v[14:15], s[16:17], v[14:15], v[16:17]
	v_mul_f64 v[16:17], s[40:41], v[8:9]
	v_mul_f64 v[8:9], s[38:39], v[8:9]
	v_add_f64 v[10:11], v[20:21], v[10:11]
	v_add_f64 v[12:13], v[12:13], v[14:15]
	v_add_co_u32 v14, vcc_lo, v30, s0
	v_add_co_ci_u32_e64 v15, null, s1, v31, vcc_lo
	v_fma_f64 v[16:17], s[38:39], v[6:7], -v[16:17]
	v_add_co_u32 v14, vcc_lo, v14, v0
	v_add_co_ci_u32_e64 v15, null, v15, v1, vcc_lo
	v_fma_f64 v[8:9], s[40:41], v[6:7], v[8:9]
	s_lshl_b64 s[0:1], s[26:27], 8
	flat_store_dwordx4 v[18:19], v[10:13] offset:256
	flat_load_dwordx4 v[10:13], v[14:15]
	s_waitcnt vmcnt(0) lgkmcnt(0)
	v_mul_f64 v[18:19], s[16:17], v[12:13]
	v_mul_f64 v[12:13], s[14:15], v[12:13]
	v_fma_f64 v[6:7], s[14:15], v[10:11], -v[18:19]
	v_fma_f64 v[10:11], s[16:17], v[10:11], v[12:13]
	v_add_f64 v[6:7], v[16:17], v[6:7]
	v_add_f64 v[8:9], v[8:9], v[10:11]
	v_add_co_u32 v10, vcc_lo, v24, s0
	v_add_co_ci_u32_e64 v11, null, s1, v25, vcc_lo
	v_add_co_u32 v0, vcc_lo, v10, v0
	v_add_co_ci_u32_e64 v1, null, v11, v1, vcc_lo
	v_mul_f64 v[10:11], s[40:41], v[4:5]
	v_mul_f64 v[4:5], s[38:39], v[4:5]
	v_add_co_u32 v20, vcc_lo, 0x100, v0
	v_add_co_ci_u32_e64 v21, null, 0, v1, vcc_lo
	flat_store_dwordx4 v[0:1], v[6:9]
	flat_load_dwordx4 v[6:9], v[14:15] offset:256
	v_fma_f64 v[10:11], s[38:39], v[2:3], -v[10:11]
	v_fma_f64 v[2:3], s[40:41], v[2:3], v[4:5]
	s_waitcnt vmcnt(0) lgkmcnt(0)
	v_mul_f64 v[12:13], s[16:17], v[8:9]
	v_mul_f64 v[8:9], s[14:15], v[8:9]
	v_fma_f64 v[4:5], s[14:15], v[6:7], -v[12:13]
	v_fma_f64 v[6:7], s[16:17], v[6:7], v[8:9]
	v_add_f64 v[4:5], v[10:11], v[4:5]
	v_add_f64 v[16:17], v[2:3], v[6:7]
	flat_store_dwordx2 v[0:1], v[4:5] offset:256
.LBB279_8:
	flat_store_dwordx2 v[20:21], v[16:17] offset:8
	s_endpgm
	.section	.rodata,"a",@progbits
	.p2align	6, 0x0
	.amdhsa_kernel _ZN12_GLOBAL__N_127rocblas_gemm_batched_kernelI19rocblas_complex_numIdELi16ELi16ELi32ELi32ELi8ELi32ELi8ELi8ELi32ELc78ELc67EKPKS2_S5_KPS2_EEvlllT_PT11_llSA_llS8_PT12_llPT13_lli
		.amdhsa_group_segment_fixed_size 8192
		.amdhsa_private_segment_fixed_size 0
		.amdhsa_kernarg_size 156
		.amdhsa_user_sgpr_count 6
		.amdhsa_user_sgpr_private_segment_buffer 1
		.amdhsa_user_sgpr_dispatch_ptr 0
		.amdhsa_user_sgpr_queue_ptr 0
		.amdhsa_user_sgpr_kernarg_segment_ptr 1
		.amdhsa_user_sgpr_dispatch_id 0
		.amdhsa_user_sgpr_flat_scratch_init 0
		.amdhsa_user_sgpr_private_segment_size 0
		.amdhsa_wavefront_size32 1
		.amdhsa_uses_dynamic_stack 0
		.amdhsa_system_sgpr_private_segment_wavefront_offset 0
		.amdhsa_system_sgpr_workgroup_id_x 1
		.amdhsa_system_sgpr_workgroup_id_y 1
		.amdhsa_system_sgpr_workgroup_id_z 1
		.amdhsa_system_sgpr_workgroup_info 0
		.amdhsa_system_vgpr_workitem_id 1
		.amdhsa_next_free_vgpr 162
		.amdhsa_next_free_sgpr 52
		.amdhsa_reserve_vcc 1
		.amdhsa_reserve_flat_scratch 0
		.amdhsa_float_round_mode_32 0
		.amdhsa_float_round_mode_16_64 0
		.amdhsa_float_denorm_mode_32 3
		.amdhsa_float_denorm_mode_16_64 3
		.amdhsa_dx10_clamp 1
		.amdhsa_ieee_mode 1
		.amdhsa_fp16_overflow 0
		.amdhsa_workgroup_processor_mode 1
		.amdhsa_memory_ordered 1
		.amdhsa_forward_progress 1
		.amdhsa_shared_vgpr_count 0
		.amdhsa_exception_fp_ieee_invalid_op 0
		.amdhsa_exception_fp_denorm_src 0
		.amdhsa_exception_fp_ieee_div_zero 0
		.amdhsa_exception_fp_ieee_overflow 0
		.amdhsa_exception_fp_ieee_underflow 0
		.amdhsa_exception_fp_ieee_inexact 0
		.amdhsa_exception_int_div_zero 0
	.end_amdhsa_kernel
	.section	.text._ZN12_GLOBAL__N_127rocblas_gemm_batched_kernelI19rocblas_complex_numIdELi16ELi16ELi32ELi32ELi8ELi32ELi8ELi8ELi32ELc78ELc67EKPKS2_S5_KPS2_EEvlllT_PT11_llSA_llS8_PT12_llPT13_lli,"axG",@progbits,_ZN12_GLOBAL__N_127rocblas_gemm_batched_kernelI19rocblas_complex_numIdELi16ELi16ELi32ELi32ELi8ELi32ELi8ELi8ELi32ELc78ELc67EKPKS2_S5_KPS2_EEvlllT_PT11_llSA_llS8_PT12_llPT13_lli,comdat
.Lfunc_end279:
	.size	_ZN12_GLOBAL__N_127rocblas_gemm_batched_kernelI19rocblas_complex_numIdELi16ELi16ELi32ELi32ELi8ELi32ELi8ELi8ELi32ELc78ELc67EKPKS2_S5_KPS2_EEvlllT_PT11_llSA_llS8_PT12_llPT13_lli, .Lfunc_end279-_ZN12_GLOBAL__N_127rocblas_gemm_batched_kernelI19rocblas_complex_numIdELi16ELi16ELi32ELi32ELi8ELi32ELi8ELi8ELi32ELc78ELc67EKPKS2_S5_KPS2_EEvlllT_PT11_llSA_llS8_PT12_llPT13_lli
                                        ; -- End function
	.set _ZN12_GLOBAL__N_127rocblas_gemm_batched_kernelI19rocblas_complex_numIdELi16ELi16ELi32ELi32ELi8ELi32ELi8ELi8ELi32ELc78ELc67EKPKS2_S5_KPS2_EEvlllT_PT11_llSA_llS8_PT12_llPT13_lli.num_vgpr, 162
	.set _ZN12_GLOBAL__N_127rocblas_gemm_batched_kernelI19rocblas_complex_numIdELi16ELi16ELi32ELi32ELi8ELi32ELi8ELi8ELi32ELc78ELc67EKPKS2_S5_KPS2_EEvlllT_PT11_llSA_llS8_PT12_llPT13_lli.num_agpr, 0
	.set _ZN12_GLOBAL__N_127rocblas_gemm_batched_kernelI19rocblas_complex_numIdELi16ELi16ELi32ELi32ELi8ELi32ELi8ELi8ELi32ELc78ELc67EKPKS2_S5_KPS2_EEvlllT_PT11_llSA_llS8_PT12_llPT13_lli.numbered_sgpr, 52
	.set _ZN12_GLOBAL__N_127rocblas_gemm_batched_kernelI19rocblas_complex_numIdELi16ELi16ELi32ELi32ELi8ELi32ELi8ELi8ELi32ELc78ELc67EKPKS2_S5_KPS2_EEvlllT_PT11_llSA_llS8_PT12_llPT13_lli.num_named_barrier, 0
	.set _ZN12_GLOBAL__N_127rocblas_gemm_batched_kernelI19rocblas_complex_numIdELi16ELi16ELi32ELi32ELi8ELi32ELi8ELi8ELi32ELc78ELc67EKPKS2_S5_KPS2_EEvlllT_PT11_llSA_llS8_PT12_llPT13_lli.private_seg_size, 0
	.set _ZN12_GLOBAL__N_127rocblas_gemm_batched_kernelI19rocblas_complex_numIdELi16ELi16ELi32ELi32ELi8ELi32ELi8ELi8ELi32ELc78ELc67EKPKS2_S5_KPS2_EEvlllT_PT11_llSA_llS8_PT12_llPT13_lli.uses_vcc, 1
	.set _ZN12_GLOBAL__N_127rocblas_gemm_batched_kernelI19rocblas_complex_numIdELi16ELi16ELi32ELi32ELi8ELi32ELi8ELi8ELi32ELc78ELc67EKPKS2_S5_KPS2_EEvlllT_PT11_llSA_llS8_PT12_llPT13_lli.uses_flat_scratch, 0
	.set _ZN12_GLOBAL__N_127rocblas_gemm_batched_kernelI19rocblas_complex_numIdELi16ELi16ELi32ELi32ELi8ELi32ELi8ELi8ELi32ELc78ELc67EKPKS2_S5_KPS2_EEvlllT_PT11_llSA_llS8_PT12_llPT13_lli.has_dyn_sized_stack, 0
	.set _ZN12_GLOBAL__N_127rocblas_gemm_batched_kernelI19rocblas_complex_numIdELi16ELi16ELi32ELi32ELi8ELi32ELi8ELi8ELi32ELc78ELc67EKPKS2_S5_KPS2_EEvlllT_PT11_llSA_llS8_PT12_llPT13_lli.has_recursion, 0
	.set _ZN12_GLOBAL__N_127rocblas_gemm_batched_kernelI19rocblas_complex_numIdELi16ELi16ELi32ELi32ELi8ELi32ELi8ELi8ELi32ELc78ELc67EKPKS2_S5_KPS2_EEvlllT_PT11_llSA_llS8_PT12_llPT13_lli.has_indirect_call, 0
	.section	.AMDGPU.csdata,"",@progbits
; Kernel info:
; codeLenInByte = 3516
; TotalNumSgprs: 54
; NumVgprs: 162
; ScratchSize: 0
; MemoryBound: 0
; FloatMode: 240
; IeeeMode: 1
; LDSByteSize: 8192 bytes/workgroup (compile time only)
; SGPRBlocks: 0
; VGPRBlocks: 20
; NumSGPRsForWavesPerEU: 54
; NumVGPRsForWavesPerEU: 162
; Occupancy: 5
; WaveLimiterHint : 1
; COMPUTE_PGM_RSRC2:SCRATCH_EN: 0
; COMPUTE_PGM_RSRC2:USER_SGPR: 6
; COMPUTE_PGM_RSRC2:TRAP_HANDLER: 0
; COMPUTE_PGM_RSRC2:TGID_X_EN: 1
; COMPUTE_PGM_RSRC2:TGID_Y_EN: 1
; COMPUTE_PGM_RSRC2:TGID_Z_EN: 1
; COMPUTE_PGM_RSRC2:TIDIG_COMP_CNT: 1
	.section	.text._ZN12_GLOBAL__N_127rocblas_gemm_batched_kernelI19rocblas_complex_numIdELi16ELi16ELi32ELi32ELi8ELi32ELi8ELi8ELi32ELc84ELc67EKPKS2_S5_KPS2_EEvlllT_PT11_llSA_llS8_PT12_llPT13_lli,"axG",@progbits,_ZN12_GLOBAL__N_127rocblas_gemm_batched_kernelI19rocblas_complex_numIdELi16ELi16ELi32ELi32ELi8ELi32ELi8ELi8ELi32ELc84ELc67EKPKS2_S5_KPS2_EEvlllT_PT11_llSA_llS8_PT12_llPT13_lli,comdat
	.globl	_ZN12_GLOBAL__N_127rocblas_gemm_batched_kernelI19rocblas_complex_numIdELi16ELi16ELi32ELi32ELi8ELi32ELi8ELi8ELi32ELc84ELc67EKPKS2_S5_KPS2_EEvlllT_PT11_llSA_llS8_PT12_llPT13_lli ; -- Begin function _ZN12_GLOBAL__N_127rocblas_gemm_batched_kernelI19rocblas_complex_numIdELi16ELi16ELi32ELi32ELi8ELi32ELi8ELi8ELi32ELc84ELc67EKPKS2_S5_KPS2_EEvlllT_PT11_llSA_llS8_PT12_llPT13_lli
	.p2align	8
	.type	_ZN12_GLOBAL__N_127rocblas_gemm_batched_kernelI19rocblas_complex_numIdELi16ELi16ELi32ELi32ELi8ELi32ELi8ELi8ELi32ELc84ELc67EKPKS2_S5_KPS2_EEvlllT_PT11_llSA_llS8_PT12_llPT13_lli,@function
_ZN12_GLOBAL__N_127rocblas_gemm_batched_kernelI19rocblas_complex_numIdELi16ELi16ELi32ELi32ELi8ELi32ELi8ELi8ELi32ELc84ELc67EKPKS2_S5_KPS2_EEvlllT_PT11_llSA_llS8_PT12_llPT13_lli: ; @_ZN12_GLOBAL__N_127rocblas_gemm_batched_kernelI19rocblas_complex_numIdELi16ELi16ELi32ELi32ELi8ELi32ELi8ELi8ELi32ELc84ELc67EKPKS2_S5_KPS2_EEvlllT_PT11_llSA_llS8_PT12_llPT13_lli
; %bb.0:
	s_clause 0x1
	s_load_dwordx16 s[12:27], s[4:5], 0x50
	s_load_dwordx16 s[36:51], s[4:5], 0x10
	s_mov_b32 s9, 0
	s_mov_b32 s10, s7
	s_lshl_b64 s[0:1], s[8:9], 3
	s_waitcnt lgkmcnt(0)
	s_add_u32 s2, s18, s0
	s_addc_u32 s3, s19, s1
	s_add_u32 s8, s24, s0
	s_addc_u32 s9, s25, s1
	s_load_dwordx2 s[2:3], s[2:3], 0x0
	s_load_dwordx2 s[8:9], s[8:9], 0x0
	v_cmp_lt_i64_e64 s18, s[36:37], 1
	s_ashr_i32 s7, s6, 31
	s_ashr_i32 s11, s10, 31
	s_lshl_b64 s[6:7], s[6:7], 5
	s_lshl_b64 s[10:11], s[10:11], 5
	s_and_b32 vcc_lo, exec_lo, s18
	s_cbranch_vccnz .LBB280_3
; %bb.1:
	v_lshl_add_u32 v6, v1, 4, v0
	v_and_b32_e32 v7, 7, v0
	v_mov_b32_e32 v18, 0
	v_mov_b32_e32 v14, 0
	v_lshlrev_b32_e32 v24, 4, v0
	v_lshrrev_b32_e32 v8, 3, v6
	v_and_b32_e32 v9, 31, v6
	v_lshrrev_b32_e32 v12, 5, v6
	v_lshlrev_b32_e32 v13, 4, v7
	v_lshl_add_u32 v25, v1, 7, 0x1000
	v_add_co_u32 v2, s18, v8, s10
	v_add_co_ci_u32_e64 v3, null, 0, s11, s18
	v_add_co_u32 v4, s18, s6, v9
	v_add_co_ci_u32_e64 v5, null, s7, 0, s18
	v_mad_u64_u32 v[2:3], null, s50, v7, v[2:3]
	v_mul_lo_u32 v10, s45, v4
	v_mul_lo_u32 v11, s44, v5
	v_mad_u64_u32 v[4:5], null, s44, v4, 0
	s_add_u32 s18, s42, s0
	s_addc_u32 s19, s43, s1
	s_add_u32 s0, s48, s0
	s_addc_u32 s1, s49, s1
	s_load_dwordx2 s[18:19], s[18:19], 0x0
	s_load_dwordx2 s[0:1], s[0:1], 0x0
	v_add3_u32 v5, v5, v11, v10
	v_mad_u64_u32 v[6:7], null, s51, v7, v[3:4]
	v_lshlrev_b32_e32 v3, 4, v9
	s_lshl_b64 s[24:25], s[46:47], 4
	v_lshlrev_b64 v[4:5], 4, v[4:5]
	v_lshl_or_b32 v7, v8, 7, v13
	s_lshl_b64 s[12:13], s[12:13], 4
	v_lshl_or_b32 v22, v12, 9, v3
	v_mov_b32_e32 v3, v6
	v_lshlrev_b32_e32 v6, 4, v12
	v_add_co_u32 v4, vcc_lo, v4, s24
	v_add_co_ci_u32_e64 v5, null, s25, v5, vcc_lo
	v_lshlrev_b64 v[20:21], 4, v[2:3]
	v_add_co_u32 v4, vcc_lo, v4, v6
	v_add_co_ci_u32_e64 v5, null, 0, v5, vcc_lo
	s_waitcnt lgkmcnt(0)
	s_add_u32 s0, s0, s12
	v_add_co_u32 v16, vcc_lo, s18, v4
	v_add_co_ci_u32_e64 v17, null, s19, v5, vcc_lo
	s_addc_u32 s1, s1, s13
	v_add_co_u32 v20, vcc_lo, s0, v20
	v_add_nc_u32_e32 v23, 0x1000, v7
	v_mov_b32_e32 v4, 0
	v_mov_b32_e32 v2, 0
	;; [unrolled: 1-line block ×14, first 2 shown]
	v_add_co_ci_u32_e64 v21, null, s1, v21, vcc_lo
	s_lshl_b64 s[12:13], s[50:51], 7
	s_mov_b64 s[18:19], 0
.LBB280_2:                              ; =>This Inner Loop Header: Depth=1
	flat_load_dwordx4 v[26:29], v[16:17]
	s_add_u32 s18, s18, 8
	s_addc_u32 s19, s19, 0
	v_add_co_u32 v16, vcc_lo, 0x80, v16
	v_cmp_lt_i64_e64 s0, s[18:19], s[36:37]
	v_add_co_ci_u32_e64 v17, null, 0, v17, vcc_lo
	s_and_b32 vcc_lo, exec_lo, s0
	s_waitcnt vmcnt(0) lgkmcnt(0)
	ds_write2_b64 v22, v[26:27], v[28:29] offset1:1
	flat_load_dwordx4 v[26:29], v[20:21]
	v_add_co_u32 v20, s0, v20, s12
	v_add_co_ci_u32_e64 v21, null, s13, v21, s0
	s_waitcnt vmcnt(0) lgkmcnt(0)
	v_xor_b32_e32 v29, 0x80000000, v29
	ds_write_b128 v23, v[26:29]
	s_waitcnt lgkmcnt(0)
	s_barrier
	buffer_gl0_inv
	ds_read_b128 v[26:29], v24
	ds_read_b128 v[30:33], v24 offset:256
	ds_read_b128 v[34:37], v25
	ds_read_b128 v[38:41], v25 offset:16
	ds_read_b128 v[42:45], v25 offset:2048
	;; [unrolled: 1-line block ×28, first 2 shown]
	s_waitcnt lgkmcnt(28)
	v_mul_f64 v[150:151], v[36:37], v[28:29]
	v_mul_f64 v[154:155], v[36:37], v[32:33]
	;; [unrolled: 1-line block ×4, first 2 shown]
	v_fma_f64 v[150:151], v[34:35], v[26:27], -v[150:151]
	v_fma_f64 v[34:35], v[34:35], v[30:31], -v[154:155]
	s_waitcnt lgkmcnt(26)
	v_mul_f64 v[154:155], v[44:45], v[28:29]
	v_mul_f64 v[28:29], v[42:43], v[28:29]
	v_fma_f64 v[152:153], v[36:37], v[26:27], v[152:153]
	v_fma_f64 v[36:37], v[36:37], v[30:31], v[156:157]
	v_add_f64 v[14:15], v[14:15], v[150:151]
	v_add_f64 v[10:11], v[10:11], v[34:35]
	v_fma_f64 v[154:155], v[42:43], v[26:27], -v[154:155]
	v_fma_f64 v[156:157], v[44:45], v[26:27], v[28:29]
	v_mul_f64 v[26:27], v[44:45], v[32:33]
	v_mul_f64 v[28:29], v[42:43], v[32:33]
	v_add_f64 v[18:19], v[152:153], v[18:19]
	v_add_f64 v[12:13], v[36:37], v[12:13]
	s_waitcnt lgkmcnt(16)
	v_mul_f64 v[34:35], v[64:65], v[84:85]
	v_mul_f64 v[36:37], v[62:63], v[84:85]
	s_waitcnt lgkmcnt(15)
	v_mul_f64 v[150:151], v[62:63], v[88:89]
	s_waitcnt lgkmcnt(12)
	v_mul_f64 v[152:153], v[98:99], v[96:97]
	v_add_f64 v[6:7], v[6:7], v[154:155]
	v_add_f64 v[8:9], v[156:157], v[8:9]
	v_fma_f64 v[32:33], v[42:43], v[30:31], -v[26:27]
	v_fma_f64 v[30:31], v[44:45], v[30:31], v[28:29]
	v_mul_f64 v[26:27], v[40:41], v[52:53]
	v_mul_f64 v[28:29], v[38:39], v[52:53]
	v_mul_f64 v[42:43], v[40:41], v[56:57]
	v_mul_f64 v[44:45], v[38:39], v[56:57]
	v_fma_f64 v[34:35], v[62:63], v[82:83], -v[34:35]
	v_fma_f64 v[36:37], v[64:65], v[82:83], v[36:37]
	v_add_f64 v[2:3], v[2:3], v[32:33]
	v_add_f64 v[4:5], v[30:31], v[4:5]
	v_fma_f64 v[158:159], v[38:39], v[50:51], -v[26:27]
	v_fma_f64 v[160:161], v[40:41], v[50:51], v[28:29]
	v_mul_f64 v[26:27], v[48:49], v[52:53]
	v_mul_f64 v[28:29], v[46:47], v[52:53]
	v_fma_f64 v[38:39], v[38:39], v[54:55], -v[42:43]
	v_fma_f64 v[40:41], v[40:41], v[54:55], v[44:45]
	v_mul_f64 v[52:53], v[58:59], v[72:73]
	v_mul_f64 v[30:31], v[80:81], v[84:85]
	;; [unrolled: 1-line block ×4, first 2 shown]
	v_add_f64 v[14:15], v[14:15], v[158:159]
	v_add_f64 v[18:19], v[160:161], v[18:19]
	v_fma_f64 v[42:43], v[46:47], v[50:51], -v[26:27]
	v_fma_f64 v[44:45], v[48:49], v[50:51], v[28:29]
	v_mul_f64 v[26:27], v[48:49], v[56:57]
	v_mul_f64 v[28:29], v[46:47], v[56:57]
	;; [unrolled: 1-line block ×3, first 2 shown]
	v_fma_f64 v[52:53], v[60:61], v[70:71], v[52:53]
	v_add_f64 v[10:11], v[10:11], v[38:39]
	v_add_f64 v[12:13], v[40:41], v[12:13]
	s_waitcnt lgkmcnt(10)
	v_mul_f64 v[38:39], v[108:109], v[92:93]
	v_mul_f64 v[40:41], v[106:107], v[92:93]
	v_fma_f64 v[30:31], v[78:79], v[82:83], -v[30:31]
	v_fma_f64 v[32:33], v[80:81], v[82:83], v[32:33]
	s_waitcnt lgkmcnt(8)
	v_mul_f64 v[82:83], v[112:113], v[116:117]
	v_add_f64 v[6:7], v[6:7], v[42:43]
	v_add_f64 v[8:9], v[44:45], v[8:9]
	v_fma_f64 v[46:47], v[46:47], v[54:55], -v[26:27]
	v_fma_f64 v[48:49], v[48:49], v[54:55], v[28:29]
	v_mul_f64 v[26:27], v[60:61], v[68:69]
	v_mul_f64 v[28:29], v[58:59], v[68:69]
	v_fma_f64 v[50:51], v[58:59], v[70:71], -v[50:51]
	v_mul_f64 v[42:43], v[108:109], v[96:97]
	v_mul_f64 v[44:45], v[106:107], v[96:97]
	v_add_f64 v[12:13], v[52:53], v[12:13]
	s_waitcnt lgkmcnt(7)
	v_mul_f64 v[52:53], v[110:111], v[120:121]
	v_fma_f64 v[38:39], v[106:107], v[90:91], -v[38:39]
	v_fma_f64 v[40:41], v[108:109], v[90:91], v[40:41]
	v_add_f64 v[2:3], v[2:3], v[46:47]
	v_add_f64 v[4:5], v[48:49], v[4:5]
	v_fma_f64 v[54:55], v[58:59], v[66:67], -v[26:27]
	v_fma_f64 v[56:57], v[60:61], v[66:67], v[28:29]
	v_mul_f64 v[26:27], v[76:77], v[68:69]
	v_mul_f64 v[28:29], v[74:75], v[68:69]
	;; [unrolled: 1-line block ×3, first 2 shown]
	v_add_f64 v[10:11], v[10:11], v[50:51]
	v_mul_f64 v[46:47], v[104:105], v[116:117]
	v_mul_f64 v[48:49], v[102:103], v[116:117]
	;; [unrolled: 1-line block ×3, first 2 shown]
	v_fma_f64 v[42:43], v[106:107], v[94:95], -v[42:43]
	v_fma_f64 v[44:45], v[108:109], v[94:95], v[44:45]
	v_fma_f64 v[52:53], v[112:113], v[118:119], v[52:53]
	v_add_f64 v[14:15], v[14:15], v[54:55]
	v_add_f64 v[18:19], v[56:57], v[18:19]
	v_fma_f64 v[58:59], v[74:75], v[66:67], -v[26:27]
	v_fma_f64 v[60:61], v[76:77], v[66:67], v[28:29]
	v_mul_f64 v[66:67], v[76:77], v[72:73]
	v_mul_f64 v[72:73], v[64:65], v[88:89]
	v_fma_f64 v[68:69], v[76:77], v[70:71], v[68:69]
	v_mul_f64 v[76:77], v[100:101], v[92:93]
	v_fma_f64 v[64:65], v[64:65], v[86:87], v[150:151]
	v_mul_f64 v[92:93], v[102:103], v[120:121]
	s_waitcnt lgkmcnt(4)
	v_mul_f64 v[54:55], v[132:133], v[124:125]
	v_mul_f64 v[56:57], v[130:131], v[124:125]
	v_fma_f64 v[46:47], v[102:103], v[114:115], -v[46:47]
	v_fma_f64 v[48:49], v[104:105], v[114:115], v[48:49]
	v_fma_f64 v[50:51], v[110:111], v[118:119], -v[50:51]
	ds_read_b128 v[26:29], v24 offset:3840
	s_waitcnt lgkmcnt(0)
	s_barrier
	buffer_gl0_inv
	v_add_f64 v[14:15], v[14:15], v[34:35]
	v_add_f64 v[18:19], v[36:37], v[18:19]
	;; [unrolled: 1-line block ×4, first 2 shown]
	v_fma_f64 v[66:67], v[74:75], v[70:71], -v[66:67]
	v_mul_f64 v[70:71], v[80:81], v[88:89]
	v_mul_f64 v[74:75], v[78:79], v[88:89]
	;; [unrolled: 1-line block ×3, first 2 shown]
	v_fma_f64 v[62:63], v[62:63], v[86:87], -v[72:73]
	v_add_f64 v[4:5], v[68:69], v[4:5]
	v_mul_f64 v[72:73], v[104:105], v[120:121]
	v_mul_f64 v[96:97], v[110:111], v[116:117]
	v_fma_f64 v[68:69], v[100:101], v[90:91], v[84:85]
	v_add_f64 v[12:13], v[64:65], v[12:13]
	v_mul_f64 v[58:59], v[132:133], v[128:129]
	v_mul_f64 v[60:61], v[130:131], v[128:129]
	;; [unrolled: 1-line block ×5, first 2 shown]
	v_fma_f64 v[54:55], v[130:131], v[122:123], -v[54:55]
	v_fma_f64 v[56:57], v[132:133], v[122:123], v[56:57]
	v_add_f64 v[6:7], v[6:7], v[30:31]
	v_add_f64 v[8:9], v[32:33], v[8:9]
	;; [unrolled: 1-line block ×3, first 2 shown]
	v_fma_f64 v[70:71], v[78:79], v[86:87], -v[70:71]
	v_fma_f64 v[74:75], v[80:81], v[86:87], v[74:75]
	v_fma_f64 v[66:67], v[98:99], v[90:91], -v[76:77]
	v_fma_f64 v[76:77], v[98:99], v[94:95], -v[88:89]
	v_fma_f64 v[78:79], v[100:101], v[94:95], v[152:153]
	v_add_f64 v[10:11], v[10:11], v[62:63]
	v_mul_f64 v[30:31], v[140:141], v[124:125]
	v_mul_f64 v[32:33], v[138:139], v[124:125]
	v_fma_f64 v[80:81], v[112:113], v[114:115], v[96:97]
	v_add_f64 v[18:19], v[68:69], v[18:19]
	v_mul_f64 v[62:63], v[136:137], v[148:149]
	v_fma_f64 v[58:59], v[130:131], v[126:127], -v[58:59]
	v_fma_f64 v[60:61], v[132:133], v[126:127], v[60:61]
	v_fma_f64 v[34:35], v[138:139], v[126:127], -v[34:35]
	v_fma_f64 v[36:37], v[140:141], v[126:127], v[36:37]
	v_add_f64 v[6:7], v[6:7], v[38:39]
	v_add_f64 v[8:9], v[40:41], v[8:9]
	v_mul_f64 v[38:39], v[136:137], v[28:29]
	v_add_f64 v[2:3], v[2:3], v[70:71]
	v_add_f64 v[4:5], v[74:75], v[4:5]
	v_fma_f64 v[70:71], v[102:103], v[118:119], -v[72:73]
	v_fma_f64 v[72:73], v[104:105], v[118:119], v[92:93]
	v_fma_f64 v[74:75], v[110:111], v[114:115], -v[82:83]
	v_add_f64 v[14:15], v[14:15], v[66:67]
	v_add_f64 v[10:11], v[10:11], v[76:77]
	;; [unrolled: 1-line block ×3, first 2 shown]
	v_mul_f64 v[40:41], v[134:135], v[28:29]
	v_mul_f64 v[66:67], v[144:145], v[28:29]
	;; [unrolled: 1-line block ×3, first 2 shown]
	v_fma_f64 v[30:31], v[138:139], v[122:123], -v[30:31]
	v_fma_f64 v[32:33], v[140:141], v[122:123], v[32:33]
	v_add_f64 v[18:19], v[48:49], v[18:19]
	v_fma_f64 v[48:49], v[136:137], v[146:147], v[64:65]
	v_add_f64 v[8:9], v[80:81], v[8:9]
	v_fma_f64 v[38:39], v[134:135], v[26:27], -v[38:39]
	v_add_f64 v[2:3], v[2:3], v[42:43]
	v_add_f64 v[4:5], v[44:45], v[4:5]
	v_mul_f64 v[42:43], v[144:145], v[148:149]
	v_mul_f64 v[44:45], v[142:143], v[148:149]
	v_add_f64 v[6:7], v[6:7], v[74:75]
	v_add_f64 v[14:15], v[14:15], v[46:47]
	;; [unrolled: 1-line block ×4, first 2 shown]
	v_fma_f64 v[46:47], v[134:135], v[146:147], -v[62:63]
	v_fma_f64 v[40:41], v[136:137], v[26:27], v[40:41]
	v_add_f64 v[18:19], v[56:57], v[18:19]
	v_add_f64 v[8:9], v[32:33], v[8:9]
	;; [unrolled: 1-line block ×4, first 2 shown]
	v_fma_f64 v[42:43], v[142:143], v[146:147], -v[42:43]
	v_fma_f64 v[44:45], v[144:145], v[146:147], v[44:45]
	v_fma_f64 v[50:51], v[142:143], v[26:27], -v[66:67]
	v_fma_f64 v[26:27], v[144:145], v[26:27], v[28:29]
	v_add_f64 v[14:15], v[14:15], v[54:55]
	v_add_f64 v[10:11], v[10:11], v[58:59]
	;; [unrolled: 1-line block ×14, first 2 shown]
	s_cbranch_vccnz .LBB280_2
	s_branch .LBB280_4
.LBB280_3:
	v_mov_b32_e32 v14, 0
	v_mov_b32_e32 v18, 0
	v_mov_b32_e32 v10, 0
	v_mov_b32_e32 v12, 0
	v_mov_b32_e32 v6, 0
	v_mov_b32_e32 v8, 0
	v_mov_b32_e32 v2, 0
	v_mov_b32_e32 v4, 0
	v_mov_b32_e32 v15, 0
	v_mov_b32_e32 v19, 0
	v_mov_b32_e32 v11, 0
	v_mov_b32_e32 v13, 0
	v_mov_b32_e32 v7, 0
	v_mov_b32_e32 v9, 0
	v_mov_b32_e32 v3, 0
	v_mov_b32_e32 v5, 0
.LBB280_4:
	s_load_dwordx2 s[0:1], s[4:5], 0x90
	v_cmp_neq_f64_e64 s4, s[14:15], 0
	v_cmp_neq_f64_e64 s5, s[16:17], 0
	v_add_co_u32 v22, s10, s10, v1
	v_add_co_ci_u32_e64 v23, null, s11, 0, s10
	s_waitcnt lgkmcnt(0)
	s_lshl_b64 s[0:1], s[0:1], 4
	s_add_u32 s0, s8, s0
	s_addc_u32 s1, s9, s1
	s_or_b32 s4, s4, s5
	v_add_co_u32 v0, s5, s6, v0
	v_add_co_ci_u32_e64 v1, null, s7, 0, s5
	s_and_b32 vcc_lo, exec_lo, s4
	s_cbranch_vccnz .LBB280_6
; %bb.5:
	v_mul_f64 v[20:21], s[40:41], v[18:19]
	v_mul_f64 v[26:27], s[38:39], v[18:19]
	;; [unrolled: 1-line block ×4, first 2 shown]
	v_mul_lo_u32 v24, v23, s26
	v_mul_lo_u32 v25, v22, s27
	v_mad_u64_u32 v[16:17], null, v22, s26, 0
	v_mul_f64 v[28:29], s[40:41], v[12:13]
	v_mul_f64 v[30:31], s[38:39], v[12:13]
	;; [unrolled: 1-line block ×4, first 2 shown]
	s_lshl_b64 s[4:5], s[26:27], 8
	v_lshlrev_b64 v[40:41], 4, v[0:1]
	v_add3_u32 v17, v17, v25, v24
	v_lshlrev_b64 v[16:17], 4, v[16:17]
	v_fma_f64 v[24:25], s[38:39], v[14:15], -v[20:21]
	v_fma_f64 v[26:27], s[40:41], v[14:15], v[26:27]
	v_fma_f64 v[36:37], s[38:39], v[2:3], -v[36:37]
	v_add_co_u32 v42, vcc_lo, s0, v16
	v_add_co_ci_u32_e64 v43, null, s1, v17, vcc_lo
	v_fma_f64 v[16:17], s[40:41], v[2:3], v[38:39]
	v_fma_f64 v[28:29], s[38:39], v[10:11], -v[28:29]
	v_fma_f64 v[30:31], s[40:41], v[10:11], v[30:31]
	v_fma_f64 v[32:33], s[38:39], v[6:7], -v[32:33]
	v_fma_f64 v[34:35], s[40:41], v[6:7], v[34:35]
	v_add_co_u32 v20, vcc_lo, v42, s4
	v_add_co_ci_u32_e64 v21, null, s5, v43, vcc_lo
	v_add_co_u32 v38, vcc_lo, v20, v40
	v_add_co_ci_u32_e64 v39, null, v21, v41, vcc_lo
	;; [unrolled: 2-line block ×4, first 2 shown]
	flat_store_dwordx4 v[40:41], v[24:27]
	flat_store_dwordx4 v[40:41], v[28:31] offset:256
	flat_store_dwordx4 v[38:39], v[32:35]
	flat_store_dwordx2 v[38:39], v[36:37] offset:256
	s_cbranch_execz .LBB280_7
	s_branch .LBB280_8
.LBB280_6:
                                        ; implicit-def: $vgpr16_vgpr17
                                        ; implicit-def: $vgpr20_vgpr21
.LBB280_7:
	v_mul_lo_u32 v20, v23, s20
	v_mul_lo_u32 v21, v22, s21
	v_mad_u64_u32 v[16:17], null, v22, s20, 0
	s_lshl_b64 s[4:5], s[22:23], 4
	v_lshlrev_b64 v[0:1], 4, v[0:1]
	s_add_u32 s2, s2, s4
	s_addc_u32 s3, s3, s5
	v_add3_u32 v17, v17, v21, v20
	v_lshlrev_b64 v[16:17], 4, v[16:17]
	v_add_co_u32 v30, vcc_lo, s2, v16
	v_add_co_ci_u32_e64 v31, null, s3, v17, vcc_lo
	v_mul_f64 v[16:17], s[40:41], v[18:19]
	v_add_co_u32 v20, vcc_lo, v30, v0
	v_add_co_ci_u32_e64 v21, null, v31, v1, vcc_lo
	v_mul_f64 v[18:19], s[38:39], v[18:19]
	flat_load_dwordx4 v[24:27], v[20:21]
	v_fma_f64 v[16:17], s[38:39], v[14:15], -v[16:17]
	v_fma_f64 v[18:19], s[40:41], v[14:15], v[18:19]
	s_waitcnt vmcnt(0) lgkmcnt(0)
	v_mul_f64 v[28:29], s[16:17], v[26:27]
	v_mul_f64 v[26:27], s[14:15], v[26:27]
	v_fma_f64 v[14:15], s[14:15], v[24:25], -v[28:29]
	v_fma_f64 v[24:25], s[16:17], v[24:25], v[26:27]
	v_mul_lo_u32 v26, v23, s26
	v_mul_lo_u32 v27, v22, s27
	v_mad_u64_u32 v[22:23], null, v22, s26, 0
	v_add3_u32 v23, v23, v27, v26
	v_add_f64 v[14:15], v[16:17], v[14:15]
	v_add_f64 v[16:17], v[18:19], v[24:25]
	v_lshlrev_b64 v[18:19], 4, v[22:23]
	v_add_co_u32 v24, vcc_lo, s0, v18
	v_add_co_ci_u32_e64 v25, null, s1, v19, vcc_lo
	s_lshl_b64 s[0:1], s[20:21], 8
	v_add_co_u32 v18, vcc_lo, v24, v0
	v_add_co_ci_u32_e64 v19, null, v25, v1, vcc_lo
	flat_store_dwordx4 v[18:19], v[14:17]
	flat_load_dwordx4 v[14:17], v[20:21] offset:256
	v_mul_f64 v[20:21], s[40:41], v[12:13]
	v_mul_f64 v[12:13], s[38:39], v[12:13]
	v_fma_f64 v[20:21], s[38:39], v[10:11], -v[20:21]
	v_fma_f64 v[12:13], s[40:41], v[10:11], v[12:13]
	s_waitcnt vmcnt(0) lgkmcnt(0)
	v_mul_f64 v[22:23], s[16:17], v[16:17]
	v_mul_f64 v[16:17], s[14:15], v[16:17]
	v_fma_f64 v[10:11], s[14:15], v[14:15], -v[22:23]
	v_fma_f64 v[14:15], s[16:17], v[14:15], v[16:17]
	v_mul_f64 v[16:17], s[40:41], v[8:9]
	v_mul_f64 v[8:9], s[38:39], v[8:9]
	v_add_f64 v[10:11], v[20:21], v[10:11]
	v_add_f64 v[12:13], v[12:13], v[14:15]
	v_add_co_u32 v14, vcc_lo, v30, s0
	v_add_co_ci_u32_e64 v15, null, s1, v31, vcc_lo
	v_fma_f64 v[16:17], s[38:39], v[6:7], -v[16:17]
	v_add_co_u32 v14, vcc_lo, v14, v0
	v_add_co_ci_u32_e64 v15, null, v15, v1, vcc_lo
	v_fma_f64 v[8:9], s[40:41], v[6:7], v[8:9]
	s_lshl_b64 s[0:1], s[26:27], 8
	flat_store_dwordx4 v[18:19], v[10:13] offset:256
	flat_load_dwordx4 v[10:13], v[14:15]
	s_waitcnt vmcnt(0) lgkmcnt(0)
	v_mul_f64 v[18:19], s[16:17], v[12:13]
	v_mul_f64 v[12:13], s[14:15], v[12:13]
	v_fma_f64 v[6:7], s[14:15], v[10:11], -v[18:19]
	v_fma_f64 v[10:11], s[16:17], v[10:11], v[12:13]
	v_add_f64 v[6:7], v[16:17], v[6:7]
	v_add_f64 v[8:9], v[8:9], v[10:11]
	v_add_co_u32 v10, vcc_lo, v24, s0
	v_add_co_ci_u32_e64 v11, null, s1, v25, vcc_lo
	v_add_co_u32 v0, vcc_lo, v10, v0
	v_add_co_ci_u32_e64 v1, null, v11, v1, vcc_lo
	v_mul_f64 v[10:11], s[40:41], v[4:5]
	v_mul_f64 v[4:5], s[38:39], v[4:5]
	v_add_co_u32 v20, vcc_lo, 0x100, v0
	v_add_co_ci_u32_e64 v21, null, 0, v1, vcc_lo
	flat_store_dwordx4 v[0:1], v[6:9]
	flat_load_dwordx4 v[6:9], v[14:15] offset:256
	v_fma_f64 v[10:11], s[38:39], v[2:3], -v[10:11]
	v_fma_f64 v[2:3], s[40:41], v[2:3], v[4:5]
	s_waitcnt vmcnt(0) lgkmcnt(0)
	v_mul_f64 v[12:13], s[16:17], v[8:9]
	v_mul_f64 v[8:9], s[14:15], v[8:9]
	v_fma_f64 v[4:5], s[14:15], v[6:7], -v[12:13]
	v_fma_f64 v[6:7], s[16:17], v[6:7], v[8:9]
	v_add_f64 v[4:5], v[10:11], v[4:5]
	v_add_f64 v[16:17], v[2:3], v[6:7]
	flat_store_dwordx2 v[0:1], v[4:5] offset:256
.LBB280_8:
	flat_store_dwordx2 v[20:21], v[16:17] offset:8
	s_endpgm
	.section	.rodata,"a",@progbits
	.p2align	6, 0x0
	.amdhsa_kernel _ZN12_GLOBAL__N_127rocblas_gemm_batched_kernelI19rocblas_complex_numIdELi16ELi16ELi32ELi32ELi8ELi32ELi8ELi8ELi32ELc84ELc67EKPKS2_S5_KPS2_EEvlllT_PT11_llSA_llS8_PT12_llPT13_lli
		.amdhsa_group_segment_fixed_size 8192
		.amdhsa_private_segment_fixed_size 0
		.amdhsa_kernarg_size 156
		.amdhsa_user_sgpr_count 6
		.amdhsa_user_sgpr_private_segment_buffer 1
		.amdhsa_user_sgpr_dispatch_ptr 0
		.amdhsa_user_sgpr_queue_ptr 0
		.amdhsa_user_sgpr_kernarg_segment_ptr 1
		.amdhsa_user_sgpr_dispatch_id 0
		.amdhsa_user_sgpr_flat_scratch_init 0
		.amdhsa_user_sgpr_private_segment_size 0
		.amdhsa_wavefront_size32 1
		.amdhsa_uses_dynamic_stack 0
		.amdhsa_system_sgpr_private_segment_wavefront_offset 0
		.amdhsa_system_sgpr_workgroup_id_x 1
		.amdhsa_system_sgpr_workgroup_id_y 1
		.amdhsa_system_sgpr_workgroup_id_z 1
		.amdhsa_system_sgpr_workgroup_info 0
		.amdhsa_system_vgpr_workitem_id 1
		.amdhsa_next_free_vgpr 162
		.amdhsa_next_free_sgpr 52
		.amdhsa_reserve_vcc 1
		.amdhsa_reserve_flat_scratch 0
		.amdhsa_float_round_mode_32 0
		.amdhsa_float_round_mode_16_64 0
		.amdhsa_float_denorm_mode_32 3
		.amdhsa_float_denorm_mode_16_64 3
		.amdhsa_dx10_clamp 1
		.amdhsa_ieee_mode 1
		.amdhsa_fp16_overflow 0
		.amdhsa_workgroup_processor_mode 1
		.amdhsa_memory_ordered 1
		.amdhsa_forward_progress 1
		.amdhsa_shared_vgpr_count 0
		.amdhsa_exception_fp_ieee_invalid_op 0
		.amdhsa_exception_fp_denorm_src 0
		.amdhsa_exception_fp_ieee_div_zero 0
		.amdhsa_exception_fp_ieee_overflow 0
		.amdhsa_exception_fp_ieee_underflow 0
		.amdhsa_exception_fp_ieee_inexact 0
		.amdhsa_exception_int_div_zero 0
	.end_amdhsa_kernel
	.section	.text._ZN12_GLOBAL__N_127rocblas_gemm_batched_kernelI19rocblas_complex_numIdELi16ELi16ELi32ELi32ELi8ELi32ELi8ELi8ELi32ELc84ELc67EKPKS2_S5_KPS2_EEvlllT_PT11_llSA_llS8_PT12_llPT13_lli,"axG",@progbits,_ZN12_GLOBAL__N_127rocblas_gemm_batched_kernelI19rocblas_complex_numIdELi16ELi16ELi32ELi32ELi8ELi32ELi8ELi8ELi32ELc84ELc67EKPKS2_S5_KPS2_EEvlllT_PT11_llSA_llS8_PT12_llPT13_lli,comdat
.Lfunc_end280:
	.size	_ZN12_GLOBAL__N_127rocblas_gemm_batched_kernelI19rocblas_complex_numIdELi16ELi16ELi32ELi32ELi8ELi32ELi8ELi8ELi32ELc84ELc67EKPKS2_S5_KPS2_EEvlllT_PT11_llSA_llS8_PT12_llPT13_lli, .Lfunc_end280-_ZN12_GLOBAL__N_127rocblas_gemm_batched_kernelI19rocblas_complex_numIdELi16ELi16ELi32ELi32ELi8ELi32ELi8ELi8ELi32ELc84ELc67EKPKS2_S5_KPS2_EEvlllT_PT11_llSA_llS8_PT12_llPT13_lli
                                        ; -- End function
	.set _ZN12_GLOBAL__N_127rocblas_gemm_batched_kernelI19rocblas_complex_numIdELi16ELi16ELi32ELi32ELi8ELi32ELi8ELi8ELi32ELc84ELc67EKPKS2_S5_KPS2_EEvlllT_PT11_llSA_llS8_PT12_llPT13_lli.num_vgpr, 162
	.set _ZN12_GLOBAL__N_127rocblas_gemm_batched_kernelI19rocblas_complex_numIdELi16ELi16ELi32ELi32ELi8ELi32ELi8ELi8ELi32ELc84ELc67EKPKS2_S5_KPS2_EEvlllT_PT11_llSA_llS8_PT12_llPT13_lli.num_agpr, 0
	.set _ZN12_GLOBAL__N_127rocblas_gemm_batched_kernelI19rocblas_complex_numIdELi16ELi16ELi32ELi32ELi8ELi32ELi8ELi8ELi32ELc84ELc67EKPKS2_S5_KPS2_EEvlllT_PT11_llSA_llS8_PT12_llPT13_lli.numbered_sgpr, 52
	.set _ZN12_GLOBAL__N_127rocblas_gemm_batched_kernelI19rocblas_complex_numIdELi16ELi16ELi32ELi32ELi8ELi32ELi8ELi8ELi32ELc84ELc67EKPKS2_S5_KPS2_EEvlllT_PT11_llSA_llS8_PT12_llPT13_lli.num_named_barrier, 0
	.set _ZN12_GLOBAL__N_127rocblas_gemm_batched_kernelI19rocblas_complex_numIdELi16ELi16ELi32ELi32ELi8ELi32ELi8ELi8ELi32ELc84ELc67EKPKS2_S5_KPS2_EEvlllT_PT11_llSA_llS8_PT12_llPT13_lli.private_seg_size, 0
	.set _ZN12_GLOBAL__N_127rocblas_gemm_batched_kernelI19rocblas_complex_numIdELi16ELi16ELi32ELi32ELi8ELi32ELi8ELi8ELi32ELc84ELc67EKPKS2_S5_KPS2_EEvlllT_PT11_llSA_llS8_PT12_llPT13_lli.uses_vcc, 1
	.set _ZN12_GLOBAL__N_127rocblas_gemm_batched_kernelI19rocblas_complex_numIdELi16ELi16ELi32ELi32ELi8ELi32ELi8ELi8ELi32ELc84ELc67EKPKS2_S5_KPS2_EEvlllT_PT11_llSA_llS8_PT12_llPT13_lli.uses_flat_scratch, 0
	.set _ZN12_GLOBAL__N_127rocblas_gemm_batched_kernelI19rocblas_complex_numIdELi16ELi16ELi32ELi32ELi8ELi32ELi8ELi8ELi32ELc84ELc67EKPKS2_S5_KPS2_EEvlllT_PT11_llSA_llS8_PT12_llPT13_lli.has_dyn_sized_stack, 0
	.set _ZN12_GLOBAL__N_127rocblas_gemm_batched_kernelI19rocblas_complex_numIdELi16ELi16ELi32ELi32ELi8ELi32ELi8ELi8ELi32ELc84ELc67EKPKS2_S5_KPS2_EEvlllT_PT11_llSA_llS8_PT12_llPT13_lli.has_recursion, 0
	.set _ZN12_GLOBAL__N_127rocblas_gemm_batched_kernelI19rocblas_complex_numIdELi16ELi16ELi32ELi32ELi8ELi32ELi8ELi8ELi32ELc84ELc67EKPKS2_S5_KPS2_EEvlllT_PT11_llSA_llS8_PT12_llPT13_lli.has_indirect_call, 0
	.section	.AMDGPU.csdata,"",@progbits
; Kernel info:
; codeLenInByte = 3556
; TotalNumSgprs: 54
; NumVgprs: 162
; ScratchSize: 0
; MemoryBound: 0
; FloatMode: 240
; IeeeMode: 1
; LDSByteSize: 8192 bytes/workgroup (compile time only)
; SGPRBlocks: 0
; VGPRBlocks: 20
; NumSGPRsForWavesPerEU: 54
; NumVGPRsForWavesPerEU: 162
; Occupancy: 5
; WaveLimiterHint : 1
; COMPUTE_PGM_RSRC2:SCRATCH_EN: 0
; COMPUTE_PGM_RSRC2:USER_SGPR: 6
; COMPUTE_PGM_RSRC2:TRAP_HANDLER: 0
; COMPUTE_PGM_RSRC2:TGID_X_EN: 1
; COMPUTE_PGM_RSRC2:TGID_Y_EN: 1
; COMPUTE_PGM_RSRC2:TGID_Z_EN: 1
; COMPUTE_PGM_RSRC2:TIDIG_COMP_CNT: 1
	.section	.text._ZN12_GLOBAL__N_135rocblas_gemm_batched_general_kernelI19rocblas_complex_numIdELi16ELi16ELi32ELi32ELi8ELi32ELi8ELi8ELi32ELc78ELc78EKPKS2_S5_KPS2_EEvlllT_PT11_llSA_llS8_PT12_llPT13_lli,"axG",@progbits,_ZN12_GLOBAL__N_135rocblas_gemm_batched_general_kernelI19rocblas_complex_numIdELi16ELi16ELi32ELi32ELi8ELi32ELi8ELi8ELi32ELc78ELc78EKPKS2_S5_KPS2_EEvlllT_PT11_llSA_llS8_PT12_llPT13_lli,comdat
	.globl	_ZN12_GLOBAL__N_135rocblas_gemm_batched_general_kernelI19rocblas_complex_numIdELi16ELi16ELi32ELi32ELi8ELi32ELi8ELi8ELi32ELc78ELc78EKPKS2_S5_KPS2_EEvlllT_PT11_llSA_llS8_PT12_llPT13_lli ; -- Begin function _ZN12_GLOBAL__N_135rocblas_gemm_batched_general_kernelI19rocblas_complex_numIdELi16ELi16ELi32ELi32ELi8ELi32ELi8ELi8ELi32ELc78ELc78EKPKS2_S5_KPS2_EEvlllT_PT11_llSA_llS8_PT12_llPT13_lli
	.p2align	8
	.type	_ZN12_GLOBAL__N_135rocblas_gemm_batched_general_kernelI19rocblas_complex_numIdELi16ELi16ELi32ELi32ELi8ELi32ELi8ELi8ELi32ELc78ELc78EKPKS2_S5_KPS2_EEvlllT_PT11_llSA_llS8_PT12_llPT13_lli,@function
_ZN12_GLOBAL__N_135rocblas_gemm_batched_general_kernelI19rocblas_complex_numIdELi16ELi16ELi32ELi32ELi8ELi32ELi8ELi8ELi32ELc78ELc78EKPKS2_S5_KPS2_EEvlllT_PT11_llSA_llS8_PT12_llPT13_lli: ; @_ZN12_GLOBAL__N_135rocblas_gemm_batched_general_kernelI19rocblas_complex_numIdELi16ELi16ELi32ELi32ELi8ELi32ELi8ELi8ELi32ELc78ELc78EKPKS2_S5_KPS2_EEvlllT_PT11_llSA_llS8_PT12_llPT13_lli
; %bb.0:
	s_clause 0x2
	s_load_dwordx16 s[12:27], s[4:5], 0x40
	s_load_dwordx4 s[28:31], s[4:5], 0x80
	s_load_dwordx16 s[36:51], s[4:5], 0x0
	s_mov_b32 s9, 0
	s_load_dwordx2 s[2:3], s[4:5], 0x90
	s_lshl_b64 s[0:1], s[8:9], 3
	s_mov_b32 s34, s7
	v_mov_b32_e32 v2, 0
	s_waitcnt lgkmcnt(0)
	s_add_u32 s4, s22, s0
	s_addc_u32 s5, s23, s1
	s_add_u32 s8, s28, s0
	s_addc_u32 s9, s29, s1
	s_load_dwordx2 s[4:5], s[4:5], 0x0
	s_load_dwordx2 s[10:11], s[8:9], 0x0
	v_cmp_lt_i64_e64 s22, s[40:41], 1
	s_ashr_i32 s7, s6, 31
	s_ashr_i32 s35, s34, 31
	s_lshl_b64 s[8:9], s[6:7], 5
	s_and_b32 vcc_lo, exec_lo, s22
	s_lshl_b64 s[22:23], s[34:35], 5
	s_cbranch_vccnz .LBB281_11
; %bb.1:
	v_lshl_add_u32 v3, v1, 4, v0
	v_and_b32_e32 v26, 7, v0
	s_add_u32 s12, s12, s0
	s_addc_u32 s13, s13, s1
	s_add_u32 s0, s46, s0
	v_lshrrev_b32_e32 v13, 3, v3
	v_lshrrev_b32_e32 v27, 5, v3
	v_and_b32_e32 v9, 31, v3
	v_lshlrev_b32_e32 v15, 4, v26
	s_load_dwordx2 s[12:13], s[12:13], 0x0
	v_add_co_u32 v5, s28, v13, s22
	v_add_co_ci_u32_e64 v6, null, 0, s23, s28
	v_mad_u64_u32 v[3:4], null, s48, v27, 0
	v_or_b32_e32 v7, s8, v9
	v_lshlrev_b32_e32 v14, 4, v9
	v_mul_lo_u32 v16, s15, v5
	v_mul_lo_u32 v17, s14, v6
	v_mad_u64_u32 v[9:10], null, s14, v5, 0
	v_mad_u64_u32 v[11:12], null, s49, v27, v[4:5]
	v_lshl_or_b32 v4, v13, 7, v15
	s_addc_u32 s1, s47, s1
	s_lshl_b64 s[16:17], s[16:17], 4
	s_load_dwordx2 s[14:15], s[0:1], 0x0
	v_add3_u32 v10, v10, v17, v16
	v_add_nc_u32_e32 v29, 0x1000, v4
	v_mov_b32_e32 v4, v11
	v_cmp_gt_i64_e64 s0, s[38:39], v[5:6]
	s_lshl_b64 s[6:7], s[6:7], 9
	v_lshlrev_b64 v[5:6], 4, v[9:10]
	s_lshl_b64 s[28:29], s[50:51], 4
	v_lshlrev_b64 v[3:4], 4, v[3:4]
	v_mov_b32_e32 v8, s9
	v_lshl_or_b32 v28, v27, 9, v14
	v_mov_b32_e32 v12, 0
	v_add_co_u32 v5, s1, v5, s16
	v_add_co_ci_u32_e64 v6, null, s17, v6, s1
	s_add_u32 s1, s28, s6
	s_addc_u32 s6, s29, s7
	v_add_co_u32 v3, s1, s1, v3
	v_add_co_ci_u32_e64 v4, null, s6, v4, s1
	v_add_co_u32 v5, s1, v5, v15
	v_add_co_ci_u32_e64 v6, null, 0, v6, s1
	;; [unrolled: 2-line block ×3, first 2 shown]
	s_waitcnt lgkmcnt(0)
	v_add_co_u32 v22, s1, s12, v5
	v_cmp_gt_i64_e32 vcc_lo, s[36:37], v[7:8]
	v_add_co_ci_u32_e64 v23, null, s13, v6, s1
	v_add_co_u32 v24, s1, s14, v3
	v_mov_b32_e32 v8, 0
	v_mov_b32_e32 v6, 0
	;; [unrolled: 1-line block ×7, first 2 shown]
	v_lshlrev_b32_e32 v30, 4, v0
	v_lshl_add_u32 v31, v1, 7, 0x1000
	v_add_co_ci_u32_e64 v25, null, s15, v4, s1
	v_mov_b32_e32 v9, 0
	v_mov_b32_e32 v7, 0
	;; [unrolled: 1-line block ×8, first 2 shown]
	s_lshl_b64 s[6:7], s[48:49], 7
	s_mov_b64 s[12:13], 0
	s_xor_b32 s1, vcc_lo, -1
	s_xor_b32 s0, s0, -1
	s_branch .LBB281_3
.LBB281_2:                              ;   in Loop: Header=BB281_3 Depth=1
	s_or_b32 exec_lo, exec_lo, s14
	s_waitcnt lgkmcnt(0)
	s_barrier
	buffer_gl0_inv
	ds_read_b128 v[32:35], v31
	ds_read_b128 v[36:39], v30
	ds_read_b128 v[40:43], v30 offset:256
	ds_read_b128 v[44:47], v31 offset:2048
	;; [unrolled: 1-line block ×12, first 2 shown]
	s_add_u32 s12, s12, 8
	s_addc_u32 s13, s13, 0
	v_add_co_u32 v22, vcc_lo, 0x80, v22
	v_cmp_lt_i64_e64 s14, s[12:13], s[40:41]
	v_add_co_ci_u32_e64 v23, null, 0, v23, vcc_lo
	s_waitcnt lgkmcnt(12)
	v_mul_f64 v[3:4], v[34:35], v[38:39]
	v_mul_f64 v[88:89], v[32:33], v[38:39]
	s_waitcnt lgkmcnt(11)
	v_mul_f64 v[90:91], v[34:35], v[42:43]
	v_mul_f64 v[92:93], v[32:33], v[42:43]
	;; [unrolled: 3-line block ×3, first 2 shown]
	v_mul_f64 v[96:97], v[46:47], v[42:43]
	v_mul_f64 v[42:43], v[44:45], v[42:43]
	s_waitcnt lgkmcnt(8)
	v_mul_f64 v[98:99], v[50:51], v[54:55]
	v_mul_f64 v[100:101], v[48:49], v[54:55]
	s_waitcnt lgkmcnt(7)
	;; [unrolled: 3-line block ×3, first 2 shown]
	v_mul_f64 v[106:107], v[62:63], v[54:55]
	v_mul_f64 v[54:55], v[60:61], v[54:55]
	;; [unrolled: 1-line block ×4, first 2 shown]
	s_waitcnt lgkmcnt(4)
	v_mul_f64 v[110:111], v[66:67], v[70:71]
	v_mul_f64 v[112:113], v[64:65], v[70:71]
	s_waitcnt lgkmcnt(3)
	v_mul_f64 v[114:115], v[66:67], v[74:75]
	v_mul_f64 v[116:117], v[64:65], v[74:75]
	;; [unrolled: 3-line block ×3, first 2 shown]
	v_fma_f64 v[3:4], v[32:33], v[36:37], -v[3:4]
	v_fma_f64 v[88:89], v[34:35], v[36:37], v[88:89]
	v_fma_f64 v[90:91], v[32:33], v[40:41], -v[90:91]
	v_fma_f64 v[92:93], v[34:35], v[40:41], v[92:93]
	;; [unrolled: 2-line block ×4, first 2 shown]
	v_mul_f64 v[124:125], v[78:79], v[74:75]
	v_mul_f64 v[74:75], v[76:77], v[74:75]
	ds_read_b128 v[32:35], v30 offset:1536
	ds_read_b128 v[36:39], v30 offset:1792
	v_fma_f64 v[98:99], v[48:49], v[52:53], -v[98:99]
	v_fma_f64 v[100:101], v[50:51], v[52:53], v[100:101]
	v_fma_f64 v[102:103], v[48:49], v[56:57], -v[102:103]
	v_fma_f64 v[104:105], v[50:51], v[56:57], v[104:105]
	;; [unrolled: 2-line block ×7, first 2 shown]
	v_add_f64 v[18:19], v[18:19], v[3:4]
	v_add_f64 v[20:21], v[88:89], v[20:21]
	;; [unrolled: 1-line block ×4, first 2 shown]
	s_waitcnt lgkmcnt(1)
	v_mul_f64 v[110:111], v[82:83], v[34:35]
	v_mul_f64 v[112:113], v[80:81], v[34:35]
	s_waitcnt lgkmcnt(0)
	v_mul_f64 v[70:71], v[82:83], v[38:39]
	v_mul_f64 v[114:115], v[80:81], v[38:39]
	v_fma_f64 v[76:77], v[76:77], v[72:73], -v[124:125]
	v_fma_f64 v[72:73], v[78:79], v[72:73], v[74:75]
	v_add_f64 v[74:75], v[10:11], v[94:95]
	v_add_f64 v[11:12], v[120:121], v[12:13]
	v_add_f64 v[78:79], v[6:7], v[96:97]
	v_add_f64 v[88:89], v[122:123], v[8:9]
	ds_read_b128 v[40:43], v31 offset:64
	ds_read_b128 v[44:47], v30 offset:2048
	;; [unrolled: 1-line block ×4, first 2 shown]
	v_mul_f64 v[116:117], v[86:87], v[34:35]
	v_mul_f64 v[34:35], v[84:85], v[34:35]
	;; [unrolled: 1-line block ×4, first 2 shown]
	ds_read_b128 v[48:51], v30 offset:2304
	v_add_f64 v[98:99], v[18:19], v[98:99]
	v_add_f64 v[19:20], v[100:101], v[20:21]
	;; [unrolled: 1-line block ×4, first 2 shown]
	v_fma_f64 v[92:93], v[80:81], v[32:33], -v[110:111]
	v_fma_f64 v[94:95], v[82:83], v[32:33], v[112:113]
	v_fma_f64 v[70:71], v[80:81], v[36:37], -v[70:71]
	v_fma_f64 v[82:83], v[82:83], v[36:37], v[114:115]
	ds_read_b128 v[3:6], v31 offset:80
	ds_read_b128 v[15:18], v30 offset:2816
	v_add_f64 v[74:75], v[74:75], v[106:107]
	v_add_f64 v[104:105], v[126:127], v[11:12]
	s_waitcnt lgkmcnt(5)
	v_mul_f64 v[80:81], v[42:43], v[46:47]
	v_mul_f64 v[96:97], v[40:41], v[46:47]
	s_waitcnt lgkmcnt(4)
	v_mul_f64 v[114:115], v[54:55], v[46:47]
	v_mul_f64 v[46:47], v[52:53], v[46:47]
	v_add_f64 v[60:61], v[78:79], v[60:61]
	v_add_f64 v[56:57], v[56:57], v[88:89]
	v_fma_f64 v[78:79], v[84:85], v[32:33], -v[116:117]
	v_fma_f64 v[88:89], v[86:87], v[32:33], v[34:35]
	ds_read_b128 v[11:14], v30 offset:2560
	s_waitcnt lgkmcnt(3)
	v_mul_f64 v[110:111], v[42:43], v[50:51]
	v_mul_f64 v[112:113], v[40:41], v[50:51]
	v_fma_f64 v[84:85], v[84:85], v[36:37], -v[90:91]
	v_fma_f64 v[86:87], v[86:87], v[36:37], v[38:39]
	v_mul_f64 v[36:37], v[54:55], v[50:51]
	v_mul_f64 v[38:39], v[52:53], v[50:51]
	v_add_co_u32 v24, vcc_lo, v24, s6
	v_add_co_ci_u32_e64 v25, null, s7, v25, vcc_lo
	s_and_b32 vcc_lo, exec_lo, s14
	v_add_f64 v[68:69], v[68:69], v[104:105]
	v_fma_f64 v[80:81], v[40:41], v[44:45], -v[80:81]
	v_fma_f64 v[90:91], v[42:43], v[44:45], v[96:97]
	v_fma_f64 v[50:51], v[52:53], v[44:45], -v[114:115]
	v_fma_f64 v[44:45], v[54:55], v[44:45], v[46:47]
	v_add_f64 v[46:47], v[98:99], v[58:59]
	v_add_f64 v[58:59], v[62:63], v[19:20]
	;; [unrolled: 1-line block ×7, first 2 shown]
	v_fma_f64 v[96:97], v[40:41], v[48:49], -v[110:111]
	v_fma_f64 v[106:107], v[42:43], v[48:49], v[112:113]
	s_waitcnt lgkmcnt(0)
	v_mul_f64 v[72:73], v[5:6], v[13:14]
	v_mul_f64 v[74:75], v[3:4], v[13:14]
	;; [unrolled: 1-line block ×8, first 2 shown]
	v_fma_f64 v[52:53], v[52:53], v[48:49], -v[36:37]
	v_fma_f64 v[48:49], v[54:55], v[48:49], v[38:39]
	ds_read_b128 v[17:20], v31 offset:96
	ds_read_b128 v[32:35], v30 offset:3072
	;; [unrolled: 1-line block ×4, first 2 shown]
	v_add_f64 v[46:47], v[46:47], v[92:93]
	v_add_f64 v[54:55], v[94:95], v[58:59]
	;; [unrolled: 1-line block ×8, first 2 shown]
	v_fma_f64 v[68:69], v[3:4], v[11:12], -v[72:73]
	v_fma_f64 v[70:71], v[5:6], v[11:12], v[74:75]
	v_fma_f64 v[72:73], v[3:4], v[15:16], -v[76:77]
	v_fma_f64 v[74:75], v[5:6], v[15:16], v[98:99]
	v_fma_f64 v[76:77], v[7:8], v[11:12], -v[100:101]
	v_fma_f64 v[78:79], v[9:10], v[11:12], v[13:14]
	v_fma_f64 v[82:83], v[7:8], v[15:16], -v[102:103]
	v_fma_f64 v[15:16], v[9:10], v[15:16], v[104:105]
	s_waitcnt lgkmcnt(2)
	v_mul_f64 v[84:85], v[19:20], v[34:35]
	v_mul_f64 v[86:87], v[17:18], v[34:35]
	s_waitcnt lgkmcnt(1)
	v_mul_f64 v[88:89], v[19:20], v[38:39]
	v_mul_f64 v[92:93], v[17:18], v[38:39]
	;; [unrolled: 3-line block ×3, first 2 shown]
	v_add_f64 v[80:81], v[46:47], v[80:81]
	v_add_f64 v[54:55], v[90:91], v[54:55]
	;; [unrolled: 1-line block ×8, first 2 shown]
	v_mul_f64 v[56:57], v[42:43], v[38:39]
	v_mul_f64 v[38:39], v[40:41], v[38:39]
	ds_read_b128 v[3:6], v31 offset:112
	ds_read_b128 v[7:10], v31 offset:2160
	;; [unrolled: 1-line block ×4, first 2 shown]
	s_waitcnt lgkmcnt(0)
	s_barrier
	buffer_gl0_inv
	v_fma_f64 v[60:61], v[17:18], v[32:33], -v[84:85]
	v_fma_f64 v[66:67], v[19:20], v[32:33], v[86:87]
	v_fma_f64 v[17:18], v[17:18], v[36:37], -v[88:89]
	v_fma_f64 v[19:20], v[19:20], v[36:37], v[92:93]
	;; [unrolled: 2-line block ×3, first 2 shown]
	v_add_f64 v[34:35], v[80:81], v[68:69]
	v_add_f64 v[54:55], v[70:71], v[54:55]
	v_add_f64 v[58:59], v[58:59], v[72:73]
	v_add_f64 v[62:63], v[74:75], v[62:63]
	v_add_f64 v[50:51], v[50:51], v[76:77]
	v_add_f64 v[64:65], v[78:79], v[64:65]
	v_add_f64 v[52:53], v[52:53], v[82:83]
	v_add_f64 v[15:16], v[15:16], v[48:49]
	v_fma_f64 v[40:41], v[40:41], v[36:37], -v[56:57]
	v_fma_f64 v[36:37], v[42:43], v[36:37], v[38:39]
	v_mul_f64 v[38:39], v[5:6], v[13:14]
	v_mul_f64 v[42:43], v[3:4], v[13:14]
	v_mul_f64 v[48:49], v[5:6], v[46:47]
	v_mul_f64 v[56:57], v[3:4], v[46:47]
	v_mul_f64 v[68:69], v[9:10], v[13:14]
	v_mul_f64 v[13:14], v[7:8], v[13:14]
	v_mul_f64 v[70:71], v[9:10], v[46:47]
	v_mul_f64 v[46:47], v[7:8], v[46:47]
	v_add_f64 v[34:35], v[34:35], v[60:61]
	v_add_f64 v[54:55], v[66:67], v[54:55]
	v_add_f64 v[58:59], v[58:59], v[17:18]
	v_add_f64 v[60:61], v[19:20], v[62:63]
	v_add_f64 v[50:51], v[50:51], v[84:85]
	v_add_f64 v[32:33], v[32:33], v[64:65]
	v_add_f64 v[40:41], v[52:53], v[40:41]
	v_add_f64 v[36:37], v[36:37], v[15:16]
	v_fma_f64 v[15:16], v[3:4], v[11:12], -v[38:39]
	v_fma_f64 v[20:21], v[5:6], v[11:12], v[42:43]
	v_fma_f64 v[3:4], v[3:4], v[44:45], -v[48:49]
	v_fma_f64 v[5:6], v[5:6], v[44:45], v[56:57]
	;; [unrolled: 2-line block ×4, first 2 shown]
	v_add_f64 v[18:19], v[34:35], v[15:16]
	v_add_f64 v[20:21], v[20:21], v[54:55]
	;; [unrolled: 1-line block ×8, first 2 shown]
	s_cbranch_vccz .LBB281_12
.LBB281_3:                              ; =>This Inner Loop Header: Depth=1
	v_add_co_u32 v3, s14, v27, s12
	v_add_co_ci_u32_e64 v4, null, 0, s13, s14
	v_cmp_le_i64_e32 vcc_lo, s[40:41], v[3:4]
	s_or_b32 s14, s1, vcc_lo
	s_and_saveexec_b32 s15, s14
	s_xor_b32 s14, exec_lo, s15
	s_cbranch_execz .LBB281_5
; %bb.4:                                ;   in Loop: Header=BB281_3 Depth=1
	v_mov_b32_e32 v3, v2
	v_mov_b32_e32 v4, v2
	;; [unrolled: 1-line block ×3, first 2 shown]
	ds_write_b128 v28, v[2:5]
.LBB281_5:                              ;   in Loop: Header=BB281_3 Depth=1
	s_andn2_saveexec_b32 s14, s14
	s_cbranch_execz .LBB281_7
; %bb.6:                                ;   in Loop: Header=BB281_3 Depth=1
	flat_load_dwordx4 v[32:35], v[24:25]
	s_waitcnt vmcnt(0) lgkmcnt(0)
	ds_write2_b64 v28, v[32:33], v[34:35] offset1:1
.LBB281_7:                              ;   in Loop: Header=BB281_3 Depth=1
	s_or_b32 exec_lo, exec_lo, s14
	v_add_co_u32 v3, s14, v26, s12
	v_add_co_ci_u32_e64 v4, null, 0, s13, s14
	v_cmp_le_i64_e32 vcc_lo, s[40:41], v[3:4]
	s_or_b32 s14, vcc_lo, s0
	s_and_saveexec_b32 s15, s14
	s_xor_b32 s14, exec_lo, s15
	s_cbranch_execz .LBB281_9
; %bb.8:                                ;   in Loop: Header=BB281_3 Depth=1
	v_mov_b32_e32 v3, v2
	v_mov_b32_e32 v4, v2
	;; [unrolled: 1-line block ×3, first 2 shown]
	ds_write_b128 v29, v[2:5]
.LBB281_9:                              ;   in Loop: Header=BB281_3 Depth=1
	s_andn2_saveexec_b32 s14, s14
	s_cbranch_execz .LBB281_2
; %bb.10:                               ;   in Loop: Header=BB281_3 Depth=1
	flat_load_dwordx4 v[32:35], v[22:23]
	s_waitcnt vmcnt(0) lgkmcnt(0)
	ds_write2_b64 v29, v[32:33], v[34:35] offset1:1
	s_branch .LBB281_2
.LBB281_11:
	v_mov_b32_e32 v18, 0
	v_mov_b32_e32 v20, 0
	;; [unrolled: 1-line block ×16, first 2 shown]
.LBB281_12:
	v_cmp_neq_f64_e64 s7, s[18:19], 0
	v_cmp_neq_f64_e64 s12, s[20:21], 0
	s_lshl_b64 s[0:1], s[2:3], 4
	v_add_co_u32 v1, s2, s22, v1
	v_add_co_ci_u32_e64 v2, null, s23, 0, s2
	s_waitcnt lgkmcnt(0)
	s_add_u32 s3, s10, s0
	s_addc_u32 s6, s11, s1
	v_cmp_gt_i64_e64 s0, s[38:39], v[1:2]
	s_or_b32 s1, s7, s12
	s_and_b32 vcc_lo, exec_lo, s1
	s_mov_b32 s1, -1
	s_cbranch_vccnz .LBB281_24
; %bb.13:
	s_and_saveexec_b32 s7, s0
	s_cbranch_execz .LBB281_23
; %bb.14:
	v_mul_lo_u32 v5, v2, s30
	v_mul_lo_u32 v22, v1, s31
	v_mad_u64_u32 v[3:4], null, v1, s30, 0
	v_add3_u32 v4, v4, v22, v5
	v_add_co_u32 v22, s1, s8, v0
	v_add_co_ci_u32_e64 v23, null, s9, 0, s1
	v_lshlrev_b64 v[24:25], 4, v[3:4]
	v_cmp_gt_i64_e32 vcc_lo, s[36:37], v[22:23]
	v_lshlrev_b64 v[3:4], 4, v[22:23]
	v_add_co_u32 v5, s1, s3, v24
	v_add_co_ci_u32_e64 v24, null, s6, v25, s1
	s_and_saveexec_b32 s2, vcc_lo
	s_cbranch_execz .LBB281_16
; %bb.15:
	v_mul_f64 v[25:26], s[44:45], v[20:21]
	v_mul_f64 v[27:28], s[42:43], v[20:21]
	v_add_co_u32 v29, s1, v5, v3
	v_add_co_ci_u32_e64 v30, null, v24, v4, s1
	v_fma_f64 v[25:26], s[42:43], v[18:19], -v[25:26]
	v_fma_f64 v[27:28], s[44:45], v[18:19], v[27:28]
	flat_store_dwordx4 v[29:30], v[25:28]
.LBB281_16:
	s_or_b32 exec_lo, exec_lo, s2
	v_add_co_u32 v22, s1, v22, 16
	v_add_co_ci_u32_e64 v23, null, 0, v23, s1
	v_cmp_gt_i64_e64 s1, s[36:37], v[22:23]
	s_and_saveexec_b32 s10, s1
	s_cbranch_execz .LBB281_18
; %bb.17:
	v_mul_f64 v[22:23], s[44:45], v[16:17]
	v_mul_f64 v[27:28], s[42:43], v[16:17]
	v_fma_f64 v[25:26], s[42:43], v[14:15], -v[22:23]
	v_fma_f64 v[27:28], s[44:45], v[14:15], v[27:28]
	v_add_co_u32 v22, s2, v5, v3
	v_add_co_ci_u32_e64 v23, null, v24, v4, s2
	flat_store_dwordx4 v[22:23], v[25:28] offset:256
.LBB281_18:
	s_or_b32 exec_lo, exec_lo, s10
	v_add_co_u32 v22, s2, v1, 16
	v_add_co_ci_u32_e64 v23, null, 0, v2, s2
	v_cmp_gt_i64_e64 s2, s[38:39], v[22:23]
	s_and_b32 exec_lo, exec_lo, s2
	s_cbranch_execz .LBB281_23
; %bb.19:
	s_lshl_b64 s[10:11], s[30:31], 8
	v_add_co_u32 v5, s2, v5, s10
	v_add_co_ci_u32_e64 v22, null, s11, v24, s2
	v_add_co_u32 v3, s2, v5, v3
	v_add_co_ci_u32_e64 v4, null, v22, v4, s2
	s_and_saveexec_b32 s2, vcc_lo
	s_cbranch_execz .LBB281_21
; %bb.20:
	v_mul_f64 v[22:23], s[44:45], v[12:13]
	v_mul_f64 v[24:25], s[42:43], v[12:13]
	v_fma_f64 v[22:23], s[42:43], v[10:11], -v[22:23]
	v_fma_f64 v[24:25], s[44:45], v[10:11], v[24:25]
	flat_store_dwordx4 v[3:4], v[22:25]
.LBB281_21:
	s_or_b32 exec_lo, exec_lo, s2
	s_and_b32 exec_lo, exec_lo, s1
	s_cbranch_execz .LBB281_23
; %bb.22:
	v_mul_f64 v[22:23], s[44:45], v[8:9]
	v_mul_f64 v[24:25], s[42:43], v[8:9]
	v_fma_f64 v[22:23], s[42:43], v[6:7], -v[22:23]
	v_fma_f64 v[24:25], s[44:45], v[6:7], v[24:25]
	flat_store_dwordx4 v[3:4], v[22:25] offset:256
.LBB281_23:
	s_or_b32 exec_lo, exec_lo, s7
	s_mov_b32 s1, 0
.LBB281_24:
	s_andn2_b32 vcc_lo, exec_lo, s1
	s_cbranch_vccnz .LBB281_35
; %bb.25:
	s_and_saveexec_b32 s1, s0
	s_cbranch_execz .LBB281_35
; %bb.26:
	v_mul_lo_u32 v5, v2, s24
	v_mul_lo_u32 v22, v1, s25
	v_mad_u64_u32 v[3:4], null, v1, s24, 0
	v_mul_lo_u32 v26, v2, s30
	v_mul_lo_u32 v27, v1, s31
	v_mad_u64_u32 v[24:25], null, v1, s30, 0
	s_lshl_b64 s[0:1], s[26:27], 4
	v_add3_u32 v4, v4, v22, v5
	v_add_co_u32 v22, s2, s8, v0
	v_add_co_ci_u32_e64 v23, null, s9, 0, s2
	v_add3_u32 v25, v25, v27, v26
	v_lshlrev_b64 v[3:4], 4, v[3:4]
	s_add_u32 s0, s4, s0
	s_addc_u32 s1, s5, s1
	v_cmp_gt_i64_e32 vcc_lo, s[36:37], v[22:23]
	v_lshlrev_b64 v[24:25], 4, v[24:25]
	v_add_co_u32 v0, s0, s0, v3
	v_add_co_ci_u32_e64 v5, null, s1, v4, s0
	v_add_co_u32 v24, s0, s3, v24
	v_lshlrev_b64 v[3:4], 4, v[22:23]
	v_add_co_ci_u32_e64 v25, null, s6, v25, s0
	s_and_saveexec_b32 s1, vcc_lo
	s_cbranch_execz .LBB281_28
; %bb.27:
	v_add_co_u32 v26, s0, v0, v3
	v_add_co_ci_u32_e64 v27, null, v5, v4, s0
	v_mul_f64 v[30:31], s[44:45], v[20:21]
	v_mul_f64 v[20:21], s[42:43], v[20:21]
	flat_load_dwordx4 v[26:29], v[26:27]
	v_fma_f64 v[30:31], s[42:43], v[18:19], -v[30:31]
	v_fma_f64 v[20:21], s[44:45], v[18:19], v[20:21]
	s_waitcnt vmcnt(0) lgkmcnt(0)
	v_mul_f64 v[32:33], s[20:21], v[28:29]
	v_mul_f64 v[28:29], s[18:19], v[28:29]
	v_fma_f64 v[18:19], s[18:19], v[26:27], -v[32:33]
	v_fma_f64 v[26:27], s[20:21], v[26:27], v[28:29]
	v_add_f64 v[18:19], v[30:31], v[18:19]
	v_add_f64 v[20:21], v[20:21], v[26:27]
	v_add_co_u32 v26, s0, v24, v3
	v_add_co_ci_u32_e64 v27, null, v25, v4, s0
	flat_store_dwordx4 v[26:27], v[18:21]
.LBB281_28:
	s_or_b32 exec_lo, exec_lo, s1
	v_add_co_u32 v18, s0, v22, 16
	v_add_co_ci_u32_e64 v19, null, 0, v23, s0
	v_cmp_gt_i64_e64 s0, s[36:37], v[18:19]
	s_and_saveexec_b32 s2, s0
	s_cbranch_execz .LBB281_30
; %bb.29:
	v_add_co_u32 v18, s1, v0, v3
	v_add_co_ci_u32_e64 v19, null, v5, v4, s1
	v_mul_f64 v[22:23], s[44:45], v[16:17]
	v_mul_f64 v[16:17], s[42:43], v[16:17]
	flat_load_dwordx4 v[18:21], v[18:19] offset:256
	v_fma_f64 v[22:23], s[42:43], v[14:15], -v[22:23]
	v_fma_f64 v[16:17], s[44:45], v[14:15], v[16:17]
	s_waitcnt vmcnt(0) lgkmcnt(0)
	v_mul_f64 v[26:27], s[20:21], v[20:21]
	v_mul_f64 v[20:21], s[18:19], v[20:21]
	v_fma_f64 v[14:15], s[18:19], v[18:19], -v[26:27]
	v_fma_f64 v[18:19], s[20:21], v[18:19], v[20:21]
	v_add_f64 v[14:15], v[22:23], v[14:15]
	v_add_f64 v[16:17], v[16:17], v[18:19]
	v_add_co_u32 v18, s1, v24, v3
	v_add_co_ci_u32_e64 v19, null, v25, v4, s1
	flat_store_dwordx4 v[18:19], v[14:17] offset:256
.LBB281_30:
	s_or_b32 exec_lo, exec_lo, s2
	v_add_co_u32 v1, s1, v1, 16
	v_add_co_ci_u32_e64 v2, null, 0, v2, s1
	v_cmp_gt_i64_e64 s1, s[38:39], v[1:2]
	s_and_b32 exec_lo, exec_lo, s1
	s_cbranch_execz .LBB281_35
; %bb.31:
	s_lshl_b64 s[2:3], s[24:25], 8
	v_add_co_u32 v0, s1, v0, s2
	v_add_co_ci_u32_e64 v1, null, s3, v5, s1
	s_lshl_b64 s[2:3], s[30:31], 8
	v_add_co_u32 v2, s1, v24, s2
	v_add_co_ci_u32_e64 v5, null, s3, v25, s1
	v_add_co_u32 v14, s1, v0, v3
	v_add_co_ci_u32_e64 v15, null, v1, v4, s1
	;; [unrolled: 2-line block ×3, first 2 shown]
	s_and_saveexec_b32 s1, vcc_lo
	s_cbranch_execz .LBB281_33
; %bb.32:
	flat_load_dwordx4 v[2:5], v[14:15]
	v_mul_f64 v[16:17], s[44:45], v[12:13]
	v_mul_f64 v[12:13], s[42:43], v[12:13]
	v_fma_f64 v[16:17], s[42:43], v[10:11], -v[16:17]
	v_fma_f64 v[10:11], s[44:45], v[10:11], v[12:13]
	s_waitcnt vmcnt(0) lgkmcnt(0)
	v_mul_f64 v[18:19], s[20:21], v[4:5]
	v_mul_f64 v[4:5], s[18:19], v[4:5]
	v_fma_f64 v[12:13], s[18:19], v[2:3], -v[18:19]
	v_fma_f64 v[4:5], s[20:21], v[2:3], v[4:5]
	v_add_f64 v[2:3], v[16:17], v[12:13]
	v_add_f64 v[4:5], v[10:11], v[4:5]
	flat_store_dwordx4 v[0:1], v[2:5]
.LBB281_33:
	s_or_b32 exec_lo, exec_lo, s1
	s_and_b32 exec_lo, exec_lo, s0
	s_cbranch_execz .LBB281_35
; %bb.34:
	flat_load_dwordx4 v[2:5], v[14:15] offset:256
	v_mul_f64 v[10:11], s[44:45], v[8:9]
	v_mul_f64 v[8:9], s[42:43], v[8:9]
	v_fma_f64 v[10:11], s[42:43], v[6:7], -v[10:11]
	v_fma_f64 v[6:7], s[44:45], v[6:7], v[8:9]
	s_waitcnt vmcnt(0) lgkmcnt(0)
	v_mul_f64 v[12:13], s[20:21], v[4:5]
	v_mul_f64 v[4:5], s[18:19], v[4:5]
	v_fma_f64 v[8:9], s[18:19], v[2:3], -v[12:13]
	v_fma_f64 v[4:5], s[20:21], v[2:3], v[4:5]
	v_add_f64 v[2:3], v[10:11], v[8:9]
	v_add_f64 v[4:5], v[6:7], v[4:5]
	flat_store_dwordx4 v[0:1], v[2:5] offset:256
.LBB281_35:
	s_endpgm
	.section	.rodata,"a",@progbits
	.p2align	6, 0x0
	.amdhsa_kernel _ZN12_GLOBAL__N_135rocblas_gemm_batched_general_kernelI19rocblas_complex_numIdELi16ELi16ELi32ELi32ELi8ELi32ELi8ELi8ELi32ELc78ELc78EKPKS2_S5_KPS2_EEvlllT_PT11_llSA_llS8_PT12_llPT13_lli
		.amdhsa_group_segment_fixed_size 8192
		.amdhsa_private_segment_fixed_size 0
		.amdhsa_kernarg_size 156
		.amdhsa_user_sgpr_count 6
		.amdhsa_user_sgpr_private_segment_buffer 1
		.amdhsa_user_sgpr_dispatch_ptr 0
		.amdhsa_user_sgpr_queue_ptr 0
		.amdhsa_user_sgpr_kernarg_segment_ptr 1
		.amdhsa_user_sgpr_dispatch_id 0
		.amdhsa_user_sgpr_flat_scratch_init 0
		.amdhsa_user_sgpr_private_segment_size 0
		.amdhsa_wavefront_size32 1
		.amdhsa_uses_dynamic_stack 0
		.amdhsa_system_sgpr_private_segment_wavefront_offset 0
		.amdhsa_system_sgpr_workgroup_id_x 1
		.amdhsa_system_sgpr_workgroup_id_y 1
		.amdhsa_system_sgpr_workgroup_id_z 1
		.amdhsa_system_sgpr_workgroup_info 0
		.amdhsa_system_vgpr_workitem_id 1
		.amdhsa_next_free_vgpr 128
		.amdhsa_next_free_sgpr 52
		.amdhsa_reserve_vcc 1
		.amdhsa_reserve_flat_scratch 0
		.amdhsa_float_round_mode_32 0
		.amdhsa_float_round_mode_16_64 0
		.amdhsa_float_denorm_mode_32 3
		.amdhsa_float_denorm_mode_16_64 3
		.amdhsa_dx10_clamp 1
		.amdhsa_ieee_mode 1
		.amdhsa_fp16_overflow 0
		.amdhsa_workgroup_processor_mode 1
		.amdhsa_memory_ordered 1
		.amdhsa_forward_progress 1
		.amdhsa_shared_vgpr_count 0
		.amdhsa_exception_fp_ieee_invalid_op 0
		.amdhsa_exception_fp_denorm_src 0
		.amdhsa_exception_fp_ieee_div_zero 0
		.amdhsa_exception_fp_ieee_overflow 0
		.amdhsa_exception_fp_ieee_underflow 0
		.amdhsa_exception_fp_ieee_inexact 0
		.amdhsa_exception_int_div_zero 0
	.end_amdhsa_kernel
	.section	.text._ZN12_GLOBAL__N_135rocblas_gemm_batched_general_kernelI19rocblas_complex_numIdELi16ELi16ELi32ELi32ELi8ELi32ELi8ELi8ELi32ELc78ELc78EKPKS2_S5_KPS2_EEvlllT_PT11_llSA_llS8_PT12_llPT13_lli,"axG",@progbits,_ZN12_GLOBAL__N_135rocblas_gemm_batched_general_kernelI19rocblas_complex_numIdELi16ELi16ELi32ELi32ELi8ELi32ELi8ELi8ELi32ELc78ELc78EKPKS2_S5_KPS2_EEvlllT_PT11_llSA_llS8_PT12_llPT13_lli,comdat
.Lfunc_end281:
	.size	_ZN12_GLOBAL__N_135rocblas_gemm_batched_general_kernelI19rocblas_complex_numIdELi16ELi16ELi32ELi32ELi8ELi32ELi8ELi8ELi32ELc78ELc78EKPKS2_S5_KPS2_EEvlllT_PT11_llSA_llS8_PT12_llPT13_lli, .Lfunc_end281-_ZN12_GLOBAL__N_135rocblas_gemm_batched_general_kernelI19rocblas_complex_numIdELi16ELi16ELi32ELi32ELi8ELi32ELi8ELi8ELi32ELc78ELc78EKPKS2_S5_KPS2_EEvlllT_PT11_llSA_llS8_PT12_llPT13_lli
                                        ; -- End function
	.set _ZN12_GLOBAL__N_135rocblas_gemm_batched_general_kernelI19rocblas_complex_numIdELi16ELi16ELi32ELi32ELi8ELi32ELi8ELi8ELi32ELc78ELc78EKPKS2_S5_KPS2_EEvlllT_PT11_llSA_llS8_PT12_llPT13_lli.num_vgpr, 128
	.set _ZN12_GLOBAL__N_135rocblas_gemm_batched_general_kernelI19rocblas_complex_numIdELi16ELi16ELi32ELi32ELi8ELi32ELi8ELi8ELi32ELc78ELc78EKPKS2_S5_KPS2_EEvlllT_PT11_llSA_llS8_PT12_llPT13_lli.num_agpr, 0
	.set _ZN12_GLOBAL__N_135rocblas_gemm_batched_general_kernelI19rocblas_complex_numIdELi16ELi16ELi32ELi32ELi8ELi32ELi8ELi8ELi32ELc78ELc78EKPKS2_S5_KPS2_EEvlllT_PT11_llSA_llS8_PT12_llPT13_lli.numbered_sgpr, 52
	.set _ZN12_GLOBAL__N_135rocblas_gemm_batched_general_kernelI19rocblas_complex_numIdELi16ELi16ELi32ELi32ELi8ELi32ELi8ELi8ELi32ELc78ELc78EKPKS2_S5_KPS2_EEvlllT_PT11_llSA_llS8_PT12_llPT13_lli.num_named_barrier, 0
	.set _ZN12_GLOBAL__N_135rocblas_gemm_batched_general_kernelI19rocblas_complex_numIdELi16ELi16ELi32ELi32ELi8ELi32ELi8ELi8ELi32ELc78ELc78EKPKS2_S5_KPS2_EEvlllT_PT11_llSA_llS8_PT12_llPT13_lli.private_seg_size, 0
	.set _ZN12_GLOBAL__N_135rocblas_gemm_batched_general_kernelI19rocblas_complex_numIdELi16ELi16ELi32ELi32ELi8ELi32ELi8ELi8ELi32ELc78ELc78EKPKS2_S5_KPS2_EEvlllT_PT11_llSA_llS8_PT12_llPT13_lli.uses_vcc, 1
	.set _ZN12_GLOBAL__N_135rocblas_gemm_batched_general_kernelI19rocblas_complex_numIdELi16ELi16ELi32ELi32ELi8ELi32ELi8ELi8ELi32ELc78ELc78EKPKS2_S5_KPS2_EEvlllT_PT11_llSA_llS8_PT12_llPT13_lli.uses_flat_scratch, 0
	.set _ZN12_GLOBAL__N_135rocblas_gemm_batched_general_kernelI19rocblas_complex_numIdELi16ELi16ELi32ELi32ELi8ELi32ELi8ELi8ELi32ELc78ELc78EKPKS2_S5_KPS2_EEvlllT_PT11_llSA_llS8_PT12_llPT13_lli.has_dyn_sized_stack, 0
	.set _ZN12_GLOBAL__N_135rocblas_gemm_batched_general_kernelI19rocblas_complex_numIdELi16ELi16ELi32ELi32ELi8ELi32ELi8ELi8ELi32ELc78ELc78EKPKS2_S5_KPS2_EEvlllT_PT11_llSA_llS8_PT12_llPT13_lli.has_recursion, 0
	.set _ZN12_GLOBAL__N_135rocblas_gemm_batched_general_kernelI19rocblas_complex_numIdELi16ELi16ELi32ELi32ELi8ELi32ELi8ELi8ELi32ELc78ELc78EKPKS2_S5_KPS2_EEvlllT_PT11_llSA_llS8_PT12_llPT13_lli.has_indirect_call, 0
	.section	.AMDGPU.csdata,"",@progbits
; Kernel info:
; codeLenInByte = 4040
; TotalNumSgprs: 54
; NumVgprs: 128
; ScratchSize: 0
; MemoryBound: 0
; FloatMode: 240
; IeeeMode: 1
; LDSByteSize: 8192 bytes/workgroup (compile time only)
; SGPRBlocks: 0
; VGPRBlocks: 15
; NumSGPRsForWavesPerEU: 54
; NumVGPRsForWavesPerEU: 128
; Occupancy: 8
; WaveLimiterHint : 1
; COMPUTE_PGM_RSRC2:SCRATCH_EN: 0
; COMPUTE_PGM_RSRC2:USER_SGPR: 6
; COMPUTE_PGM_RSRC2:TRAP_HANDLER: 0
; COMPUTE_PGM_RSRC2:TGID_X_EN: 1
; COMPUTE_PGM_RSRC2:TGID_Y_EN: 1
; COMPUTE_PGM_RSRC2:TGID_Z_EN: 1
; COMPUTE_PGM_RSRC2:TIDIG_COMP_CNT: 1
	.section	.text._ZN12_GLOBAL__N_135rocblas_gemm_batched_general_kernelI19rocblas_complex_numIdELi16ELi16ELi32ELi32ELi8ELi32ELi8ELi8ELi32ELc84ELc78EKPKS2_S5_KPS2_EEvlllT_PT11_llSA_llS8_PT12_llPT13_lli,"axG",@progbits,_ZN12_GLOBAL__N_135rocblas_gemm_batched_general_kernelI19rocblas_complex_numIdELi16ELi16ELi32ELi32ELi8ELi32ELi8ELi8ELi32ELc84ELc78EKPKS2_S5_KPS2_EEvlllT_PT11_llSA_llS8_PT12_llPT13_lli,comdat
	.globl	_ZN12_GLOBAL__N_135rocblas_gemm_batched_general_kernelI19rocblas_complex_numIdELi16ELi16ELi32ELi32ELi8ELi32ELi8ELi8ELi32ELc84ELc78EKPKS2_S5_KPS2_EEvlllT_PT11_llSA_llS8_PT12_llPT13_lli ; -- Begin function _ZN12_GLOBAL__N_135rocblas_gemm_batched_general_kernelI19rocblas_complex_numIdELi16ELi16ELi32ELi32ELi8ELi32ELi8ELi8ELi32ELc84ELc78EKPKS2_S5_KPS2_EEvlllT_PT11_llSA_llS8_PT12_llPT13_lli
	.p2align	8
	.type	_ZN12_GLOBAL__N_135rocblas_gemm_batched_general_kernelI19rocblas_complex_numIdELi16ELi16ELi32ELi32ELi8ELi32ELi8ELi8ELi32ELc84ELc78EKPKS2_S5_KPS2_EEvlllT_PT11_llSA_llS8_PT12_llPT13_lli,@function
_ZN12_GLOBAL__N_135rocblas_gemm_batched_general_kernelI19rocblas_complex_numIdELi16ELi16ELi32ELi32ELi8ELi32ELi8ELi8ELi32ELc84ELc78EKPKS2_S5_KPS2_EEvlllT_PT11_llSA_llS8_PT12_llPT13_lli: ; @_ZN12_GLOBAL__N_135rocblas_gemm_batched_general_kernelI19rocblas_complex_numIdELi16ELi16ELi32ELi32ELi8ELi32ELi8ELi8ELi32ELc84ELc78EKPKS2_S5_KPS2_EEvlllT_PT11_llSA_llS8_PT12_llPT13_lli
; %bb.0:
	s_clause 0x2
	s_load_dwordx16 s[12:27], s[4:5], 0x40
	s_load_dwordx4 s[28:31], s[4:5], 0x80
	s_load_dwordx16 s[36:51], s[4:5], 0x0
	s_mov_b32 s9, 0
	s_load_dwordx2 s[2:3], s[4:5], 0x90
	s_lshl_b64 s[0:1], s[8:9], 3
	s_mov_b32 s10, s7
	v_mov_b32_e32 v2, 0
	s_waitcnt lgkmcnt(0)
	s_add_u32 s4, s22, s0
	s_addc_u32 s5, s23, s1
	s_add_u32 s8, s28, s0
	s_addc_u32 s9, s29, s1
	s_load_dwordx2 s[4:5], s[4:5], 0x0
	s_load_dwordx2 s[8:9], s[8:9], 0x0
	v_cmp_lt_i64_e64 s22, s[40:41], 1
	s_ashr_i32 s7, s6, 31
	s_ashr_i32 s11, s10, 31
	s_lshl_b64 s[6:7], s[6:7], 5
	s_lshl_b64 s[10:11], s[10:11], 5
	s_and_b32 vcc_lo, exec_lo, s22
	s_cbranch_vccnz .LBB282_11
; %bb.1:
	v_lshl_add_u32 v3, v1, 4, v0
	v_mov_b32_e32 v4, s7
	s_add_u32 s12, s12, s0
	v_and_b32_e32 v26, 7, v0
	s_addc_u32 s13, s13, s1
	v_lshrrev_b32_e32 v8, 3, v3
	v_and_b32_e32 v7, 31, v3
	v_lshrrev_b32_e32 v27, 5, v3
	s_add_u32 s0, s46, s0
	s_addc_u32 s1, s47, s1
	v_add_co_u32 v5, s22, v8, s10
	v_or_b32_e32 v3, s6, v7
	v_add_co_ci_u32_e64 v6, null, 0, s11, s22
	v_mul_lo_u32 v9, s15, v5
	s_load_dwordx2 s[12:13], s[12:13], 0x0
	s_load_dwordx2 s[22:23], s[0:1], 0x0
	v_cmp_gt_i64_e32 vcc_lo, s[36:37], v[3:4]
	v_mul_lo_u32 v10, s14, v6
	v_mad_u64_u32 v[3:4], null, s14, v5, 0
	v_add_co_u32 v12, s0, s6, v7
	v_lshlrev_b32_e32 v11, 4, v26
	v_add_co_ci_u32_e64 v13, null, s7, 0, s0
	v_lshlrev_b32_e32 v14, 4, v7
	v_add3_u32 v4, v4, v10, v9
	v_lshl_or_b32 v15, v8, 7, v11
	v_mul_lo_u32 v9, s49, v12
	v_mul_lo_u32 v10, s48, v13
	v_mad_u64_u32 v[7:8], null, s48, v12, 0
	v_lshlrev_b64 v[3:4], 4, v[3:4]
	s_lshl_b64 s[14:15], s[16:17], 4
	v_cmp_gt_i64_e64 s0, s[38:39], v[5:6]
	v_lshl_or_b32 v28, v27, 9, v14
	v_add_nc_u32_e32 v29, 0x1000, v15
	v_mov_b32_e32 v12, 0
	v_add3_u32 v8, v8, v10, v9
	v_add_co_u32 v5, s1, v3, s14
	v_add_co_ci_u32_e64 v6, null, s15, v4, s1
	v_lshlrev_b64 v[3:4], 4, v[7:8]
	v_add_co_u32 v5, s1, v5, v11
	s_lshl_b64 s[14:15], s[50:51], 4
	v_add_co_ci_u32_e64 v6, null, 0, v6, s1
	v_add_co_u32 v3, s1, v3, s14
	v_lshlrev_b32_e32 v7, 4, v27
	v_add_co_ci_u32_e64 v4, null, s15, v4, s1
	s_waitcnt lgkmcnt(0)
	v_add_co_u32 v22, s1, s12, v5
	v_add_co_ci_u32_e64 v23, null, s13, v6, s1
	v_add_co_u32 v3, s1, v3, v7
	v_add_co_ci_u32_e64 v4, null, 0, v4, s1
	v_mov_b32_e32 v8, 0
	v_add_co_u32 v24, s1, s22, v3
	v_mov_b32_e32 v6, 0
	v_mov_b32_e32 v10, 0
	v_mov_b32_e32 v16, 0
	v_mov_b32_e32 v14, 0
	v_mov_b32_e32 v20, 0
	v_mov_b32_e32 v18, 0
	v_lshlrev_b32_e32 v30, 4, v0
	v_lshl_add_u32 v31, v1, 7, 0x1000
	v_mov_b32_e32 v9, 0
	v_mov_b32_e32 v7, 0
	;; [unrolled: 1-line block ×8, first 2 shown]
	v_add_co_ci_u32_e64 v25, null, s23, v4, s1
	s_mov_b64 s[12:13], 0
	s_xor_b32 s1, vcc_lo, -1
	s_xor_b32 s0, s0, -1
	s_branch .LBB282_3
.LBB282_2:                              ;   in Loop: Header=BB282_3 Depth=1
	s_or_b32 exec_lo, exec_lo, s14
	s_waitcnt lgkmcnt(0)
	s_barrier
	buffer_gl0_inv
	ds_read_b128 v[32:35], v31
	ds_read_b128 v[36:39], v30
	ds_read_b128 v[40:43], v30 offset:256
	ds_read_b128 v[44:47], v31 offset:2048
	;; [unrolled: 1-line block ×12, first 2 shown]
	s_add_u32 s12, s12, 8
	s_addc_u32 s13, s13, 0
	v_add_co_u32 v22, vcc_lo, 0x80, v22
	v_cmp_lt_i64_e64 s14, s[12:13], s[40:41]
	v_add_co_ci_u32_e64 v23, null, 0, v23, vcc_lo
	s_waitcnt lgkmcnt(12)
	v_mul_f64 v[3:4], v[34:35], v[38:39]
	v_mul_f64 v[88:89], v[32:33], v[38:39]
	s_waitcnt lgkmcnt(11)
	v_mul_f64 v[90:91], v[34:35], v[42:43]
	v_mul_f64 v[92:93], v[32:33], v[42:43]
	;; [unrolled: 3-line block ×3, first 2 shown]
	v_mul_f64 v[96:97], v[46:47], v[42:43]
	v_mul_f64 v[42:43], v[44:45], v[42:43]
	s_waitcnt lgkmcnt(8)
	v_mul_f64 v[98:99], v[50:51], v[54:55]
	v_mul_f64 v[100:101], v[48:49], v[54:55]
	s_waitcnt lgkmcnt(7)
	;; [unrolled: 3-line block ×3, first 2 shown]
	v_mul_f64 v[106:107], v[62:63], v[54:55]
	v_mul_f64 v[54:55], v[60:61], v[54:55]
	;; [unrolled: 1-line block ×4, first 2 shown]
	s_waitcnt lgkmcnt(4)
	v_mul_f64 v[110:111], v[66:67], v[70:71]
	v_mul_f64 v[112:113], v[64:65], v[70:71]
	s_waitcnt lgkmcnt(3)
	v_mul_f64 v[114:115], v[66:67], v[74:75]
	v_mul_f64 v[116:117], v[64:65], v[74:75]
	;; [unrolled: 3-line block ×3, first 2 shown]
	v_fma_f64 v[3:4], v[32:33], v[36:37], -v[3:4]
	v_fma_f64 v[88:89], v[34:35], v[36:37], v[88:89]
	v_fma_f64 v[90:91], v[32:33], v[40:41], -v[90:91]
	v_fma_f64 v[92:93], v[34:35], v[40:41], v[92:93]
	;; [unrolled: 2-line block ×4, first 2 shown]
	v_mul_f64 v[124:125], v[78:79], v[74:75]
	v_mul_f64 v[74:75], v[76:77], v[74:75]
	ds_read_b128 v[32:35], v30 offset:1536
	ds_read_b128 v[36:39], v30 offset:1792
	v_fma_f64 v[98:99], v[48:49], v[52:53], -v[98:99]
	v_fma_f64 v[100:101], v[50:51], v[52:53], v[100:101]
	v_fma_f64 v[102:103], v[48:49], v[56:57], -v[102:103]
	v_fma_f64 v[104:105], v[50:51], v[56:57], v[104:105]
	;; [unrolled: 2-line block ×7, first 2 shown]
	v_add_f64 v[18:19], v[18:19], v[3:4]
	v_add_f64 v[20:21], v[88:89], v[20:21]
	;; [unrolled: 1-line block ×4, first 2 shown]
	s_waitcnt lgkmcnt(1)
	v_mul_f64 v[110:111], v[82:83], v[34:35]
	v_mul_f64 v[112:113], v[80:81], v[34:35]
	s_waitcnt lgkmcnt(0)
	v_mul_f64 v[70:71], v[82:83], v[38:39]
	v_mul_f64 v[114:115], v[80:81], v[38:39]
	v_fma_f64 v[76:77], v[76:77], v[72:73], -v[124:125]
	v_fma_f64 v[72:73], v[78:79], v[72:73], v[74:75]
	v_add_f64 v[74:75], v[10:11], v[94:95]
	v_add_f64 v[11:12], v[120:121], v[12:13]
	;; [unrolled: 1-line block ×4, first 2 shown]
	ds_read_b128 v[40:43], v31 offset:64
	ds_read_b128 v[44:47], v30 offset:2048
	;; [unrolled: 1-line block ×4, first 2 shown]
	v_mul_f64 v[116:117], v[86:87], v[34:35]
	v_mul_f64 v[34:35], v[84:85], v[34:35]
	;; [unrolled: 1-line block ×4, first 2 shown]
	ds_read_b128 v[48:51], v30 offset:2304
	v_add_f64 v[98:99], v[18:19], v[98:99]
	v_add_f64 v[19:20], v[100:101], v[20:21]
	;; [unrolled: 1-line block ×4, first 2 shown]
	v_fma_f64 v[92:93], v[80:81], v[32:33], -v[110:111]
	v_fma_f64 v[94:95], v[82:83], v[32:33], v[112:113]
	v_fma_f64 v[70:71], v[80:81], v[36:37], -v[70:71]
	v_fma_f64 v[82:83], v[82:83], v[36:37], v[114:115]
	ds_read_b128 v[3:6], v31 offset:80
	ds_read_b128 v[15:18], v30 offset:2816
	v_add_f64 v[74:75], v[74:75], v[106:107]
	v_add_f64 v[104:105], v[126:127], v[11:12]
	s_waitcnt lgkmcnt(5)
	v_mul_f64 v[80:81], v[42:43], v[46:47]
	v_mul_f64 v[96:97], v[40:41], v[46:47]
	s_waitcnt lgkmcnt(4)
	v_mul_f64 v[114:115], v[54:55], v[46:47]
	v_mul_f64 v[46:47], v[52:53], v[46:47]
	v_add_f64 v[60:61], v[78:79], v[60:61]
	v_add_f64 v[56:57], v[56:57], v[88:89]
	v_fma_f64 v[78:79], v[84:85], v[32:33], -v[116:117]
	v_fma_f64 v[88:89], v[86:87], v[32:33], v[34:35]
	ds_read_b128 v[11:14], v30 offset:2560
	s_waitcnt lgkmcnt(3)
	v_mul_f64 v[110:111], v[42:43], v[50:51]
	v_mul_f64 v[112:113], v[40:41], v[50:51]
	v_fma_f64 v[84:85], v[84:85], v[36:37], -v[90:91]
	v_fma_f64 v[86:87], v[86:87], v[36:37], v[38:39]
	v_mul_f64 v[36:37], v[54:55], v[50:51]
	v_mul_f64 v[38:39], v[52:53], v[50:51]
	v_add_co_u32 v24, vcc_lo, 0x80, v24
	v_add_co_ci_u32_e64 v25, null, 0, v25, vcc_lo
	s_and_b32 vcc_lo, exec_lo, s14
	v_add_f64 v[68:69], v[68:69], v[104:105]
	v_fma_f64 v[80:81], v[40:41], v[44:45], -v[80:81]
	v_fma_f64 v[90:91], v[42:43], v[44:45], v[96:97]
	v_fma_f64 v[50:51], v[52:53], v[44:45], -v[114:115]
	v_fma_f64 v[44:45], v[54:55], v[44:45], v[46:47]
	v_add_f64 v[46:47], v[98:99], v[58:59]
	v_add_f64 v[58:59], v[62:63], v[19:20]
	;; [unrolled: 1-line block ×7, first 2 shown]
	v_fma_f64 v[96:97], v[40:41], v[48:49], -v[110:111]
	v_fma_f64 v[106:107], v[42:43], v[48:49], v[112:113]
	s_waitcnt lgkmcnt(0)
	v_mul_f64 v[72:73], v[5:6], v[13:14]
	v_mul_f64 v[74:75], v[3:4], v[13:14]
	v_mul_f64 v[76:77], v[5:6], v[17:18]
	v_mul_f64 v[98:99], v[3:4], v[17:18]
	v_mul_f64 v[100:101], v[9:10], v[13:14]
	v_mul_f64 v[13:14], v[7:8], v[13:14]
	v_mul_f64 v[102:103], v[9:10], v[17:18]
	v_mul_f64 v[104:105], v[7:8], v[17:18]
	v_fma_f64 v[52:53], v[52:53], v[48:49], -v[36:37]
	v_fma_f64 v[48:49], v[54:55], v[48:49], v[38:39]
	ds_read_b128 v[17:20], v31 offset:96
	ds_read_b128 v[32:35], v30 offset:3072
	;; [unrolled: 1-line block ×4, first 2 shown]
	v_add_f64 v[46:47], v[46:47], v[92:93]
	v_add_f64 v[54:55], v[94:95], v[58:59]
	v_add_f64 v[58:59], v[62:63], v[70:71]
	v_add_f64 v[62:63], v[82:83], v[64:65]
	v_add_f64 v[64:65], v[66:67], v[78:79]
	v_add_f64 v[66:67], v[88:89], v[68:69]
	v_add_f64 v[60:61], v[60:61], v[84:85]
	v_add_f64 v[56:57], v[86:87], v[56:57]
	v_fma_f64 v[68:69], v[3:4], v[11:12], -v[72:73]
	v_fma_f64 v[70:71], v[5:6], v[11:12], v[74:75]
	v_fma_f64 v[72:73], v[3:4], v[15:16], -v[76:77]
	v_fma_f64 v[74:75], v[5:6], v[15:16], v[98:99]
	;; [unrolled: 2-line block ×4, first 2 shown]
	s_waitcnt lgkmcnt(2)
	v_mul_f64 v[84:85], v[19:20], v[34:35]
	v_mul_f64 v[86:87], v[17:18], v[34:35]
	s_waitcnt lgkmcnt(1)
	v_mul_f64 v[88:89], v[19:20], v[38:39]
	v_mul_f64 v[92:93], v[17:18], v[38:39]
	;; [unrolled: 3-line block ×3, first 2 shown]
	v_add_f64 v[80:81], v[46:47], v[80:81]
	v_add_f64 v[54:55], v[90:91], v[54:55]
	;; [unrolled: 1-line block ×8, first 2 shown]
	v_mul_f64 v[56:57], v[42:43], v[38:39]
	v_mul_f64 v[38:39], v[40:41], v[38:39]
	ds_read_b128 v[3:6], v31 offset:112
	ds_read_b128 v[7:10], v31 offset:2160
	;; [unrolled: 1-line block ×4, first 2 shown]
	s_waitcnt lgkmcnt(0)
	s_barrier
	buffer_gl0_inv
	v_fma_f64 v[60:61], v[17:18], v[32:33], -v[84:85]
	v_fma_f64 v[66:67], v[19:20], v[32:33], v[86:87]
	v_fma_f64 v[17:18], v[17:18], v[36:37], -v[88:89]
	v_fma_f64 v[19:20], v[19:20], v[36:37], v[92:93]
	;; [unrolled: 2-line block ×3, first 2 shown]
	v_add_f64 v[34:35], v[80:81], v[68:69]
	v_add_f64 v[54:55], v[70:71], v[54:55]
	;; [unrolled: 1-line block ×8, first 2 shown]
	v_fma_f64 v[40:41], v[40:41], v[36:37], -v[56:57]
	v_fma_f64 v[36:37], v[42:43], v[36:37], v[38:39]
	v_mul_f64 v[38:39], v[5:6], v[13:14]
	v_mul_f64 v[42:43], v[3:4], v[13:14]
	;; [unrolled: 1-line block ×8, first 2 shown]
	v_add_f64 v[34:35], v[34:35], v[60:61]
	v_add_f64 v[54:55], v[66:67], v[54:55]
	;; [unrolled: 1-line block ×8, first 2 shown]
	v_fma_f64 v[15:16], v[3:4], v[11:12], -v[38:39]
	v_fma_f64 v[20:21], v[5:6], v[11:12], v[42:43]
	v_fma_f64 v[3:4], v[3:4], v[44:45], -v[48:49]
	v_fma_f64 v[5:6], v[5:6], v[44:45], v[56:57]
	;; [unrolled: 2-line block ×4, first 2 shown]
	v_add_f64 v[18:19], v[34:35], v[15:16]
	v_add_f64 v[20:21], v[20:21], v[54:55]
	;; [unrolled: 1-line block ×8, first 2 shown]
	s_cbranch_vccz .LBB282_12
.LBB282_3:                              ; =>This Inner Loop Header: Depth=1
	v_add_co_u32 v3, s14, v27, s12
	v_add_co_ci_u32_e64 v4, null, 0, s13, s14
	v_cmp_le_i64_e32 vcc_lo, s[40:41], v[3:4]
	s_or_b32 s14, s1, vcc_lo
	s_and_saveexec_b32 s15, s14
	s_xor_b32 s14, exec_lo, s15
	s_cbranch_execz .LBB282_5
; %bb.4:                                ;   in Loop: Header=BB282_3 Depth=1
	v_mov_b32_e32 v3, v2
	v_mov_b32_e32 v4, v2
	;; [unrolled: 1-line block ×3, first 2 shown]
	ds_write_b128 v28, v[2:5]
.LBB282_5:                              ;   in Loop: Header=BB282_3 Depth=1
	s_andn2_saveexec_b32 s14, s14
	s_cbranch_execz .LBB282_7
; %bb.6:                                ;   in Loop: Header=BB282_3 Depth=1
	flat_load_dwordx4 v[32:35], v[24:25]
	s_waitcnt vmcnt(0) lgkmcnt(0)
	ds_write2_b64 v28, v[32:33], v[34:35] offset1:1
.LBB282_7:                              ;   in Loop: Header=BB282_3 Depth=1
	s_or_b32 exec_lo, exec_lo, s14
	v_add_co_u32 v3, s14, v26, s12
	v_add_co_ci_u32_e64 v4, null, 0, s13, s14
	v_cmp_le_i64_e32 vcc_lo, s[40:41], v[3:4]
	s_or_b32 s14, vcc_lo, s0
	s_and_saveexec_b32 s15, s14
	s_xor_b32 s14, exec_lo, s15
	s_cbranch_execz .LBB282_9
; %bb.8:                                ;   in Loop: Header=BB282_3 Depth=1
	v_mov_b32_e32 v3, v2
	v_mov_b32_e32 v4, v2
	v_mov_b32_e32 v5, v2
	ds_write_b128 v29, v[2:5]
.LBB282_9:                              ;   in Loop: Header=BB282_3 Depth=1
	s_andn2_saveexec_b32 s14, s14
	s_cbranch_execz .LBB282_2
; %bb.10:                               ;   in Loop: Header=BB282_3 Depth=1
	flat_load_dwordx4 v[32:35], v[22:23]
	s_waitcnt vmcnt(0) lgkmcnt(0)
	ds_write2_b64 v29, v[32:33], v[34:35] offset1:1
	s_branch .LBB282_2
.LBB282_11:
	v_mov_b32_e32 v18, 0
	v_mov_b32_e32 v20, 0
	;; [unrolled: 1-line block ×16, first 2 shown]
.LBB282_12:
	v_cmp_neq_f64_e64 s12, s[18:19], 0
	v_cmp_neq_f64_e64 s13, s[20:21], 0
	s_lshl_b64 s[0:1], s[2:3], 4
	v_add_co_u32 v1, s2, s10, v1
	v_add_co_ci_u32_e64 v2, null, s11, 0, s2
	s_waitcnt lgkmcnt(0)
	s_add_u32 s3, s8, s0
	s_addc_u32 s8, s9, s1
	v_cmp_gt_i64_e64 s0, s[38:39], v[1:2]
	s_or_b32 s1, s12, s13
	s_and_b32 vcc_lo, exec_lo, s1
	s_mov_b32 s1, -1
	s_cbranch_vccnz .LBB282_24
; %bb.13:
	s_and_saveexec_b32 s9, s0
	s_cbranch_execz .LBB282_23
; %bb.14:
	v_mul_lo_u32 v5, v2, s30
	v_mul_lo_u32 v22, v1, s31
	v_mad_u64_u32 v[3:4], null, v1, s30, 0
	v_add3_u32 v4, v4, v22, v5
	v_add_co_u32 v22, s1, s6, v0
	v_add_co_ci_u32_e64 v23, null, s7, 0, s1
	v_lshlrev_b64 v[24:25], 4, v[3:4]
	v_cmp_gt_i64_e32 vcc_lo, s[36:37], v[22:23]
	v_lshlrev_b64 v[3:4], 4, v[22:23]
	v_add_co_u32 v5, s1, s3, v24
	v_add_co_ci_u32_e64 v24, null, s8, v25, s1
	s_and_saveexec_b32 s2, vcc_lo
	s_cbranch_execz .LBB282_16
; %bb.15:
	v_mul_f64 v[25:26], s[44:45], v[20:21]
	v_mul_f64 v[27:28], s[42:43], v[20:21]
	v_add_co_u32 v29, s1, v5, v3
	v_add_co_ci_u32_e64 v30, null, v24, v4, s1
	v_fma_f64 v[25:26], s[42:43], v[18:19], -v[25:26]
	v_fma_f64 v[27:28], s[44:45], v[18:19], v[27:28]
	flat_store_dwordx4 v[29:30], v[25:28]
.LBB282_16:
	s_or_b32 exec_lo, exec_lo, s2
	v_add_co_u32 v22, s1, v22, 16
	v_add_co_ci_u32_e64 v23, null, 0, v23, s1
	v_cmp_gt_i64_e64 s1, s[36:37], v[22:23]
	s_and_saveexec_b32 s10, s1
	s_cbranch_execz .LBB282_18
; %bb.17:
	v_mul_f64 v[22:23], s[44:45], v[16:17]
	v_mul_f64 v[27:28], s[42:43], v[16:17]
	v_fma_f64 v[25:26], s[42:43], v[14:15], -v[22:23]
	v_fma_f64 v[27:28], s[44:45], v[14:15], v[27:28]
	v_add_co_u32 v22, s2, v5, v3
	v_add_co_ci_u32_e64 v23, null, v24, v4, s2
	flat_store_dwordx4 v[22:23], v[25:28] offset:256
.LBB282_18:
	s_or_b32 exec_lo, exec_lo, s10
	v_add_co_u32 v22, s2, v1, 16
	v_add_co_ci_u32_e64 v23, null, 0, v2, s2
	v_cmp_gt_i64_e64 s2, s[38:39], v[22:23]
	s_and_b32 exec_lo, exec_lo, s2
	s_cbranch_execz .LBB282_23
; %bb.19:
	s_lshl_b64 s[10:11], s[30:31], 8
	v_add_co_u32 v5, s2, v5, s10
	v_add_co_ci_u32_e64 v22, null, s11, v24, s2
	v_add_co_u32 v3, s2, v5, v3
	v_add_co_ci_u32_e64 v4, null, v22, v4, s2
	s_and_saveexec_b32 s2, vcc_lo
	s_cbranch_execz .LBB282_21
; %bb.20:
	v_mul_f64 v[22:23], s[44:45], v[12:13]
	v_mul_f64 v[24:25], s[42:43], v[12:13]
	v_fma_f64 v[22:23], s[42:43], v[10:11], -v[22:23]
	v_fma_f64 v[24:25], s[44:45], v[10:11], v[24:25]
	flat_store_dwordx4 v[3:4], v[22:25]
.LBB282_21:
	s_or_b32 exec_lo, exec_lo, s2
	s_and_b32 exec_lo, exec_lo, s1
	s_cbranch_execz .LBB282_23
; %bb.22:
	v_mul_f64 v[22:23], s[44:45], v[8:9]
	v_mul_f64 v[24:25], s[42:43], v[8:9]
	v_fma_f64 v[22:23], s[42:43], v[6:7], -v[22:23]
	v_fma_f64 v[24:25], s[44:45], v[6:7], v[24:25]
	flat_store_dwordx4 v[3:4], v[22:25] offset:256
.LBB282_23:
	s_or_b32 exec_lo, exec_lo, s9
	s_mov_b32 s1, 0
.LBB282_24:
	s_andn2_b32 vcc_lo, exec_lo, s1
	s_cbranch_vccnz .LBB282_35
; %bb.25:
	s_and_saveexec_b32 s1, s0
	s_cbranch_execz .LBB282_35
; %bb.26:
	v_mul_lo_u32 v5, v2, s24
	v_mul_lo_u32 v22, v1, s25
	v_mad_u64_u32 v[3:4], null, v1, s24, 0
	v_mul_lo_u32 v26, v2, s30
	v_mul_lo_u32 v27, v1, s31
	v_mad_u64_u32 v[24:25], null, v1, s30, 0
	s_lshl_b64 s[0:1], s[26:27], 4
	v_add3_u32 v4, v4, v22, v5
	v_add_co_u32 v22, s2, s6, v0
	v_add_co_ci_u32_e64 v23, null, s7, 0, s2
	v_add3_u32 v25, v25, v27, v26
	v_lshlrev_b64 v[3:4], 4, v[3:4]
	s_add_u32 s0, s4, s0
	s_addc_u32 s1, s5, s1
	v_cmp_gt_i64_e32 vcc_lo, s[36:37], v[22:23]
	v_lshlrev_b64 v[24:25], 4, v[24:25]
	v_add_co_u32 v0, s0, s0, v3
	v_add_co_ci_u32_e64 v5, null, s1, v4, s0
	v_add_co_u32 v24, s0, s3, v24
	v_lshlrev_b64 v[3:4], 4, v[22:23]
	v_add_co_ci_u32_e64 v25, null, s8, v25, s0
	s_and_saveexec_b32 s1, vcc_lo
	s_cbranch_execz .LBB282_28
; %bb.27:
	v_add_co_u32 v26, s0, v0, v3
	v_add_co_ci_u32_e64 v27, null, v5, v4, s0
	v_mul_f64 v[30:31], s[44:45], v[20:21]
	v_mul_f64 v[20:21], s[42:43], v[20:21]
	flat_load_dwordx4 v[26:29], v[26:27]
	v_fma_f64 v[30:31], s[42:43], v[18:19], -v[30:31]
	v_fma_f64 v[20:21], s[44:45], v[18:19], v[20:21]
	s_waitcnt vmcnt(0) lgkmcnt(0)
	v_mul_f64 v[32:33], s[20:21], v[28:29]
	v_mul_f64 v[28:29], s[18:19], v[28:29]
	v_fma_f64 v[18:19], s[18:19], v[26:27], -v[32:33]
	v_fma_f64 v[26:27], s[20:21], v[26:27], v[28:29]
	v_add_f64 v[18:19], v[30:31], v[18:19]
	v_add_f64 v[20:21], v[20:21], v[26:27]
	v_add_co_u32 v26, s0, v24, v3
	v_add_co_ci_u32_e64 v27, null, v25, v4, s0
	flat_store_dwordx4 v[26:27], v[18:21]
.LBB282_28:
	s_or_b32 exec_lo, exec_lo, s1
	v_add_co_u32 v18, s0, v22, 16
	v_add_co_ci_u32_e64 v19, null, 0, v23, s0
	v_cmp_gt_i64_e64 s0, s[36:37], v[18:19]
	s_and_saveexec_b32 s2, s0
	s_cbranch_execz .LBB282_30
; %bb.29:
	v_add_co_u32 v18, s1, v0, v3
	v_add_co_ci_u32_e64 v19, null, v5, v4, s1
	v_mul_f64 v[22:23], s[44:45], v[16:17]
	v_mul_f64 v[16:17], s[42:43], v[16:17]
	flat_load_dwordx4 v[18:21], v[18:19] offset:256
	v_fma_f64 v[22:23], s[42:43], v[14:15], -v[22:23]
	v_fma_f64 v[16:17], s[44:45], v[14:15], v[16:17]
	s_waitcnt vmcnt(0) lgkmcnt(0)
	v_mul_f64 v[26:27], s[20:21], v[20:21]
	v_mul_f64 v[20:21], s[18:19], v[20:21]
	v_fma_f64 v[14:15], s[18:19], v[18:19], -v[26:27]
	v_fma_f64 v[18:19], s[20:21], v[18:19], v[20:21]
	v_add_f64 v[14:15], v[22:23], v[14:15]
	v_add_f64 v[16:17], v[16:17], v[18:19]
	v_add_co_u32 v18, s1, v24, v3
	v_add_co_ci_u32_e64 v19, null, v25, v4, s1
	flat_store_dwordx4 v[18:19], v[14:17] offset:256
.LBB282_30:
	s_or_b32 exec_lo, exec_lo, s2
	v_add_co_u32 v1, s1, v1, 16
	v_add_co_ci_u32_e64 v2, null, 0, v2, s1
	v_cmp_gt_i64_e64 s1, s[38:39], v[1:2]
	s_and_b32 exec_lo, exec_lo, s1
	s_cbranch_execz .LBB282_35
; %bb.31:
	s_lshl_b64 s[2:3], s[24:25], 8
	v_add_co_u32 v0, s1, v0, s2
	v_add_co_ci_u32_e64 v1, null, s3, v5, s1
	s_lshl_b64 s[2:3], s[30:31], 8
	v_add_co_u32 v2, s1, v24, s2
	v_add_co_ci_u32_e64 v5, null, s3, v25, s1
	v_add_co_u32 v14, s1, v0, v3
	v_add_co_ci_u32_e64 v15, null, v1, v4, s1
	;; [unrolled: 2-line block ×3, first 2 shown]
	s_and_saveexec_b32 s1, vcc_lo
	s_cbranch_execz .LBB282_33
; %bb.32:
	flat_load_dwordx4 v[2:5], v[14:15]
	v_mul_f64 v[16:17], s[44:45], v[12:13]
	v_mul_f64 v[12:13], s[42:43], v[12:13]
	v_fma_f64 v[16:17], s[42:43], v[10:11], -v[16:17]
	v_fma_f64 v[10:11], s[44:45], v[10:11], v[12:13]
	s_waitcnt vmcnt(0) lgkmcnt(0)
	v_mul_f64 v[18:19], s[20:21], v[4:5]
	v_mul_f64 v[4:5], s[18:19], v[4:5]
	v_fma_f64 v[12:13], s[18:19], v[2:3], -v[18:19]
	v_fma_f64 v[4:5], s[20:21], v[2:3], v[4:5]
	v_add_f64 v[2:3], v[16:17], v[12:13]
	v_add_f64 v[4:5], v[10:11], v[4:5]
	flat_store_dwordx4 v[0:1], v[2:5]
.LBB282_33:
	s_or_b32 exec_lo, exec_lo, s1
	s_and_b32 exec_lo, exec_lo, s0
	s_cbranch_execz .LBB282_35
; %bb.34:
	flat_load_dwordx4 v[2:5], v[14:15] offset:256
	v_mul_f64 v[10:11], s[44:45], v[8:9]
	v_mul_f64 v[8:9], s[42:43], v[8:9]
	v_fma_f64 v[10:11], s[42:43], v[6:7], -v[10:11]
	v_fma_f64 v[6:7], s[44:45], v[6:7], v[8:9]
	s_waitcnt vmcnt(0) lgkmcnt(0)
	v_mul_f64 v[12:13], s[20:21], v[4:5]
	v_mul_f64 v[4:5], s[18:19], v[4:5]
	v_fma_f64 v[8:9], s[18:19], v[2:3], -v[12:13]
	v_fma_f64 v[4:5], s[20:21], v[2:3], v[4:5]
	v_add_f64 v[2:3], v[10:11], v[8:9]
	v_add_f64 v[4:5], v[6:7], v[4:5]
	flat_store_dwordx4 v[0:1], v[2:5] offset:256
.LBB282_35:
	s_endpgm
	.section	.rodata,"a",@progbits
	.p2align	6, 0x0
	.amdhsa_kernel _ZN12_GLOBAL__N_135rocblas_gemm_batched_general_kernelI19rocblas_complex_numIdELi16ELi16ELi32ELi32ELi8ELi32ELi8ELi8ELi32ELc84ELc78EKPKS2_S5_KPS2_EEvlllT_PT11_llSA_llS8_PT12_llPT13_lli
		.amdhsa_group_segment_fixed_size 8192
		.amdhsa_private_segment_fixed_size 0
		.amdhsa_kernarg_size 156
		.amdhsa_user_sgpr_count 6
		.amdhsa_user_sgpr_private_segment_buffer 1
		.amdhsa_user_sgpr_dispatch_ptr 0
		.amdhsa_user_sgpr_queue_ptr 0
		.amdhsa_user_sgpr_kernarg_segment_ptr 1
		.amdhsa_user_sgpr_dispatch_id 0
		.amdhsa_user_sgpr_flat_scratch_init 0
		.amdhsa_user_sgpr_private_segment_size 0
		.amdhsa_wavefront_size32 1
		.amdhsa_uses_dynamic_stack 0
		.amdhsa_system_sgpr_private_segment_wavefront_offset 0
		.amdhsa_system_sgpr_workgroup_id_x 1
		.amdhsa_system_sgpr_workgroup_id_y 1
		.amdhsa_system_sgpr_workgroup_id_z 1
		.amdhsa_system_sgpr_workgroup_info 0
		.amdhsa_system_vgpr_workitem_id 1
		.amdhsa_next_free_vgpr 128
		.amdhsa_next_free_sgpr 52
		.amdhsa_reserve_vcc 1
		.amdhsa_reserve_flat_scratch 0
		.amdhsa_float_round_mode_32 0
		.amdhsa_float_round_mode_16_64 0
		.amdhsa_float_denorm_mode_32 3
		.amdhsa_float_denorm_mode_16_64 3
		.amdhsa_dx10_clamp 1
		.amdhsa_ieee_mode 1
		.amdhsa_fp16_overflow 0
		.amdhsa_workgroup_processor_mode 1
		.amdhsa_memory_ordered 1
		.amdhsa_forward_progress 1
		.amdhsa_shared_vgpr_count 0
		.amdhsa_exception_fp_ieee_invalid_op 0
		.amdhsa_exception_fp_denorm_src 0
		.amdhsa_exception_fp_ieee_div_zero 0
		.amdhsa_exception_fp_ieee_overflow 0
		.amdhsa_exception_fp_ieee_underflow 0
		.amdhsa_exception_fp_ieee_inexact 0
		.amdhsa_exception_int_div_zero 0
	.end_amdhsa_kernel
	.section	.text._ZN12_GLOBAL__N_135rocblas_gemm_batched_general_kernelI19rocblas_complex_numIdELi16ELi16ELi32ELi32ELi8ELi32ELi8ELi8ELi32ELc84ELc78EKPKS2_S5_KPS2_EEvlllT_PT11_llSA_llS8_PT12_llPT13_lli,"axG",@progbits,_ZN12_GLOBAL__N_135rocblas_gemm_batched_general_kernelI19rocblas_complex_numIdELi16ELi16ELi32ELi32ELi8ELi32ELi8ELi8ELi32ELc84ELc78EKPKS2_S5_KPS2_EEvlllT_PT11_llSA_llS8_PT12_llPT13_lli,comdat
.Lfunc_end282:
	.size	_ZN12_GLOBAL__N_135rocblas_gemm_batched_general_kernelI19rocblas_complex_numIdELi16ELi16ELi32ELi32ELi8ELi32ELi8ELi8ELi32ELc84ELc78EKPKS2_S5_KPS2_EEvlllT_PT11_llSA_llS8_PT12_llPT13_lli, .Lfunc_end282-_ZN12_GLOBAL__N_135rocblas_gemm_batched_general_kernelI19rocblas_complex_numIdELi16ELi16ELi32ELi32ELi8ELi32ELi8ELi8ELi32ELc84ELc78EKPKS2_S5_KPS2_EEvlllT_PT11_llSA_llS8_PT12_llPT13_lli
                                        ; -- End function
	.set _ZN12_GLOBAL__N_135rocblas_gemm_batched_general_kernelI19rocblas_complex_numIdELi16ELi16ELi32ELi32ELi8ELi32ELi8ELi8ELi32ELc84ELc78EKPKS2_S5_KPS2_EEvlllT_PT11_llSA_llS8_PT12_llPT13_lli.num_vgpr, 128
	.set _ZN12_GLOBAL__N_135rocblas_gemm_batched_general_kernelI19rocblas_complex_numIdELi16ELi16ELi32ELi32ELi8ELi32ELi8ELi8ELi32ELc84ELc78EKPKS2_S5_KPS2_EEvlllT_PT11_llSA_llS8_PT12_llPT13_lli.num_agpr, 0
	.set _ZN12_GLOBAL__N_135rocblas_gemm_batched_general_kernelI19rocblas_complex_numIdELi16ELi16ELi32ELi32ELi8ELi32ELi8ELi8ELi32ELc84ELc78EKPKS2_S5_KPS2_EEvlllT_PT11_llSA_llS8_PT12_llPT13_lli.numbered_sgpr, 52
	.set _ZN12_GLOBAL__N_135rocblas_gemm_batched_general_kernelI19rocblas_complex_numIdELi16ELi16ELi32ELi32ELi8ELi32ELi8ELi8ELi32ELc84ELc78EKPKS2_S5_KPS2_EEvlllT_PT11_llSA_llS8_PT12_llPT13_lli.num_named_barrier, 0
	.set _ZN12_GLOBAL__N_135rocblas_gemm_batched_general_kernelI19rocblas_complex_numIdELi16ELi16ELi32ELi32ELi8ELi32ELi8ELi8ELi32ELc84ELc78EKPKS2_S5_KPS2_EEvlllT_PT11_llSA_llS8_PT12_llPT13_lli.private_seg_size, 0
	.set _ZN12_GLOBAL__N_135rocblas_gemm_batched_general_kernelI19rocblas_complex_numIdELi16ELi16ELi32ELi32ELi8ELi32ELi8ELi8ELi32ELc84ELc78EKPKS2_S5_KPS2_EEvlllT_PT11_llSA_llS8_PT12_llPT13_lli.uses_vcc, 1
	.set _ZN12_GLOBAL__N_135rocblas_gemm_batched_general_kernelI19rocblas_complex_numIdELi16ELi16ELi32ELi32ELi8ELi32ELi8ELi8ELi32ELc84ELc78EKPKS2_S5_KPS2_EEvlllT_PT11_llSA_llS8_PT12_llPT13_lli.uses_flat_scratch, 0
	.set _ZN12_GLOBAL__N_135rocblas_gemm_batched_general_kernelI19rocblas_complex_numIdELi16ELi16ELi32ELi32ELi8ELi32ELi8ELi8ELi32ELc84ELc78EKPKS2_S5_KPS2_EEvlllT_PT11_llSA_llS8_PT12_llPT13_lli.has_dyn_sized_stack, 0
	.set _ZN12_GLOBAL__N_135rocblas_gemm_batched_general_kernelI19rocblas_complex_numIdELi16ELi16ELi32ELi32ELi8ELi32ELi8ELi8ELi32ELc84ELc78EKPKS2_S5_KPS2_EEvlllT_PT11_llSA_llS8_PT12_llPT13_lli.has_recursion, 0
	.set _ZN12_GLOBAL__N_135rocblas_gemm_batched_general_kernelI19rocblas_complex_numIdELi16ELi16ELi32ELi32ELi8ELi32ELi8ELi8ELi32ELc84ELc78EKPKS2_S5_KPS2_EEvlllT_PT11_llSA_llS8_PT12_llPT13_lli.has_indirect_call, 0
	.section	.AMDGPU.csdata,"",@progbits
; Kernel info:
; codeLenInByte = 4060
; TotalNumSgprs: 54
; NumVgprs: 128
; ScratchSize: 0
; MemoryBound: 0
; FloatMode: 240
; IeeeMode: 1
; LDSByteSize: 8192 bytes/workgroup (compile time only)
; SGPRBlocks: 0
; VGPRBlocks: 15
; NumSGPRsForWavesPerEU: 54
; NumVGPRsForWavesPerEU: 128
; Occupancy: 8
; WaveLimiterHint : 1
; COMPUTE_PGM_RSRC2:SCRATCH_EN: 0
; COMPUTE_PGM_RSRC2:USER_SGPR: 6
; COMPUTE_PGM_RSRC2:TRAP_HANDLER: 0
; COMPUTE_PGM_RSRC2:TGID_X_EN: 1
; COMPUTE_PGM_RSRC2:TGID_Y_EN: 1
; COMPUTE_PGM_RSRC2:TGID_Z_EN: 1
; COMPUTE_PGM_RSRC2:TIDIG_COMP_CNT: 1
	.section	.text._ZN12_GLOBAL__N_135rocblas_gemm_batched_general_kernelI19rocblas_complex_numIdELi16ELi16ELi32ELi32ELi8ELi32ELi8ELi8ELi32ELc78ELc84EKPKS2_S5_KPS2_EEvlllT_PT11_llSA_llS8_PT12_llPT13_lli,"axG",@progbits,_ZN12_GLOBAL__N_135rocblas_gemm_batched_general_kernelI19rocblas_complex_numIdELi16ELi16ELi32ELi32ELi8ELi32ELi8ELi8ELi32ELc78ELc84EKPKS2_S5_KPS2_EEvlllT_PT11_llSA_llS8_PT12_llPT13_lli,comdat
	.globl	_ZN12_GLOBAL__N_135rocblas_gemm_batched_general_kernelI19rocblas_complex_numIdELi16ELi16ELi32ELi32ELi8ELi32ELi8ELi8ELi32ELc78ELc84EKPKS2_S5_KPS2_EEvlllT_PT11_llSA_llS8_PT12_llPT13_lli ; -- Begin function _ZN12_GLOBAL__N_135rocblas_gemm_batched_general_kernelI19rocblas_complex_numIdELi16ELi16ELi32ELi32ELi8ELi32ELi8ELi8ELi32ELc78ELc84EKPKS2_S5_KPS2_EEvlllT_PT11_llSA_llS8_PT12_llPT13_lli
	.p2align	8
	.type	_ZN12_GLOBAL__N_135rocblas_gemm_batched_general_kernelI19rocblas_complex_numIdELi16ELi16ELi32ELi32ELi8ELi32ELi8ELi8ELi32ELc78ELc84EKPKS2_S5_KPS2_EEvlllT_PT11_llSA_llS8_PT12_llPT13_lli,@function
_ZN12_GLOBAL__N_135rocblas_gemm_batched_general_kernelI19rocblas_complex_numIdELi16ELi16ELi32ELi32ELi8ELi32ELi8ELi8ELi32ELc78ELc84EKPKS2_S5_KPS2_EEvlllT_PT11_llSA_llS8_PT12_llPT13_lli: ; @_ZN12_GLOBAL__N_135rocblas_gemm_batched_general_kernelI19rocblas_complex_numIdELi16ELi16ELi32ELi32ELi8ELi32ELi8ELi8ELi32ELc78ELc84EKPKS2_S5_KPS2_EEvlllT_PT11_llSA_llS8_PT12_llPT13_lli
; %bb.0:
	s_clause 0x2
	s_load_dwordx16 s[12:27], s[4:5], 0x40
	s_load_dwordx4 s[28:31], s[4:5], 0x80
	s_load_dwordx16 s[36:51], s[4:5], 0x0
	s_mov_b32 s9, 0
	s_load_dwordx2 s[2:3], s[4:5], 0x90
	s_lshl_b64 s[0:1], s[8:9], 3
	s_mov_b32 s34, s7
	v_mov_b32_e32 v2, 0
	s_waitcnt lgkmcnt(0)
	s_add_u32 s4, s22, s0
	s_addc_u32 s5, s23, s1
	s_add_u32 s8, s28, s0
	s_addc_u32 s9, s29, s1
	s_load_dwordx2 s[4:5], s[4:5], 0x0
	s_load_dwordx2 s[10:11], s[8:9], 0x0
	v_cmp_lt_i64_e64 s22, s[40:41], 1
	s_ashr_i32 s7, s6, 31
	s_ashr_i32 s35, s34, 31
	s_lshl_b64 s[8:9], s[6:7], 5
	s_and_b32 vcc_lo, exec_lo, s22
	s_lshl_b64 s[22:23], s[34:35], 5
	s_cbranch_vccnz .LBB283_11
; %bb.1:
	v_lshl_add_u32 v5, v1, 4, v0
	v_and_b32_e32 v26, 7, v0
	v_mov_b32_e32 v6, s9
	s_add_u32 s12, s12, s0
	s_addc_u32 s13, s13, s1
	v_and_b32_e32 v7, 31, v5
	v_mad_u64_u32 v[3:4], null, s14, v26, 0
	v_lshrrev_b32_e32 v27, 5, v5
	v_lshrrev_b32_e32 v12, 3, v5
	v_or_b32_e32 v5, s8, v7
	v_lshlrev_b32_e32 v13, 4, v7
	v_lshlrev_b32_e32 v14, 4, v26
	s_add_u32 s0, s46, s0
	s_addc_u32 s1, s47, s1
	v_mad_u64_u32 v[7:8], null, s15, v26, v[4:5]
	v_mad_u64_u32 v[8:9], null, s48, v27, 0
	v_cmp_gt_i64_e32 vcc_lo, s[36:37], v[5:6]
	v_lshl_or_b32 v6, v12, 7, v14
	s_lshl_b64 s[34:35], s[34:35], 9
	s_lshl_b64 s[16:17], s[16:17], 4
	v_mov_b32_e32 v4, v7
	s_load_dwordx2 s[12:13], s[12:13], 0x0
	s_load_dwordx2 s[28:29], s[0:1], 0x0
	v_mov_b32_e32 v5, v9
	v_add_nc_u32_e32 v29, 0x1000, v6
	s_add_u32 s1, s16, s34
	v_lshlrev_b64 v[3:4], 4, v[3:4]
	s_addc_u32 s16, s17, s35
	v_mad_u64_u32 v[5:6], null, s49, v27, v[5:6]
	s_lshl_b64 s[34:35], s[50:51], 4
	v_lshlrev_b32_e32 v7, 4, v12
	v_add_co_u32 v10, s0, v12, s22
	v_add_co_ci_u32_e64 v11, null, 0, s23, s0
	v_mov_b32_e32 v9, v5
	v_add_co_u32 v5, s1, s1, v3
	v_add_co_ci_u32_e64 v6, null, s16, v4, s1
	v_lshlrev_b64 v[3:4], 4, v[8:9]
	s_lshl_b64 s[16:17], s[6:7], 9
	s_lshl_b64 s[6:7], s[14:15], 7
	s_add_u32 s1, s34, s16
	s_addc_u32 s14, s35, s17
	v_cmp_gt_i64_e64 s0, s[38:39], v[10:11]
	v_add_co_u32 v3, s1, s1, v3
	v_add_co_ci_u32_e64 v4, null, s14, v4, s1
	v_add_co_u32 v5, s1, v5, v7
	v_add_co_ci_u32_e64 v6, null, 0, v6, s1
	;; [unrolled: 2-line block ×3, first 2 shown]
	s_waitcnt lgkmcnt(0)
	v_add_co_u32 v22, s1, s12, v5
	v_add_co_ci_u32_e64 v23, null, s13, v6, s1
	v_add_co_u32 v24, s1, s28, v3
	v_lshl_or_b32 v28, v27, 9, v13
	v_mov_b32_e32 v8, 0
	v_mov_b32_e32 v6, 0
	;; [unrolled: 1-line block ×8, first 2 shown]
	v_lshlrev_b32_e32 v30, 4, v0
	v_lshl_add_u32 v31, v1, 7, 0x1000
	v_add_co_ci_u32_e64 v25, null, s29, v4, s1
	v_mov_b32_e32 v9, 0
	v_mov_b32_e32 v7, 0
	;; [unrolled: 1-line block ×8, first 2 shown]
	s_lshl_b64 s[12:13], s[48:49], 7
	s_mov_b64 s[14:15], 0
	s_xor_b32 s1, vcc_lo, -1
	s_xor_b32 s0, s0, -1
	s_branch .LBB283_3
.LBB283_2:                              ;   in Loop: Header=BB283_3 Depth=1
	s_or_b32 exec_lo, exec_lo, s16
	s_waitcnt lgkmcnt(0)
	s_barrier
	buffer_gl0_inv
	ds_read_b128 v[32:35], v31
	ds_read_b128 v[36:39], v30
	ds_read_b128 v[40:43], v30 offset:256
	ds_read_b128 v[44:47], v31 offset:2048
	;; [unrolled: 1-line block ×12, first 2 shown]
	s_add_u32 s14, s14, 8
	s_addc_u32 s15, s15, 0
	v_add_co_u32 v22, vcc_lo, v22, s6
	v_cmp_lt_i64_e64 s16, s[14:15], s[40:41]
	v_add_co_ci_u32_e64 v23, null, s7, v23, vcc_lo
	s_waitcnt lgkmcnt(12)
	v_mul_f64 v[3:4], v[34:35], v[38:39]
	v_mul_f64 v[88:89], v[32:33], v[38:39]
	s_waitcnt lgkmcnt(11)
	v_mul_f64 v[90:91], v[34:35], v[42:43]
	v_mul_f64 v[92:93], v[32:33], v[42:43]
	;; [unrolled: 3-line block ×3, first 2 shown]
	v_mul_f64 v[96:97], v[46:47], v[42:43]
	v_mul_f64 v[42:43], v[44:45], v[42:43]
	s_waitcnt lgkmcnt(8)
	v_mul_f64 v[98:99], v[50:51], v[54:55]
	v_mul_f64 v[100:101], v[48:49], v[54:55]
	s_waitcnt lgkmcnt(7)
	;; [unrolled: 3-line block ×3, first 2 shown]
	v_mul_f64 v[106:107], v[62:63], v[54:55]
	v_mul_f64 v[54:55], v[60:61], v[54:55]
	;; [unrolled: 1-line block ×4, first 2 shown]
	s_waitcnt lgkmcnt(4)
	v_mul_f64 v[110:111], v[66:67], v[70:71]
	v_mul_f64 v[112:113], v[64:65], v[70:71]
	s_waitcnt lgkmcnt(3)
	v_mul_f64 v[114:115], v[66:67], v[74:75]
	v_mul_f64 v[116:117], v[64:65], v[74:75]
	;; [unrolled: 3-line block ×3, first 2 shown]
	v_fma_f64 v[3:4], v[32:33], v[36:37], -v[3:4]
	v_fma_f64 v[88:89], v[34:35], v[36:37], v[88:89]
	v_fma_f64 v[90:91], v[32:33], v[40:41], -v[90:91]
	v_fma_f64 v[92:93], v[34:35], v[40:41], v[92:93]
	;; [unrolled: 2-line block ×4, first 2 shown]
	v_mul_f64 v[124:125], v[78:79], v[74:75]
	v_mul_f64 v[74:75], v[76:77], v[74:75]
	ds_read_b128 v[32:35], v30 offset:1536
	ds_read_b128 v[36:39], v30 offset:1792
	v_fma_f64 v[98:99], v[48:49], v[52:53], -v[98:99]
	v_fma_f64 v[100:101], v[50:51], v[52:53], v[100:101]
	v_fma_f64 v[102:103], v[48:49], v[56:57], -v[102:103]
	v_fma_f64 v[104:105], v[50:51], v[56:57], v[104:105]
	;; [unrolled: 2-line block ×7, first 2 shown]
	v_add_f64 v[18:19], v[18:19], v[3:4]
	v_add_f64 v[20:21], v[88:89], v[20:21]
	;; [unrolled: 1-line block ×4, first 2 shown]
	s_waitcnt lgkmcnt(1)
	v_mul_f64 v[110:111], v[82:83], v[34:35]
	v_mul_f64 v[112:113], v[80:81], v[34:35]
	s_waitcnt lgkmcnt(0)
	v_mul_f64 v[70:71], v[82:83], v[38:39]
	v_mul_f64 v[114:115], v[80:81], v[38:39]
	v_fma_f64 v[76:77], v[76:77], v[72:73], -v[124:125]
	v_fma_f64 v[72:73], v[78:79], v[72:73], v[74:75]
	v_add_f64 v[74:75], v[10:11], v[94:95]
	v_add_f64 v[11:12], v[120:121], v[12:13]
	v_add_f64 v[78:79], v[6:7], v[96:97]
	v_add_f64 v[88:89], v[122:123], v[8:9]
	ds_read_b128 v[40:43], v31 offset:64
	ds_read_b128 v[44:47], v30 offset:2048
	;; [unrolled: 1-line block ×4, first 2 shown]
	v_mul_f64 v[116:117], v[86:87], v[34:35]
	v_mul_f64 v[34:35], v[84:85], v[34:35]
	;; [unrolled: 1-line block ×4, first 2 shown]
	ds_read_b128 v[48:51], v30 offset:2304
	v_add_f64 v[98:99], v[18:19], v[98:99]
	v_add_f64 v[19:20], v[100:101], v[20:21]
	v_add_f64 v[100:101], v[14:15], v[102:103]
	v_add_f64 v[102:103], v[104:105], v[16:17]
	v_fma_f64 v[92:93], v[80:81], v[32:33], -v[110:111]
	v_fma_f64 v[94:95], v[82:83], v[32:33], v[112:113]
	v_fma_f64 v[70:71], v[80:81], v[36:37], -v[70:71]
	v_fma_f64 v[82:83], v[82:83], v[36:37], v[114:115]
	ds_read_b128 v[3:6], v31 offset:80
	ds_read_b128 v[15:18], v30 offset:2816
	v_add_f64 v[74:75], v[74:75], v[106:107]
	v_add_f64 v[104:105], v[126:127], v[11:12]
	s_waitcnt lgkmcnt(5)
	v_mul_f64 v[80:81], v[42:43], v[46:47]
	v_mul_f64 v[96:97], v[40:41], v[46:47]
	s_waitcnt lgkmcnt(4)
	v_mul_f64 v[114:115], v[54:55], v[46:47]
	v_mul_f64 v[46:47], v[52:53], v[46:47]
	v_add_f64 v[60:61], v[78:79], v[60:61]
	v_add_f64 v[56:57], v[56:57], v[88:89]
	v_fma_f64 v[78:79], v[84:85], v[32:33], -v[116:117]
	v_fma_f64 v[88:89], v[86:87], v[32:33], v[34:35]
	ds_read_b128 v[11:14], v30 offset:2560
	s_waitcnt lgkmcnt(3)
	v_mul_f64 v[110:111], v[42:43], v[50:51]
	v_mul_f64 v[112:113], v[40:41], v[50:51]
	v_fma_f64 v[84:85], v[84:85], v[36:37], -v[90:91]
	v_fma_f64 v[86:87], v[86:87], v[36:37], v[38:39]
	v_mul_f64 v[36:37], v[54:55], v[50:51]
	v_mul_f64 v[38:39], v[52:53], v[50:51]
	v_add_co_u32 v24, vcc_lo, v24, s12
	v_add_co_ci_u32_e64 v25, null, s13, v25, vcc_lo
	s_and_b32 vcc_lo, exec_lo, s16
	v_add_f64 v[68:69], v[68:69], v[104:105]
	v_fma_f64 v[80:81], v[40:41], v[44:45], -v[80:81]
	v_fma_f64 v[90:91], v[42:43], v[44:45], v[96:97]
	v_fma_f64 v[50:51], v[52:53], v[44:45], -v[114:115]
	v_fma_f64 v[44:45], v[54:55], v[44:45], v[46:47]
	v_add_f64 v[46:47], v[98:99], v[58:59]
	v_add_f64 v[58:59], v[62:63], v[19:20]
	;; [unrolled: 1-line block ×7, first 2 shown]
	v_fma_f64 v[96:97], v[40:41], v[48:49], -v[110:111]
	v_fma_f64 v[106:107], v[42:43], v[48:49], v[112:113]
	s_waitcnt lgkmcnt(0)
	v_mul_f64 v[72:73], v[5:6], v[13:14]
	v_mul_f64 v[74:75], v[3:4], v[13:14]
	;; [unrolled: 1-line block ×8, first 2 shown]
	v_fma_f64 v[52:53], v[52:53], v[48:49], -v[36:37]
	v_fma_f64 v[48:49], v[54:55], v[48:49], v[38:39]
	ds_read_b128 v[17:20], v31 offset:96
	ds_read_b128 v[32:35], v30 offset:3072
	;; [unrolled: 1-line block ×4, first 2 shown]
	v_add_f64 v[46:47], v[46:47], v[92:93]
	v_add_f64 v[54:55], v[94:95], v[58:59]
	;; [unrolled: 1-line block ×8, first 2 shown]
	v_fma_f64 v[68:69], v[3:4], v[11:12], -v[72:73]
	v_fma_f64 v[70:71], v[5:6], v[11:12], v[74:75]
	v_fma_f64 v[72:73], v[3:4], v[15:16], -v[76:77]
	v_fma_f64 v[74:75], v[5:6], v[15:16], v[98:99]
	;; [unrolled: 2-line block ×4, first 2 shown]
	s_waitcnt lgkmcnt(2)
	v_mul_f64 v[84:85], v[19:20], v[34:35]
	v_mul_f64 v[86:87], v[17:18], v[34:35]
	s_waitcnt lgkmcnt(1)
	v_mul_f64 v[88:89], v[19:20], v[38:39]
	v_mul_f64 v[92:93], v[17:18], v[38:39]
	;; [unrolled: 3-line block ×3, first 2 shown]
	v_add_f64 v[80:81], v[46:47], v[80:81]
	v_add_f64 v[54:55], v[90:91], v[54:55]
	;; [unrolled: 1-line block ×8, first 2 shown]
	v_mul_f64 v[56:57], v[42:43], v[38:39]
	v_mul_f64 v[38:39], v[40:41], v[38:39]
	ds_read_b128 v[3:6], v31 offset:112
	ds_read_b128 v[7:10], v31 offset:2160
	ds_read_b128 v[11:14], v30 offset:3584
	ds_read_b128 v[44:47], v30 offset:3840
	s_waitcnt lgkmcnt(0)
	s_barrier
	buffer_gl0_inv
	v_fma_f64 v[60:61], v[17:18], v[32:33], -v[84:85]
	v_fma_f64 v[66:67], v[19:20], v[32:33], v[86:87]
	v_fma_f64 v[17:18], v[17:18], v[36:37], -v[88:89]
	v_fma_f64 v[19:20], v[19:20], v[36:37], v[92:93]
	;; [unrolled: 2-line block ×3, first 2 shown]
	v_add_f64 v[34:35], v[80:81], v[68:69]
	v_add_f64 v[54:55], v[70:71], v[54:55]
	;; [unrolled: 1-line block ×8, first 2 shown]
	v_fma_f64 v[40:41], v[40:41], v[36:37], -v[56:57]
	v_fma_f64 v[36:37], v[42:43], v[36:37], v[38:39]
	v_mul_f64 v[38:39], v[5:6], v[13:14]
	v_mul_f64 v[42:43], v[3:4], v[13:14]
	;; [unrolled: 1-line block ×8, first 2 shown]
	v_add_f64 v[34:35], v[34:35], v[60:61]
	v_add_f64 v[54:55], v[66:67], v[54:55]
	;; [unrolled: 1-line block ×8, first 2 shown]
	v_fma_f64 v[15:16], v[3:4], v[11:12], -v[38:39]
	v_fma_f64 v[20:21], v[5:6], v[11:12], v[42:43]
	v_fma_f64 v[3:4], v[3:4], v[44:45], -v[48:49]
	v_fma_f64 v[5:6], v[5:6], v[44:45], v[56:57]
	;; [unrolled: 2-line block ×4, first 2 shown]
	v_add_f64 v[18:19], v[34:35], v[15:16]
	v_add_f64 v[20:21], v[20:21], v[54:55]
	v_add_f64 v[14:15], v[58:59], v[3:4]
	v_add_f64 v[16:17], v[5:6], v[60:61]
	v_add_f64 v[10:11], v[50:51], v[38:39]
	v_add_f64 v[12:13], v[12:13], v[32:33]
	v_add_f64 v[6:7], v[40:41], v[7:8]
	v_add_f64 v[8:9], v[42:43], v[36:37]
	s_cbranch_vccz .LBB283_12
.LBB283_3:                              ; =>This Inner Loop Header: Depth=1
	v_add_co_u32 v3, s16, v27, s14
	v_add_co_ci_u32_e64 v4, null, 0, s15, s16
	v_cmp_le_i64_e32 vcc_lo, s[40:41], v[3:4]
	s_or_b32 s16, s1, vcc_lo
	s_and_saveexec_b32 s17, s16
	s_xor_b32 s16, exec_lo, s17
	s_cbranch_execz .LBB283_5
; %bb.4:                                ;   in Loop: Header=BB283_3 Depth=1
	v_mov_b32_e32 v3, v2
	v_mov_b32_e32 v4, v2
	;; [unrolled: 1-line block ×3, first 2 shown]
	ds_write_b128 v28, v[2:5]
.LBB283_5:                              ;   in Loop: Header=BB283_3 Depth=1
	s_andn2_saveexec_b32 s16, s16
	s_cbranch_execz .LBB283_7
; %bb.6:                                ;   in Loop: Header=BB283_3 Depth=1
	flat_load_dwordx4 v[32:35], v[24:25]
	s_waitcnt vmcnt(0) lgkmcnt(0)
	ds_write2_b64 v28, v[32:33], v[34:35] offset1:1
.LBB283_7:                              ;   in Loop: Header=BB283_3 Depth=1
	s_or_b32 exec_lo, exec_lo, s16
	v_add_co_u32 v3, s16, v26, s14
	v_add_co_ci_u32_e64 v4, null, 0, s15, s16
	v_cmp_le_i64_e32 vcc_lo, s[40:41], v[3:4]
	s_or_b32 s16, vcc_lo, s0
	s_and_saveexec_b32 s17, s16
	s_xor_b32 s16, exec_lo, s17
	s_cbranch_execz .LBB283_9
; %bb.8:                                ;   in Loop: Header=BB283_3 Depth=1
	v_mov_b32_e32 v3, v2
	v_mov_b32_e32 v4, v2
	;; [unrolled: 1-line block ×3, first 2 shown]
	ds_write_b128 v29, v[2:5]
.LBB283_9:                              ;   in Loop: Header=BB283_3 Depth=1
	s_andn2_saveexec_b32 s16, s16
	s_cbranch_execz .LBB283_2
; %bb.10:                               ;   in Loop: Header=BB283_3 Depth=1
	flat_load_dwordx4 v[32:35], v[22:23]
	s_waitcnt vmcnt(0) lgkmcnt(0)
	ds_write2_b64 v29, v[32:33], v[34:35] offset1:1
	s_branch .LBB283_2
.LBB283_11:
	v_mov_b32_e32 v18, 0
	v_mov_b32_e32 v20, 0
	;; [unrolled: 1-line block ×16, first 2 shown]
.LBB283_12:
	v_cmp_neq_f64_e64 s7, s[18:19], 0
	v_cmp_neq_f64_e64 s12, s[20:21], 0
	s_lshl_b64 s[0:1], s[2:3], 4
	v_add_co_u32 v1, s2, s22, v1
	v_add_co_ci_u32_e64 v2, null, s23, 0, s2
	s_waitcnt lgkmcnt(0)
	s_add_u32 s3, s10, s0
	s_addc_u32 s6, s11, s1
	v_cmp_gt_i64_e64 s0, s[38:39], v[1:2]
	s_or_b32 s1, s7, s12
	s_and_b32 vcc_lo, exec_lo, s1
	s_mov_b32 s1, -1
	s_cbranch_vccnz .LBB283_24
; %bb.13:
	s_and_saveexec_b32 s7, s0
	s_cbranch_execz .LBB283_23
; %bb.14:
	v_mul_lo_u32 v5, v2, s30
	v_mul_lo_u32 v22, v1, s31
	v_mad_u64_u32 v[3:4], null, v1, s30, 0
	v_add3_u32 v4, v4, v22, v5
	v_add_co_u32 v22, s1, s8, v0
	v_add_co_ci_u32_e64 v23, null, s9, 0, s1
	v_lshlrev_b64 v[24:25], 4, v[3:4]
	v_cmp_gt_i64_e32 vcc_lo, s[36:37], v[22:23]
	v_lshlrev_b64 v[3:4], 4, v[22:23]
	v_add_co_u32 v5, s1, s3, v24
	v_add_co_ci_u32_e64 v24, null, s6, v25, s1
	s_and_saveexec_b32 s2, vcc_lo
	s_cbranch_execz .LBB283_16
; %bb.15:
	v_mul_f64 v[25:26], s[44:45], v[20:21]
	v_mul_f64 v[27:28], s[42:43], v[20:21]
	v_add_co_u32 v29, s1, v5, v3
	v_add_co_ci_u32_e64 v30, null, v24, v4, s1
	v_fma_f64 v[25:26], s[42:43], v[18:19], -v[25:26]
	v_fma_f64 v[27:28], s[44:45], v[18:19], v[27:28]
	flat_store_dwordx4 v[29:30], v[25:28]
.LBB283_16:
	s_or_b32 exec_lo, exec_lo, s2
	v_add_co_u32 v22, s1, v22, 16
	v_add_co_ci_u32_e64 v23, null, 0, v23, s1
	v_cmp_gt_i64_e64 s1, s[36:37], v[22:23]
	s_and_saveexec_b32 s10, s1
	s_cbranch_execz .LBB283_18
; %bb.17:
	v_mul_f64 v[22:23], s[44:45], v[16:17]
	v_mul_f64 v[27:28], s[42:43], v[16:17]
	v_fma_f64 v[25:26], s[42:43], v[14:15], -v[22:23]
	v_fma_f64 v[27:28], s[44:45], v[14:15], v[27:28]
	v_add_co_u32 v22, s2, v5, v3
	v_add_co_ci_u32_e64 v23, null, v24, v4, s2
	flat_store_dwordx4 v[22:23], v[25:28] offset:256
.LBB283_18:
	s_or_b32 exec_lo, exec_lo, s10
	v_add_co_u32 v22, s2, v1, 16
	v_add_co_ci_u32_e64 v23, null, 0, v2, s2
	v_cmp_gt_i64_e64 s2, s[38:39], v[22:23]
	s_and_b32 exec_lo, exec_lo, s2
	s_cbranch_execz .LBB283_23
; %bb.19:
	s_lshl_b64 s[10:11], s[30:31], 8
	v_add_co_u32 v5, s2, v5, s10
	v_add_co_ci_u32_e64 v22, null, s11, v24, s2
	v_add_co_u32 v3, s2, v5, v3
	v_add_co_ci_u32_e64 v4, null, v22, v4, s2
	s_and_saveexec_b32 s2, vcc_lo
	s_cbranch_execz .LBB283_21
; %bb.20:
	v_mul_f64 v[22:23], s[44:45], v[12:13]
	v_mul_f64 v[24:25], s[42:43], v[12:13]
	v_fma_f64 v[22:23], s[42:43], v[10:11], -v[22:23]
	v_fma_f64 v[24:25], s[44:45], v[10:11], v[24:25]
	flat_store_dwordx4 v[3:4], v[22:25]
.LBB283_21:
	s_or_b32 exec_lo, exec_lo, s2
	s_and_b32 exec_lo, exec_lo, s1
	s_cbranch_execz .LBB283_23
; %bb.22:
	v_mul_f64 v[22:23], s[44:45], v[8:9]
	v_mul_f64 v[24:25], s[42:43], v[8:9]
	v_fma_f64 v[22:23], s[42:43], v[6:7], -v[22:23]
	v_fma_f64 v[24:25], s[44:45], v[6:7], v[24:25]
	flat_store_dwordx4 v[3:4], v[22:25] offset:256
.LBB283_23:
	s_or_b32 exec_lo, exec_lo, s7
	s_mov_b32 s1, 0
.LBB283_24:
	s_andn2_b32 vcc_lo, exec_lo, s1
	s_cbranch_vccnz .LBB283_35
; %bb.25:
	s_and_saveexec_b32 s1, s0
	s_cbranch_execz .LBB283_35
; %bb.26:
	v_mul_lo_u32 v5, v2, s24
	v_mul_lo_u32 v22, v1, s25
	v_mad_u64_u32 v[3:4], null, v1, s24, 0
	v_mul_lo_u32 v26, v2, s30
	v_mul_lo_u32 v27, v1, s31
	v_mad_u64_u32 v[24:25], null, v1, s30, 0
	s_lshl_b64 s[0:1], s[26:27], 4
	v_add3_u32 v4, v4, v22, v5
	v_add_co_u32 v22, s2, s8, v0
	v_add_co_ci_u32_e64 v23, null, s9, 0, s2
	v_add3_u32 v25, v25, v27, v26
	v_lshlrev_b64 v[3:4], 4, v[3:4]
	s_add_u32 s0, s4, s0
	s_addc_u32 s1, s5, s1
	v_cmp_gt_i64_e32 vcc_lo, s[36:37], v[22:23]
	v_lshlrev_b64 v[24:25], 4, v[24:25]
	v_add_co_u32 v0, s0, s0, v3
	v_add_co_ci_u32_e64 v5, null, s1, v4, s0
	v_add_co_u32 v24, s0, s3, v24
	v_lshlrev_b64 v[3:4], 4, v[22:23]
	v_add_co_ci_u32_e64 v25, null, s6, v25, s0
	s_and_saveexec_b32 s1, vcc_lo
	s_cbranch_execz .LBB283_28
; %bb.27:
	v_add_co_u32 v26, s0, v0, v3
	v_add_co_ci_u32_e64 v27, null, v5, v4, s0
	v_mul_f64 v[30:31], s[44:45], v[20:21]
	v_mul_f64 v[20:21], s[42:43], v[20:21]
	flat_load_dwordx4 v[26:29], v[26:27]
	v_fma_f64 v[30:31], s[42:43], v[18:19], -v[30:31]
	v_fma_f64 v[20:21], s[44:45], v[18:19], v[20:21]
	s_waitcnt vmcnt(0) lgkmcnt(0)
	v_mul_f64 v[32:33], s[20:21], v[28:29]
	v_mul_f64 v[28:29], s[18:19], v[28:29]
	v_fma_f64 v[18:19], s[18:19], v[26:27], -v[32:33]
	v_fma_f64 v[26:27], s[20:21], v[26:27], v[28:29]
	v_add_f64 v[18:19], v[30:31], v[18:19]
	v_add_f64 v[20:21], v[20:21], v[26:27]
	v_add_co_u32 v26, s0, v24, v3
	v_add_co_ci_u32_e64 v27, null, v25, v4, s0
	flat_store_dwordx4 v[26:27], v[18:21]
.LBB283_28:
	s_or_b32 exec_lo, exec_lo, s1
	v_add_co_u32 v18, s0, v22, 16
	v_add_co_ci_u32_e64 v19, null, 0, v23, s0
	v_cmp_gt_i64_e64 s0, s[36:37], v[18:19]
	s_and_saveexec_b32 s2, s0
	s_cbranch_execz .LBB283_30
; %bb.29:
	v_add_co_u32 v18, s1, v0, v3
	v_add_co_ci_u32_e64 v19, null, v5, v4, s1
	v_mul_f64 v[22:23], s[44:45], v[16:17]
	v_mul_f64 v[16:17], s[42:43], v[16:17]
	flat_load_dwordx4 v[18:21], v[18:19] offset:256
	v_fma_f64 v[22:23], s[42:43], v[14:15], -v[22:23]
	v_fma_f64 v[16:17], s[44:45], v[14:15], v[16:17]
	s_waitcnt vmcnt(0) lgkmcnt(0)
	v_mul_f64 v[26:27], s[20:21], v[20:21]
	v_mul_f64 v[20:21], s[18:19], v[20:21]
	v_fma_f64 v[14:15], s[18:19], v[18:19], -v[26:27]
	v_fma_f64 v[18:19], s[20:21], v[18:19], v[20:21]
	v_add_f64 v[14:15], v[22:23], v[14:15]
	v_add_f64 v[16:17], v[16:17], v[18:19]
	v_add_co_u32 v18, s1, v24, v3
	v_add_co_ci_u32_e64 v19, null, v25, v4, s1
	flat_store_dwordx4 v[18:19], v[14:17] offset:256
.LBB283_30:
	s_or_b32 exec_lo, exec_lo, s2
	v_add_co_u32 v1, s1, v1, 16
	v_add_co_ci_u32_e64 v2, null, 0, v2, s1
	v_cmp_gt_i64_e64 s1, s[38:39], v[1:2]
	s_and_b32 exec_lo, exec_lo, s1
	s_cbranch_execz .LBB283_35
; %bb.31:
	s_lshl_b64 s[2:3], s[24:25], 8
	v_add_co_u32 v0, s1, v0, s2
	v_add_co_ci_u32_e64 v1, null, s3, v5, s1
	s_lshl_b64 s[2:3], s[30:31], 8
	v_add_co_u32 v2, s1, v24, s2
	v_add_co_ci_u32_e64 v5, null, s3, v25, s1
	v_add_co_u32 v14, s1, v0, v3
	v_add_co_ci_u32_e64 v15, null, v1, v4, s1
	;; [unrolled: 2-line block ×3, first 2 shown]
	s_and_saveexec_b32 s1, vcc_lo
	s_cbranch_execz .LBB283_33
; %bb.32:
	flat_load_dwordx4 v[2:5], v[14:15]
	v_mul_f64 v[16:17], s[44:45], v[12:13]
	v_mul_f64 v[12:13], s[42:43], v[12:13]
	v_fma_f64 v[16:17], s[42:43], v[10:11], -v[16:17]
	v_fma_f64 v[10:11], s[44:45], v[10:11], v[12:13]
	s_waitcnt vmcnt(0) lgkmcnt(0)
	v_mul_f64 v[18:19], s[20:21], v[4:5]
	v_mul_f64 v[4:5], s[18:19], v[4:5]
	v_fma_f64 v[12:13], s[18:19], v[2:3], -v[18:19]
	v_fma_f64 v[4:5], s[20:21], v[2:3], v[4:5]
	v_add_f64 v[2:3], v[16:17], v[12:13]
	v_add_f64 v[4:5], v[10:11], v[4:5]
	flat_store_dwordx4 v[0:1], v[2:5]
.LBB283_33:
	s_or_b32 exec_lo, exec_lo, s1
	s_and_b32 exec_lo, exec_lo, s0
	s_cbranch_execz .LBB283_35
; %bb.34:
	flat_load_dwordx4 v[2:5], v[14:15] offset:256
	v_mul_f64 v[10:11], s[44:45], v[8:9]
	v_mul_f64 v[8:9], s[42:43], v[8:9]
	v_fma_f64 v[10:11], s[42:43], v[6:7], -v[10:11]
	v_fma_f64 v[6:7], s[44:45], v[6:7], v[8:9]
	s_waitcnt vmcnt(0) lgkmcnt(0)
	v_mul_f64 v[12:13], s[20:21], v[4:5]
	v_mul_f64 v[4:5], s[18:19], v[4:5]
	v_fma_f64 v[8:9], s[18:19], v[2:3], -v[12:13]
	v_fma_f64 v[4:5], s[20:21], v[2:3], v[4:5]
	v_add_f64 v[2:3], v[10:11], v[8:9]
	v_add_f64 v[4:5], v[6:7], v[4:5]
	flat_store_dwordx4 v[0:1], v[2:5] offset:256
.LBB283_35:
	s_endpgm
	.section	.rodata,"a",@progbits
	.p2align	6, 0x0
	.amdhsa_kernel _ZN12_GLOBAL__N_135rocblas_gemm_batched_general_kernelI19rocblas_complex_numIdELi16ELi16ELi32ELi32ELi8ELi32ELi8ELi8ELi32ELc78ELc84EKPKS2_S5_KPS2_EEvlllT_PT11_llSA_llS8_PT12_llPT13_lli
		.amdhsa_group_segment_fixed_size 8192
		.amdhsa_private_segment_fixed_size 0
		.amdhsa_kernarg_size 156
		.amdhsa_user_sgpr_count 6
		.amdhsa_user_sgpr_private_segment_buffer 1
		.amdhsa_user_sgpr_dispatch_ptr 0
		.amdhsa_user_sgpr_queue_ptr 0
		.amdhsa_user_sgpr_kernarg_segment_ptr 1
		.amdhsa_user_sgpr_dispatch_id 0
		.amdhsa_user_sgpr_flat_scratch_init 0
		.amdhsa_user_sgpr_private_segment_size 0
		.amdhsa_wavefront_size32 1
		.amdhsa_uses_dynamic_stack 0
		.amdhsa_system_sgpr_private_segment_wavefront_offset 0
		.amdhsa_system_sgpr_workgroup_id_x 1
		.amdhsa_system_sgpr_workgroup_id_y 1
		.amdhsa_system_sgpr_workgroup_id_z 1
		.amdhsa_system_sgpr_workgroup_info 0
		.amdhsa_system_vgpr_workitem_id 1
		.amdhsa_next_free_vgpr 128
		.amdhsa_next_free_sgpr 52
		.amdhsa_reserve_vcc 1
		.amdhsa_reserve_flat_scratch 0
		.amdhsa_float_round_mode_32 0
		.amdhsa_float_round_mode_16_64 0
		.amdhsa_float_denorm_mode_32 3
		.amdhsa_float_denorm_mode_16_64 3
		.amdhsa_dx10_clamp 1
		.amdhsa_ieee_mode 1
		.amdhsa_fp16_overflow 0
		.amdhsa_workgroup_processor_mode 1
		.amdhsa_memory_ordered 1
		.amdhsa_forward_progress 1
		.amdhsa_shared_vgpr_count 0
		.amdhsa_exception_fp_ieee_invalid_op 0
		.amdhsa_exception_fp_denorm_src 0
		.amdhsa_exception_fp_ieee_div_zero 0
		.amdhsa_exception_fp_ieee_overflow 0
		.amdhsa_exception_fp_ieee_underflow 0
		.amdhsa_exception_fp_ieee_inexact 0
		.amdhsa_exception_int_div_zero 0
	.end_amdhsa_kernel
	.section	.text._ZN12_GLOBAL__N_135rocblas_gemm_batched_general_kernelI19rocblas_complex_numIdELi16ELi16ELi32ELi32ELi8ELi32ELi8ELi8ELi32ELc78ELc84EKPKS2_S5_KPS2_EEvlllT_PT11_llSA_llS8_PT12_llPT13_lli,"axG",@progbits,_ZN12_GLOBAL__N_135rocblas_gemm_batched_general_kernelI19rocblas_complex_numIdELi16ELi16ELi32ELi32ELi8ELi32ELi8ELi8ELi32ELc78ELc84EKPKS2_S5_KPS2_EEvlllT_PT11_llSA_llS8_PT12_llPT13_lli,comdat
.Lfunc_end283:
	.size	_ZN12_GLOBAL__N_135rocblas_gemm_batched_general_kernelI19rocblas_complex_numIdELi16ELi16ELi32ELi32ELi8ELi32ELi8ELi8ELi32ELc78ELc84EKPKS2_S5_KPS2_EEvlllT_PT11_llSA_llS8_PT12_llPT13_lli, .Lfunc_end283-_ZN12_GLOBAL__N_135rocblas_gemm_batched_general_kernelI19rocblas_complex_numIdELi16ELi16ELi32ELi32ELi8ELi32ELi8ELi8ELi32ELc78ELc84EKPKS2_S5_KPS2_EEvlllT_PT11_llSA_llS8_PT12_llPT13_lli
                                        ; -- End function
	.set _ZN12_GLOBAL__N_135rocblas_gemm_batched_general_kernelI19rocblas_complex_numIdELi16ELi16ELi32ELi32ELi8ELi32ELi8ELi8ELi32ELc78ELc84EKPKS2_S5_KPS2_EEvlllT_PT11_llSA_llS8_PT12_llPT13_lli.num_vgpr, 128
	.set _ZN12_GLOBAL__N_135rocblas_gemm_batched_general_kernelI19rocblas_complex_numIdELi16ELi16ELi32ELi32ELi8ELi32ELi8ELi8ELi32ELc78ELc84EKPKS2_S5_KPS2_EEvlllT_PT11_llSA_llS8_PT12_llPT13_lli.num_agpr, 0
	.set _ZN12_GLOBAL__N_135rocblas_gemm_batched_general_kernelI19rocblas_complex_numIdELi16ELi16ELi32ELi32ELi8ELi32ELi8ELi8ELi32ELc78ELc84EKPKS2_S5_KPS2_EEvlllT_PT11_llSA_llS8_PT12_llPT13_lli.numbered_sgpr, 52
	.set _ZN12_GLOBAL__N_135rocblas_gemm_batched_general_kernelI19rocblas_complex_numIdELi16ELi16ELi32ELi32ELi8ELi32ELi8ELi8ELi32ELc78ELc84EKPKS2_S5_KPS2_EEvlllT_PT11_llSA_llS8_PT12_llPT13_lli.num_named_barrier, 0
	.set _ZN12_GLOBAL__N_135rocblas_gemm_batched_general_kernelI19rocblas_complex_numIdELi16ELi16ELi32ELi32ELi8ELi32ELi8ELi8ELi32ELc78ELc84EKPKS2_S5_KPS2_EEvlllT_PT11_llSA_llS8_PT12_llPT13_lli.private_seg_size, 0
	.set _ZN12_GLOBAL__N_135rocblas_gemm_batched_general_kernelI19rocblas_complex_numIdELi16ELi16ELi32ELi32ELi8ELi32ELi8ELi8ELi32ELc78ELc84EKPKS2_S5_KPS2_EEvlllT_PT11_llSA_llS8_PT12_llPT13_lli.uses_vcc, 1
	.set _ZN12_GLOBAL__N_135rocblas_gemm_batched_general_kernelI19rocblas_complex_numIdELi16ELi16ELi32ELi32ELi8ELi32ELi8ELi8ELi32ELc78ELc84EKPKS2_S5_KPS2_EEvlllT_PT11_llSA_llS8_PT12_llPT13_lli.uses_flat_scratch, 0
	.set _ZN12_GLOBAL__N_135rocblas_gemm_batched_general_kernelI19rocblas_complex_numIdELi16ELi16ELi32ELi32ELi8ELi32ELi8ELi8ELi32ELc78ELc84EKPKS2_S5_KPS2_EEvlllT_PT11_llSA_llS8_PT12_llPT13_lli.has_dyn_sized_stack, 0
	.set _ZN12_GLOBAL__N_135rocblas_gemm_batched_general_kernelI19rocblas_complex_numIdELi16ELi16ELi32ELi32ELi8ELi32ELi8ELi8ELi32ELc78ELc84EKPKS2_S5_KPS2_EEvlllT_PT11_llSA_llS8_PT12_llPT13_lli.has_recursion, 0
	.set _ZN12_GLOBAL__N_135rocblas_gemm_batched_general_kernelI19rocblas_complex_numIdELi16ELi16ELi32ELi32ELi8ELi32ELi8ELi8ELi32ELc78ELc84EKPKS2_S5_KPS2_EEvlllT_PT11_llSA_llS8_PT12_llPT13_lli.has_indirect_call, 0
	.section	.AMDGPU.csdata,"",@progbits
; Kernel info:
; codeLenInByte = 4048
; TotalNumSgprs: 54
; NumVgprs: 128
; ScratchSize: 0
; MemoryBound: 0
; FloatMode: 240
; IeeeMode: 1
; LDSByteSize: 8192 bytes/workgroup (compile time only)
; SGPRBlocks: 0
; VGPRBlocks: 15
; NumSGPRsForWavesPerEU: 54
; NumVGPRsForWavesPerEU: 128
; Occupancy: 8
; WaveLimiterHint : 1
; COMPUTE_PGM_RSRC2:SCRATCH_EN: 0
; COMPUTE_PGM_RSRC2:USER_SGPR: 6
; COMPUTE_PGM_RSRC2:TRAP_HANDLER: 0
; COMPUTE_PGM_RSRC2:TGID_X_EN: 1
; COMPUTE_PGM_RSRC2:TGID_Y_EN: 1
; COMPUTE_PGM_RSRC2:TGID_Z_EN: 1
; COMPUTE_PGM_RSRC2:TIDIG_COMP_CNT: 1
	.section	.text._ZN12_GLOBAL__N_135rocblas_gemm_batched_general_kernelI19rocblas_complex_numIdELi16ELi16ELi32ELi32ELi8ELi32ELi8ELi8ELi32ELc84ELc84EKPKS2_S5_KPS2_EEvlllT_PT11_llSA_llS8_PT12_llPT13_lli,"axG",@progbits,_ZN12_GLOBAL__N_135rocblas_gemm_batched_general_kernelI19rocblas_complex_numIdELi16ELi16ELi32ELi32ELi8ELi32ELi8ELi8ELi32ELc84ELc84EKPKS2_S5_KPS2_EEvlllT_PT11_llSA_llS8_PT12_llPT13_lli,comdat
	.globl	_ZN12_GLOBAL__N_135rocblas_gemm_batched_general_kernelI19rocblas_complex_numIdELi16ELi16ELi32ELi32ELi8ELi32ELi8ELi8ELi32ELc84ELc84EKPKS2_S5_KPS2_EEvlllT_PT11_llSA_llS8_PT12_llPT13_lli ; -- Begin function _ZN12_GLOBAL__N_135rocblas_gemm_batched_general_kernelI19rocblas_complex_numIdELi16ELi16ELi32ELi32ELi8ELi32ELi8ELi8ELi32ELc84ELc84EKPKS2_S5_KPS2_EEvlllT_PT11_llSA_llS8_PT12_llPT13_lli
	.p2align	8
	.type	_ZN12_GLOBAL__N_135rocblas_gemm_batched_general_kernelI19rocblas_complex_numIdELi16ELi16ELi32ELi32ELi8ELi32ELi8ELi8ELi32ELc84ELc84EKPKS2_S5_KPS2_EEvlllT_PT11_llSA_llS8_PT12_llPT13_lli,@function
_ZN12_GLOBAL__N_135rocblas_gemm_batched_general_kernelI19rocblas_complex_numIdELi16ELi16ELi32ELi32ELi8ELi32ELi8ELi8ELi32ELc84ELc84EKPKS2_S5_KPS2_EEvlllT_PT11_llSA_llS8_PT12_llPT13_lli: ; @_ZN12_GLOBAL__N_135rocblas_gemm_batched_general_kernelI19rocblas_complex_numIdELi16ELi16ELi32ELi32ELi8ELi32ELi8ELi8ELi32ELc84ELc84EKPKS2_S5_KPS2_EEvlllT_PT11_llSA_llS8_PT12_llPT13_lli
; %bb.0:
	s_clause 0x2
	s_load_dwordx16 s[12:27], s[4:5], 0x40
	s_load_dwordx4 s[28:31], s[4:5], 0x80
	s_load_dwordx16 s[36:51], s[4:5], 0x0
	s_mov_b32 s9, 0
	s_load_dwordx2 s[2:3], s[4:5], 0x90
	s_lshl_b64 s[0:1], s[8:9], 3
	s_mov_b32 s34, s7
	v_mov_b32_e32 v2, 0
	s_waitcnt lgkmcnt(0)
	s_add_u32 s4, s22, s0
	s_addc_u32 s5, s23, s1
	s_add_u32 s8, s28, s0
	s_addc_u32 s9, s29, s1
	s_load_dwordx2 s[4:5], s[4:5], 0x0
	s_load_dwordx2 s[8:9], s[8:9], 0x0
	v_cmp_lt_i64_e64 s10, s[40:41], 1
	s_ashr_i32 s7, s6, 31
	s_ashr_i32 s35, s34, 31
	s_lshl_b64 s[6:7], s[6:7], 5
	s_and_b32 vcc_lo, exec_lo, s10
	s_lshl_b64 s[10:11], s[34:35], 5
	s_cbranch_vccnz .LBB284_11
; %bb.1:
	v_lshl_add_u32 v5, v1, 4, v0
	v_and_b32_e32 v26, 7, v0
	s_add_u32 s12, s12, s0
	s_addc_u32 s13, s13, s1
	s_add_u32 s0, s46, s0
	v_lshrrev_b32_e32 v11, 3, v5
	v_mad_u64_u32 v[3:4], null, s14, v26, 0
	v_lshrrev_b32_e32 v27, 5, v5
	v_and_b32_e32 v12, 31, v5
	v_add_co_u32 v5, s22, v11, s10
	v_lshlrev_b32_e32 v9, 4, v26
	v_add_co_ci_u32_e64 v6, null, 0, s11, s22
	s_addc_u32 s1, s47, s1
	s_load_dwordx2 s[12:13], s[12:13], 0x0
	v_lshl_or_b32 v14, v11, 7, v9
	v_mad_u64_u32 v[9:10], null, s15, v26, v[4:5]
	s_load_dwordx2 s[22:23], s[0:1], 0x0
	v_cmp_gt_i64_e64 s0, s[38:39], v[5:6]
	v_add_co_u32 v5, s1, s6, v12
	v_or_b32_e32 v7, s6, v12
	v_mov_b32_e32 v8, s7
	v_mov_b32_e32 v4, v9
	v_add_co_ci_u32_e64 v6, null, s7, 0, s1
	s_lshl_b64 s[28:29], s[34:35], 9
	v_cmp_gt_i64_e32 vcc_lo, s[36:37], v[7:8]
	v_lshlrev_b64 v[3:4], 4, v[3:4]
	v_mul_lo_u32 v7, s49, v5
	v_mul_lo_u32 v8, s48, v6
	v_mad_u64_u32 v[5:6], null, s48, v5, 0
	s_lshl_b64 s[16:17], s[16:17], 4
	v_lshlrev_b32_e32 v9, 4, v11
	s_add_u32 s1, s16, s28
	s_addc_u32 s16, s17, s29
	v_add_co_u32 v3, s1, s1, v3
	v_add_co_ci_u32_e64 v4, null, s16, v4, s1
	v_add3_u32 v6, v6, v8, v7
	v_add_co_u32 v7, s1, v3, v9
	v_add_co_ci_u32_e64 v8, null, 0, v4, s1
	v_lshlrev_b64 v[3:4], 4, v[5:6]
	s_waitcnt lgkmcnt(0)
	v_add_co_u32 v22, s1, s12, v7
	v_add_co_ci_u32_e64 v23, null, s13, v8, s1
	s_lshl_b64 s[12:13], s[50:51], 4
	v_lshlrev_b32_e32 v5, 4, v27
	v_add_co_u32 v3, s1, v3, s12
	v_add_co_ci_u32_e64 v4, null, s13, v4, s1
	v_lshlrev_b32_e32 v13, 4, v12
	v_add_co_u32 v3, s1, v3, v5
	v_add_co_ci_u32_e64 v4, null, 0, v4, s1
	v_lshl_or_b32 v28, v27, 9, v13
	v_add_co_u32 v24, s1, s22, v3
	v_add_nc_u32_e32 v29, 0x1000, v14
	v_mov_b32_e32 v8, 0
	v_mov_b32_e32 v6, 0
	;; [unrolled: 1-line block ×8, first 2 shown]
	v_lshlrev_b32_e32 v30, 4, v0
	v_lshl_add_u32 v31, v1, 7, 0x1000
	v_mov_b32_e32 v9, 0
	v_mov_b32_e32 v7, 0
	;; [unrolled: 1-line block ×8, first 2 shown]
	v_add_co_ci_u32_e64 v25, null, s23, v4, s1
	s_lshl_b64 s[12:13], s[14:15], 7
	s_mov_b64 s[14:15], 0
	s_xor_b32 s1, vcc_lo, -1
	s_xor_b32 s0, s0, -1
	s_branch .LBB284_3
.LBB284_2:                              ;   in Loop: Header=BB284_3 Depth=1
	s_or_b32 exec_lo, exec_lo, s16
	s_waitcnt lgkmcnt(0)
	s_barrier
	buffer_gl0_inv
	ds_read_b128 v[32:35], v31
	ds_read_b128 v[36:39], v30
	ds_read_b128 v[40:43], v30 offset:256
	ds_read_b128 v[44:47], v31 offset:2048
	;; [unrolled: 1-line block ×12, first 2 shown]
	s_add_u32 s14, s14, 8
	s_addc_u32 s15, s15, 0
	v_add_co_u32 v22, vcc_lo, v22, s12
	v_cmp_lt_i64_e64 s16, s[14:15], s[40:41]
	v_add_co_ci_u32_e64 v23, null, s13, v23, vcc_lo
	s_waitcnt lgkmcnt(12)
	v_mul_f64 v[3:4], v[34:35], v[38:39]
	v_mul_f64 v[88:89], v[32:33], v[38:39]
	s_waitcnt lgkmcnt(11)
	v_mul_f64 v[90:91], v[34:35], v[42:43]
	v_mul_f64 v[92:93], v[32:33], v[42:43]
	;; [unrolled: 3-line block ×3, first 2 shown]
	v_mul_f64 v[96:97], v[46:47], v[42:43]
	v_mul_f64 v[42:43], v[44:45], v[42:43]
	s_waitcnt lgkmcnt(8)
	v_mul_f64 v[98:99], v[50:51], v[54:55]
	v_mul_f64 v[100:101], v[48:49], v[54:55]
	s_waitcnt lgkmcnt(7)
	;; [unrolled: 3-line block ×3, first 2 shown]
	v_mul_f64 v[106:107], v[62:63], v[54:55]
	v_mul_f64 v[54:55], v[60:61], v[54:55]
	;; [unrolled: 1-line block ×4, first 2 shown]
	s_waitcnt lgkmcnt(4)
	v_mul_f64 v[110:111], v[66:67], v[70:71]
	v_mul_f64 v[112:113], v[64:65], v[70:71]
	s_waitcnt lgkmcnt(3)
	v_mul_f64 v[114:115], v[66:67], v[74:75]
	v_mul_f64 v[116:117], v[64:65], v[74:75]
	s_waitcnt lgkmcnt(2)
	v_mul_f64 v[118:119], v[78:79], v[70:71]
	v_mul_f64 v[70:71], v[76:77], v[70:71]
	v_fma_f64 v[3:4], v[32:33], v[36:37], -v[3:4]
	v_fma_f64 v[88:89], v[34:35], v[36:37], v[88:89]
	v_fma_f64 v[90:91], v[32:33], v[40:41], -v[90:91]
	v_fma_f64 v[92:93], v[34:35], v[40:41], v[92:93]
	;; [unrolled: 2-line block ×4, first 2 shown]
	v_mul_f64 v[124:125], v[78:79], v[74:75]
	v_mul_f64 v[74:75], v[76:77], v[74:75]
	ds_read_b128 v[32:35], v30 offset:1536
	ds_read_b128 v[36:39], v30 offset:1792
	v_fma_f64 v[98:99], v[48:49], v[52:53], -v[98:99]
	v_fma_f64 v[100:101], v[50:51], v[52:53], v[100:101]
	v_fma_f64 v[102:103], v[48:49], v[56:57], -v[102:103]
	v_fma_f64 v[104:105], v[50:51], v[56:57], v[104:105]
	v_fma_f64 v[106:107], v[60:61], v[52:53], -v[106:107]
	v_fma_f64 v[126:127], v[62:63], v[52:53], v[54:55]
	v_fma_f64 v[60:61], v[60:61], v[56:57], -v[108:109]
	v_fma_f64 v[56:57], v[62:63], v[56:57], v[58:59]
	v_fma_f64 v[58:59], v[64:65], v[68:69], -v[110:111]
	v_fma_f64 v[62:63], v[66:67], v[68:69], v[112:113]
	v_fma_f64 v[64:65], v[64:65], v[72:73], -v[114:115]
	v_fma_f64 v[66:67], v[66:67], v[72:73], v[116:117]
	v_fma_f64 v[108:109], v[76:77], v[68:69], -v[118:119]
	v_fma_f64 v[68:69], v[78:79], v[68:69], v[70:71]
	v_add_f64 v[18:19], v[18:19], v[3:4]
	v_add_f64 v[20:21], v[88:89], v[20:21]
	;; [unrolled: 1-line block ×4, first 2 shown]
	s_waitcnt lgkmcnt(1)
	v_mul_f64 v[110:111], v[82:83], v[34:35]
	v_mul_f64 v[112:113], v[80:81], v[34:35]
	s_waitcnt lgkmcnt(0)
	v_mul_f64 v[70:71], v[82:83], v[38:39]
	v_mul_f64 v[114:115], v[80:81], v[38:39]
	v_fma_f64 v[76:77], v[76:77], v[72:73], -v[124:125]
	v_fma_f64 v[72:73], v[78:79], v[72:73], v[74:75]
	v_add_f64 v[74:75], v[10:11], v[94:95]
	v_add_f64 v[11:12], v[120:121], v[12:13]
	;; [unrolled: 1-line block ×4, first 2 shown]
	ds_read_b128 v[40:43], v31 offset:64
	ds_read_b128 v[44:47], v30 offset:2048
	;; [unrolled: 1-line block ×4, first 2 shown]
	v_mul_f64 v[116:117], v[86:87], v[34:35]
	v_mul_f64 v[34:35], v[84:85], v[34:35]
	;; [unrolled: 1-line block ×4, first 2 shown]
	ds_read_b128 v[48:51], v30 offset:2304
	v_add_f64 v[98:99], v[18:19], v[98:99]
	v_add_f64 v[19:20], v[100:101], v[20:21]
	;; [unrolled: 1-line block ×4, first 2 shown]
	v_fma_f64 v[92:93], v[80:81], v[32:33], -v[110:111]
	v_fma_f64 v[94:95], v[82:83], v[32:33], v[112:113]
	v_fma_f64 v[70:71], v[80:81], v[36:37], -v[70:71]
	v_fma_f64 v[82:83], v[82:83], v[36:37], v[114:115]
	ds_read_b128 v[3:6], v31 offset:80
	ds_read_b128 v[15:18], v30 offset:2816
	v_add_f64 v[74:75], v[74:75], v[106:107]
	v_add_f64 v[104:105], v[126:127], v[11:12]
	s_waitcnt lgkmcnt(5)
	v_mul_f64 v[80:81], v[42:43], v[46:47]
	v_mul_f64 v[96:97], v[40:41], v[46:47]
	s_waitcnt lgkmcnt(4)
	v_mul_f64 v[114:115], v[54:55], v[46:47]
	v_mul_f64 v[46:47], v[52:53], v[46:47]
	v_add_f64 v[60:61], v[78:79], v[60:61]
	v_add_f64 v[56:57], v[56:57], v[88:89]
	v_fma_f64 v[78:79], v[84:85], v[32:33], -v[116:117]
	v_fma_f64 v[88:89], v[86:87], v[32:33], v[34:35]
	ds_read_b128 v[11:14], v30 offset:2560
	s_waitcnt lgkmcnt(3)
	v_mul_f64 v[110:111], v[42:43], v[50:51]
	v_mul_f64 v[112:113], v[40:41], v[50:51]
	v_fma_f64 v[84:85], v[84:85], v[36:37], -v[90:91]
	v_fma_f64 v[86:87], v[86:87], v[36:37], v[38:39]
	v_mul_f64 v[36:37], v[54:55], v[50:51]
	v_mul_f64 v[38:39], v[52:53], v[50:51]
	v_add_co_u32 v24, vcc_lo, 0x80, v24
	v_add_co_ci_u32_e64 v25, null, 0, v25, vcc_lo
	s_and_b32 vcc_lo, exec_lo, s16
	v_add_f64 v[68:69], v[68:69], v[104:105]
	v_fma_f64 v[80:81], v[40:41], v[44:45], -v[80:81]
	v_fma_f64 v[90:91], v[42:43], v[44:45], v[96:97]
	v_fma_f64 v[50:51], v[52:53], v[44:45], -v[114:115]
	v_fma_f64 v[44:45], v[54:55], v[44:45], v[46:47]
	v_add_f64 v[46:47], v[98:99], v[58:59]
	v_add_f64 v[58:59], v[62:63], v[19:20]
	;; [unrolled: 1-line block ×7, first 2 shown]
	v_fma_f64 v[96:97], v[40:41], v[48:49], -v[110:111]
	v_fma_f64 v[106:107], v[42:43], v[48:49], v[112:113]
	s_waitcnt lgkmcnt(0)
	v_mul_f64 v[72:73], v[5:6], v[13:14]
	v_mul_f64 v[74:75], v[3:4], v[13:14]
	;; [unrolled: 1-line block ×8, first 2 shown]
	v_fma_f64 v[52:53], v[52:53], v[48:49], -v[36:37]
	v_fma_f64 v[48:49], v[54:55], v[48:49], v[38:39]
	ds_read_b128 v[17:20], v31 offset:96
	ds_read_b128 v[32:35], v30 offset:3072
	;; [unrolled: 1-line block ×4, first 2 shown]
	v_add_f64 v[46:47], v[46:47], v[92:93]
	v_add_f64 v[54:55], v[94:95], v[58:59]
	;; [unrolled: 1-line block ×8, first 2 shown]
	v_fma_f64 v[68:69], v[3:4], v[11:12], -v[72:73]
	v_fma_f64 v[70:71], v[5:6], v[11:12], v[74:75]
	v_fma_f64 v[72:73], v[3:4], v[15:16], -v[76:77]
	v_fma_f64 v[74:75], v[5:6], v[15:16], v[98:99]
	;; [unrolled: 2-line block ×4, first 2 shown]
	s_waitcnt lgkmcnt(2)
	v_mul_f64 v[84:85], v[19:20], v[34:35]
	v_mul_f64 v[86:87], v[17:18], v[34:35]
	s_waitcnt lgkmcnt(1)
	v_mul_f64 v[88:89], v[19:20], v[38:39]
	v_mul_f64 v[92:93], v[17:18], v[38:39]
	;; [unrolled: 3-line block ×3, first 2 shown]
	v_add_f64 v[80:81], v[46:47], v[80:81]
	v_add_f64 v[54:55], v[90:91], v[54:55]
	;; [unrolled: 1-line block ×8, first 2 shown]
	v_mul_f64 v[56:57], v[42:43], v[38:39]
	v_mul_f64 v[38:39], v[40:41], v[38:39]
	ds_read_b128 v[3:6], v31 offset:112
	ds_read_b128 v[7:10], v31 offset:2160
	;; [unrolled: 1-line block ×4, first 2 shown]
	s_waitcnt lgkmcnt(0)
	s_barrier
	buffer_gl0_inv
	v_fma_f64 v[60:61], v[17:18], v[32:33], -v[84:85]
	v_fma_f64 v[66:67], v[19:20], v[32:33], v[86:87]
	v_fma_f64 v[17:18], v[17:18], v[36:37], -v[88:89]
	v_fma_f64 v[19:20], v[19:20], v[36:37], v[92:93]
	;; [unrolled: 2-line block ×3, first 2 shown]
	v_add_f64 v[34:35], v[80:81], v[68:69]
	v_add_f64 v[54:55], v[70:71], v[54:55]
	;; [unrolled: 1-line block ×8, first 2 shown]
	v_fma_f64 v[40:41], v[40:41], v[36:37], -v[56:57]
	v_fma_f64 v[36:37], v[42:43], v[36:37], v[38:39]
	v_mul_f64 v[38:39], v[5:6], v[13:14]
	v_mul_f64 v[42:43], v[3:4], v[13:14]
	;; [unrolled: 1-line block ×8, first 2 shown]
	v_add_f64 v[34:35], v[34:35], v[60:61]
	v_add_f64 v[54:55], v[66:67], v[54:55]
	;; [unrolled: 1-line block ×8, first 2 shown]
	v_fma_f64 v[15:16], v[3:4], v[11:12], -v[38:39]
	v_fma_f64 v[20:21], v[5:6], v[11:12], v[42:43]
	v_fma_f64 v[3:4], v[3:4], v[44:45], -v[48:49]
	v_fma_f64 v[5:6], v[5:6], v[44:45], v[56:57]
	;; [unrolled: 2-line block ×4, first 2 shown]
	v_add_f64 v[18:19], v[34:35], v[15:16]
	v_add_f64 v[20:21], v[20:21], v[54:55]
	;; [unrolled: 1-line block ×8, first 2 shown]
	s_cbranch_vccz .LBB284_12
.LBB284_3:                              ; =>This Inner Loop Header: Depth=1
	v_add_co_u32 v3, s16, v27, s14
	v_add_co_ci_u32_e64 v4, null, 0, s15, s16
	v_cmp_le_i64_e32 vcc_lo, s[40:41], v[3:4]
	s_or_b32 s16, s1, vcc_lo
	s_and_saveexec_b32 s17, s16
	s_xor_b32 s16, exec_lo, s17
	s_cbranch_execz .LBB284_5
; %bb.4:                                ;   in Loop: Header=BB284_3 Depth=1
	v_mov_b32_e32 v3, v2
	v_mov_b32_e32 v4, v2
	;; [unrolled: 1-line block ×3, first 2 shown]
	ds_write_b128 v28, v[2:5]
.LBB284_5:                              ;   in Loop: Header=BB284_3 Depth=1
	s_andn2_saveexec_b32 s16, s16
	s_cbranch_execz .LBB284_7
; %bb.6:                                ;   in Loop: Header=BB284_3 Depth=1
	flat_load_dwordx4 v[32:35], v[24:25]
	s_waitcnt vmcnt(0) lgkmcnt(0)
	ds_write2_b64 v28, v[32:33], v[34:35] offset1:1
.LBB284_7:                              ;   in Loop: Header=BB284_3 Depth=1
	s_or_b32 exec_lo, exec_lo, s16
	v_add_co_u32 v3, s16, v26, s14
	v_add_co_ci_u32_e64 v4, null, 0, s15, s16
	v_cmp_le_i64_e32 vcc_lo, s[40:41], v[3:4]
	s_or_b32 s16, vcc_lo, s0
	s_and_saveexec_b32 s17, s16
	s_xor_b32 s16, exec_lo, s17
	s_cbranch_execz .LBB284_9
; %bb.8:                                ;   in Loop: Header=BB284_3 Depth=1
	v_mov_b32_e32 v3, v2
	v_mov_b32_e32 v4, v2
	;; [unrolled: 1-line block ×3, first 2 shown]
	ds_write_b128 v29, v[2:5]
.LBB284_9:                              ;   in Loop: Header=BB284_3 Depth=1
	s_andn2_saveexec_b32 s16, s16
	s_cbranch_execz .LBB284_2
; %bb.10:                               ;   in Loop: Header=BB284_3 Depth=1
	flat_load_dwordx4 v[32:35], v[22:23]
	s_waitcnt vmcnt(0) lgkmcnt(0)
	ds_write2_b64 v29, v[32:33], v[34:35] offset1:1
	s_branch .LBB284_2
.LBB284_11:
	v_mov_b32_e32 v18, 0
	v_mov_b32_e32 v20, 0
	v_mov_b32_e32 v14, 0
	v_mov_b32_e32 v16, 0
	v_mov_b32_e32 v10, 0
	v_mov_b32_e32 v12, 0
	v_mov_b32_e32 v6, 0
	v_mov_b32_e32 v8, 0
	v_mov_b32_e32 v19, 0
	v_mov_b32_e32 v21, 0
	v_mov_b32_e32 v15, 0
	v_mov_b32_e32 v17, 0
	v_mov_b32_e32 v11, 0
	v_mov_b32_e32 v13, 0
	v_mov_b32_e32 v7, 0
	v_mov_b32_e32 v9, 0
.LBB284_12:
	v_cmp_neq_f64_e64 s12, s[18:19], 0
	v_cmp_neq_f64_e64 s13, s[20:21], 0
	s_lshl_b64 s[0:1], s[2:3], 4
	v_add_co_u32 v1, s2, s10, v1
	v_add_co_ci_u32_e64 v2, null, s11, 0, s2
	s_waitcnt lgkmcnt(0)
	s_add_u32 s3, s8, s0
	s_addc_u32 s8, s9, s1
	v_cmp_gt_i64_e64 s0, s[38:39], v[1:2]
	s_or_b32 s1, s12, s13
	s_and_b32 vcc_lo, exec_lo, s1
	s_mov_b32 s1, -1
	s_cbranch_vccnz .LBB284_24
; %bb.13:
	s_and_saveexec_b32 s9, s0
	s_cbranch_execz .LBB284_23
; %bb.14:
	v_mul_lo_u32 v5, v2, s30
	v_mul_lo_u32 v22, v1, s31
	v_mad_u64_u32 v[3:4], null, v1, s30, 0
	v_add3_u32 v4, v4, v22, v5
	v_add_co_u32 v22, s1, s6, v0
	v_add_co_ci_u32_e64 v23, null, s7, 0, s1
	v_lshlrev_b64 v[24:25], 4, v[3:4]
	v_cmp_gt_i64_e32 vcc_lo, s[36:37], v[22:23]
	v_lshlrev_b64 v[3:4], 4, v[22:23]
	v_add_co_u32 v5, s1, s3, v24
	v_add_co_ci_u32_e64 v24, null, s8, v25, s1
	s_and_saveexec_b32 s2, vcc_lo
	s_cbranch_execz .LBB284_16
; %bb.15:
	v_mul_f64 v[25:26], s[44:45], v[20:21]
	v_mul_f64 v[27:28], s[42:43], v[20:21]
	v_add_co_u32 v29, s1, v5, v3
	v_add_co_ci_u32_e64 v30, null, v24, v4, s1
	v_fma_f64 v[25:26], s[42:43], v[18:19], -v[25:26]
	v_fma_f64 v[27:28], s[44:45], v[18:19], v[27:28]
	flat_store_dwordx4 v[29:30], v[25:28]
.LBB284_16:
	s_or_b32 exec_lo, exec_lo, s2
	v_add_co_u32 v22, s1, v22, 16
	v_add_co_ci_u32_e64 v23, null, 0, v23, s1
	v_cmp_gt_i64_e64 s1, s[36:37], v[22:23]
	s_and_saveexec_b32 s10, s1
	s_cbranch_execz .LBB284_18
; %bb.17:
	v_mul_f64 v[22:23], s[44:45], v[16:17]
	v_mul_f64 v[27:28], s[42:43], v[16:17]
	v_fma_f64 v[25:26], s[42:43], v[14:15], -v[22:23]
	v_fma_f64 v[27:28], s[44:45], v[14:15], v[27:28]
	v_add_co_u32 v22, s2, v5, v3
	v_add_co_ci_u32_e64 v23, null, v24, v4, s2
	flat_store_dwordx4 v[22:23], v[25:28] offset:256
.LBB284_18:
	s_or_b32 exec_lo, exec_lo, s10
	v_add_co_u32 v22, s2, v1, 16
	v_add_co_ci_u32_e64 v23, null, 0, v2, s2
	v_cmp_gt_i64_e64 s2, s[38:39], v[22:23]
	s_and_b32 exec_lo, exec_lo, s2
	s_cbranch_execz .LBB284_23
; %bb.19:
	s_lshl_b64 s[10:11], s[30:31], 8
	v_add_co_u32 v5, s2, v5, s10
	v_add_co_ci_u32_e64 v22, null, s11, v24, s2
	v_add_co_u32 v3, s2, v5, v3
	v_add_co_ci_u32_e64 v4, null, v22, v4, s2
	s_and_saveexec_b32 s2, vcc_lo
	s_cbranch_execz .LBB284_21
; %bb.20:
	v_mul_f64 v[22:23], s[44:45], v[12:13]
	v_mul_f64 v[24:25], s[42:43], v[12:13]
	v_fma_f64 v[22:23], s[42:43], v[10:11], -v[22:23]
	v_fma_f64 v[24:25], s[44:45], v[10:11], v[24:25]
	flat_store_dwordx4 v[3:4], v[22:25]
.LBB284_21:
	s_or_b32 exec_lo, exec_lo, s2
	s_and_b32 exec_lo, exec_lo, s1
	s_cbranch_execz .LBB284_23
; %bb.22:
	v_mul_f64 v[22:23], s[44:45], v[8:9]
	v_mul_f64 v[24:25], s[42:43], v[8:9]
	v_fma_f64 v[22:23], s[42:43], v[6:7], -v[22:23]
	v_fma_f64 v[24:25], s[44:45], v[6:7], v[24:25]
	flat_store_dwordx4 v[3:4], v[22:25] offset:256
.LBB284_23:
	s_or_b32 exec_lo, exec_lo, s9
	s_mov_b32 s1, 0
.LBB284_24:
	s_andn2_b32 vcc_lo, exec_lo, s1
	s_cbranch_vccnz .LBB284_35
; %bb.25:
	s_and_saveexec_b32 s1, s0
	s_cbranch_execz .LBB284_35
; %bb.26:
	v_mul_lo_u32 v5, v2, s24
	v_mul_lo_u32 v22, v1, s25
	v_mad_u64_u32 v[3:4], null, v1, s24, 0
	v_mul_lo_u32 v26, v2, s30
	v_mul_lo_u32 v27, v1, s31
	v_mad_u64_u32 v[24:25], null, v1, s30, 0
	s_lshl_b64 s[0:1], s[26:27], 4
	v_add3_u32 v4, v4, v22, v5
	v_add_co_u32 v22, s2, s6, v0
	v_add_co_ci_u32_e64 v23, null, s7, 0, s2
	v_add3_u32 v25, v25, v27, v26
	v_lshlrev_b64 v[3:4], 4, v[3:4]
	s_add_u32 s0, s4, s0
	s_addc_u32 s1, s5, s1
	v_cmp_gt_i64_e32 vcc_lo, s[36:37], v[22:23]
	v_lshlrev_b64 v[24:25], 4, v[24:25]
	v_add_co_u32 v0, s0, s0, v3
	v_add_co_ci_u32_e64 v5, null, s1, v4, s0
	v_add_co_u32 v24, s0, s3, v24
	v_lshlrev_b64 v[3:4], 4, v[22:23]
	v_add_co_ci_u32_e64 v25, null, s8, v25, s0
	s_and_saveexec_b32 s1, vcc_lo
	s_cbranch_execz .LBB284_28
; %bb.27:
	v_add_co_u32 v26, s0, v0, v3
	v_add_co_ci_u32_e64 v27, null, v5, v4, s0
	v_mul_f64 v[30:31], s[44:45], v[20:21]
	v_mul_f64 v[20:21], s[42:43], v[20:21]
	flat_load_dwordx4 v[26:29], v[26:27]
	v_fma_f64 v[30:31], s[42:43], v[18:19], -v[30:31]
	v_fma_f64 v[20:21], s[44:45], v[18:19], v[20:21]
	s_waitcnt vmcnt(0) lgkmcnt(0)
	v_mul_f64 v[32:33], s[20:21], v[28:29]
	v_mul_f64 v[28:29], s[18:19], v[28:29]
	v_fma_f64 v[18:19], s[18:19], v[26:27], -v[32:33]
	v_fma_f64 v[26:27], s[20:21], v[26:27], v[28:29]
	v_add_f64 v[18:19], v[30:31], v[18:19]
	v_add_f64 v[20:21], v[20:21], v[26:27]
	v_add_co_u32 v26, s0, v24, v3
	v_add_co_ci_u32_e64 v27, null, v25, v4, s0
	flat_store_dwordx4 v[26:27], v[18:21]
.LBB284_28:
	s_or_b32 exec_lo, exec_lo, s1
	v_add_co_u32 v18, s0, v22, 16
	v_add_co_ci_u32_e64 v19, null, 0, v23, s0
	v_cmp_gt_i64_e64 s0, s[36:37], v[18:19]
	s_and_saveexec_b32 s2, s0
	s_cbranch_execz .LBB284_30
; %bb.29:
	v_add_co_u32 v18, s1, v0, v3
	v_add_co_ci_u32_e64 v19, null, v5, v4, s1
	v_mul_f64 v[22:23], s[44:45], v[16:17]
	v_mul_f64 v[16:17], s[42:43], v[16:17]
	flat_load_dwordx4 v[18:21], v[18:19] offset:256
	v_fma_f64 v[22:23], s[42:43], v[14:15], -v[22:23]
	v_fma_f64 v[16:17], s[44:45], v[14:15], v[16:17]
	s_waitcnt vmcnt(0) lgkmcnt(0)
	v_mul_f64 v[26:27], s[20:21], v[20:21]
	v_mul_f64 v[20:21], s[18:19], v[20:21]
	v_fma_f64 v[14:15], s[18:19], v[18:19], -v[26:27]
	v_fma_f64 v[18:19], s[20:21], v[18:19], v[20:21]
	v_add_f64 v[14:15], v[22:23], v[14:15]
	v_add_f64 v[16:17], v[16:17], v[18:19]
	v_add_co_u32 v18, s1, v24, v3
	v_add_co_ci_u32_e64 v19, null, v25, v4, s1
	flat_store_dwordx4 v[18:19], v[14:17] offset:256
.LBB284_30:
	s_or_b32 exec_lo, exec_lo, s2
	v_add_co_u32 v1, s1, v1, 16
	v_add_co_ci_u32_e64 v2, null, 0, v2, s1
	v_cmp_gt_i64_e64 s1, s[38:39], v[1:2]
	s_and_b32 exec_lo, exec_lo, s1
	s_cbranch_execz .LBB284_35
; %bb.31:
	s_lshl_b64 s[2:3], s[24:25], 8
	v_add_co_u32 v0, s1, v0, s2
	v_add_co_ci_u32_e64 v1, null, s3, v5, s1
	s_lshl_b64 s[2:3], s[30:31], 8
	v_add_co_u32 v2, s1, v24, s2
	v_add_co_ci_u32_e64 v5, null, s3, v25, s1
	v_add_co_u32 v14, s1, v0, v3
	v_add_co_ci_u32_e64 v15, null, v1, v4, s1
	;; [unrolled: 2-line block ×3, first 2 shown]
	s_and_saveexec_b32 s1, vcc_lo
	s_cbranch_execz .LBB284_33
; %bb.32:
	flat_load_dwordx4 v[2:5], v[14:15]
	v_mul_f64 v[16:17], s[44:45], v[12:13]
	v_mul_f64 v[12:13], s[42:43], v[12:13]
	v_fma_f64 v[16:17], s[42:43], v[10:11], -v[16:17]
	v_fma_f64 v[10:11], s[44:45], v[10:11], v[12:13]
	s_waitcnt vmcnt(0) lgkmcnt(0)
	v_mul_f64 v[18:19], s[20:21], v[4:5]
	v_mul_f64 v[4:5], s[18:19], v[4:5]
	v_fma_f64 v[12:13], s[18:19], v[2:3], -v[18:19]
	v_fma_f64 v[4:5], s[20:21], v[2:3], v[4:5]
	v_add_f64 v[2:3], v[16:17], v[12:13]
	v_add_f64 v[4:5], v[10:11], v[4:5]
	flat_store_dwordx4 v[0:1], v[2:5]
.LBB284_33:
	s_or_b32 exec_lo, exec_lo, s1
	s_and_b32 exec_lo, exec_lo, s0
	s_cbranch_execz .LBB284_35
; %bb.34:
	flat_load_dwordx4 v[2:5], v[14:15] offset:256
	v_mul_f64 v[10:11], s[44:45], v[8:9]
	v_mul_f64 v[8:9], s[42:43], v[8:9]
	v_fma_f64 v[10:11], s[42:43], v[6:7], -v[10:11]
	v_fma_f64 v[6:7], s[44:45], v[6:7], v[8:9]
	s_waitcnt vmcnt(0) lgkmcnt(0)
	v_mul_f64 v[12:13], s[20:21], v[4:5]
	v_mul_f64 v[4:5], s[18:19], v[4:5]
	v_fma_f64 v[8:9], s[18:19], v[2:3], -v[12:13]
	v_fma_f64 v[4:5], s[20:21], v[2:3], v[4:5]
	v_add_f64 v[2:3], v[10:11], v[8:9]
	v_add_f64 v[4:5], v[6:7], v[4:5]
	flat_store_dwordx4 v[0:1], v[2:5] offset:256
.LBB284_35:
	s_endpgm
	.section	.rodata,"a",@progbits
	.p2align	6, 0x0
	.amdhsa_kernel _ZN12_GLOBAL__N_135rocblas_gemm_batched_general_kernelI19rocblas_complex_numIdELi16ELi16ELi32ELi32ELi8ELi32ELi8ELi8ELi32ELc84ELc84EKPKS2_S5_KPS2_EEvlllT_PT11_llSA_llS8_PT12_llPT13_lli
		.amdhsa_group_segment_fixed_size 8192
		.amdhsa_private_segment_fixed_size 0
		.amdhsa_kernarg_size 156
		.amdhsa_user_sgpr_count 6
		.amdhsa_user_sgpr_private_segment_buffer 1
		.amdhsa_user_sgpr_dispatch_ptr 0
		.amdhsa_user_sgpr_queue_ptr 0
		.amdhsa_user_sgpr_kernarg_segment_ptr 1
		.amdhsa_user_sgpr_dispatch_id 0
		.amdhsa_user_sgpr_flat_scratch_init 0
		.amdhsa_user_sgpr_private_segment_size 0
		.amdhsa_wavefront_size32 1
		.amdhsa_uses_dynamic_stack 0
		.amdhsa_system_sgpr_private_segment_wavefront_offset 0
		.amdhsa_system_sgpr_workgroup_id_x 1
		.amdhsa_system_sgpr_workgroup_id_y 1
		.amdhsa_system_sgpr_workgroup_id_z 1
		.amdhsa_system_sgpr_workgroup_info 0
		.amdhsa_system_vgpr_workitem_id 1
		.amdhsa_next_free_vgpr 128
		.amdhsa_next_free_sgpr 52
		.amdhsa_reserve_vcc 1
		.amdhsa_reserve_flat_scratch 0
		.amdhsa_float_round_mode_32 0
		.amdhsa_float_round_mode_16_64 0
		.amdhsa_float_denorm_mode_32 3
		.amdhsa_float_denorm_mode_16_64 3
		.amdhsa_dx10_clamp 1
		.amdhsa_ieee_mode 1
		.amdhsa_fp16_overflow 0
		.amdhsa_workgroup_processor_mode 1
		.amdhsa_memory_ordered 1
		.amdhsa_forward_progress 1
		.amdhsa_shared_vgpr_count 0
		.amdhsa_exception_fp_ieee_invalid_op 0
		.amdhsa_exception_fp_denorm_src 0
		.amdhsa_exception_fp_ieee_div_zero 0
		.amdhsa_exception_fp_ieee_overflow 0
		.amdhsa_exception_fp_ieee_underflow 0
		.amdhsa_exception_fp_ieee_inexact 0
		.amdhsa_exception_int_div_zero 0
	.end_amdhsa_kernel
	.section	.text._ZN12_GLOBAL__N_135rocblas_gemm_batched_general_kernelI19rocblas_complex_numIdELi16ELi16ELi32ELi32ELi8ELi32ELi8ELi8ELi32ELc84ELc84EKPKS2_S5_KPS2_EEvlllT_PT11_llSA_llS8_PT12_llPT13_lli,"axG",@progbits,_ZN12_GLOBAL__N_135rocblas_gemm_batched_general_kernelI19rocblas_complex_numIdELi16ELi16ELi32ELi32ELi8ELi32ELi8ELi8ELi32ELc84ELc84EKPKS2_S5_KPS2_EEvlllT_PT11_llSA_llS8_PT12_llPT13_lli,comdat
.Lfunc_end284:
	.size	_ZN12_GLOBAL__N_135rocblas_gemm_batched_general_kernelI19rocblas_complex_numIdELi16ELi16ELi32ELi32ELi8ELi32ELi8ELi8ELi32ELc84ELc84EKPKS2_S5_KPS2_EEvlllT_PT11_llSA_llS8_PT12_llPT13_lli, .Lfunc_end284-_ZN12_GLOBAL__N_135rocblas_gemm_batched_general_kernelI19rocblas_complex_numIdELi16ELi16ELi32ELi32ELi8ELi32ELi8ELi8ELi32ELc84ELc84EKPKS2_S5_KPS2_EEvlllT_PT11_llSA_llS8_PT12_llPT13_lli
                                        ; -- End function
	.set _ZN12_GLOBAL__N_135rocblas_gemm_batched_general_kernelI19rocblas_complex_numIdELi16ELi16ELi32ELi32ELi8ELi32ELi8ELi8ELi32ELc84ELc84EKPKS2_S5_KPS2_EEvlllT_PT11_llSA_llS8_PT12_llPT13_lli.num_vgpr, 128
	.set _ZN12_GLOBAL__N_135rocblas_gemm_batched_general_kernelI19rocblas_complex_numIdELi16ELi16ELi32ELi32ELi8ELi32ELi8ELi8ELi32ELc84ELc84EKPKS2_S5_KPS2_EEvlllT_PT11_llSA_llS8_PT12_llPT13_lli.num_agpr, 0
	.set _ZN12_GLOBAL__N_135rocblas_gemm_batched_general_kernelI19rocblas_complex_numIdELi16ELi16ELi32ELi32ELi8ELi32ELi8ELi8ELi32ELc84ELc84EKPKS2_S5_KPS2_EEvlllT_PT11_llSA_llS8_PT12_llPT13_lli.numbered_sgpr, 52
	.set _ZN12_GLOBAL__N_135rocblas_gemm_batched_general_kernelI19rocblas_complex_numIdELi16ELi16ELi32ELi32ELi8ELi32ELi8ELi8ELi32ELc84ELc84EKPKS2_S5_KPS2_EEvlllT_PT11_llSA_llS8_PT12_llPT13_lli.num_named_barrier, 0
	.set _ZN12_GLOBAL__N_135rocblas_gemm_batched_general_kernelI19rocblas_complex_numIdELi16ELi16ELi32ELi32ELi8ELi32ELi8ELi8ELi32ELc84ELc84EKPKS2_S5_KPS2_EEvlllT_PT11_llSA_llS8_PT12_llPT13_lli.private_seg_size, 0
	.set _ZN12_GLOBAL__N_135rocblas_gemm_batched_general_kernelI19rocblas_complex_numIdELi16ELi16ELi32ELi32ELi8ELi32ELi8ELi8ELi32ELc84ELc84EKPKS2_S5_KPS2_EEvlllT_PT11_llSA_llS8_PT12_llPT13_lli.uses_vcc, 1
	.set _ZN12_GLOBAL__N_135rocblas_gemm_batched_general_kernelI19rocblas_complex_numIdELi16ELi16ELi32ELi32ELi8ELi32ELi8ELi8ELi32ELc84ELc84EKPKS2_S5_KPS2_EEvlllT_PT11_llSA_llS8_PT12_llPT13_lli.uses_flat_scratch, 0
	.set _ZN12_GLOBAL__N_135rocblas_gemm_batched_general_kernelI19rocblas_complex_numIdELi16ELi16ELi32ELi32ELi8ELi32ELi8ELi8ELi32ELc84ELc84EKPKS2_S5_KPS2_EEvlllT_PT11_llSA_llS8_PT12_llPT13_lli.has_dyn_sized_stack, 0
	.set _ZN12_GLOBAL__N_135rocblas_gemm_batched_general_kernelI19rocblas_complex_numIdELi16ELi16ELi32ELi32ELi8ELi32ELi8ELi8ELi32ELc84ELc84EKPKS2_S5_KPS2_EEvlllT_PT11_llSA_llS8_PT12_llPT13_lli.has_recursion, 0
	.set _ZN12_GLOBAL__N_135rocblas_gemm_batched_general_kernelI19rocblas_complex_numIdELi16ELi16ELi32ELi32ELi8ELi32ELi8ELi8ELi32ELc84ELc84EKPKS2_S5_KPS2_EEvlllT_PT11_llSA_llS8_PT12_llPT13_lli.has_indirect_call, 0
	.section	.AMDGPU.csdata,"",@progbits
; Kernel info:
; codeLenInByte = 4064
; TotalNumSgprs: 54
; NumVgprs: 128
; ScratchSize: 0
; MemoryBound: 0
; FloatMode: 240
; IeeeMode: 1
; LDSByteSize: 8192 bytes/workgroup (compile time only)
; SGPRBlocks: 0
; VGPRBlocks: 15
; NumSGPRsForWavesPerEU: 54
; NumVGPRsForWavesPerEU: 128
; Occupancy: 8
; WaveLimiterHint : 1
; COMPUTE_PGM_RSRC2:SCRATCH_EN: 0
; COMPUTE_PGM_RSRC2:USER_SGPR: 6
; COMPUTE_PGM_RSRC2:TRAP_HANDLER: 0
; COMPUTE_PGM_RSRC2:TGID_X_EN: 1
; COMPUTE_PGM_RSRC2:TGID_Y_EN: 1
; COMPUTE_PGM_RSRC2:TGID_Z_EN: 1
; COMPUTE_PGM_RSRC2:TIDIG_COMP_CNT: 1
	.section	.text._ZN12_GLOBAL__N_135rocblas_gemm_batched_general_kernelI19rocblas_complex_numIdELi16ELi16ELi32ELi32ELi8ELi32ELi8ELi8ELi32ELc67ELc67EKPKS2_S5_KPS2_EEvlllT_PT11_llSA_llS8_PT12_llPT13_lli,"axG",@progbits,_ZN12_GLOBAL__N_135rocblas_gemm_batched_general_kernelI19rocblas_complex_numIdELi16ELi16ELi32ELi32ELi8ELi32ELi8ELi8ELi32ELc67ELc67EKPKS2_S5_KPS2_EEvlllT_PT11_llSA_llS8_PT12_llPT13_lli,comdat
	.globl	_ZN12_GLOBAL__N_135rocblas_gemm_batched_general_kernelI19rocblas_complex_numIdELi16ELi16ELi32ELi32ELi8ELi32ELi8ELi8ELi32ELc67ELc67EKPKS2_S5_KPS2_EEvlllT_PT11_llSA_llS8_PT12_llPT13_lli ; -- Begin function _ZN12_GLOBAL__N_135rocblas_gemm_batched_general_kernelI19rocblas_complex_numIdELi16ELi16ELi32ELi32ELi8ELi32ELi8ELi8ELi32ELc67ELc67EKPKS2_S5_KPS2_EEvlllT_PT11_llSA_llS8_PT12_llPT13_lli
	.p2align	8
	.type	_ZN12_GLOBAL__N_135rocblas_gemm_batched_general_kernelI19rocblas_complex_numIdELi16ELi16ELi32ELi32ELi8ELi32ELi8ELi8ELi32ELc67ELc67EKPKS2_S5_KPS2_EEvlllT_PT11_llSA_llS8_PT12_llPT13_lli,@function
_ZN12_GLOBAL__N_135rocblas_gemm_batched_general_kernelI19rocblas_complex_numIdELi16ELi16ELi32ELi32ELi8ELi32ELi8ELi8ELi32ELc67ELc67EKPKS2_S5_KPS2_EEvlllT_PT11_llSA_llS8_PT12_llPT13_lli: ; @_ZN12_GLOBAL__N_135rocblas_gemm_batched_general_kernelI19rocblas_complex_numIdELi16ELi16ELi32ELi32ELi8ELi32ELi8ELi8ELi32ELc67ELc67EKPKS2_S5_KPS2_EEvlllT_PT11_llSA_llS8_PT12_llPT13_lli
; %bb.0:
	s_clause 0x2
	s_load_dwordx16 s[12:27], s[4:5], 0x40
	s_load_dwordx4 s[28:31], s[4:5], 0x80
	s_load_dwordx16 s[36:51], s[4:5], 0x0
	s_mov_b32 s9, 0
	s_load_dwordx2 s[2:3], s[4:5], 0x90
	s_lshl_b64 s[0:1], s[8:9], 3
	s_mov_b32 s34, s7
	s_waitcnt lgkmcnt(0)
	s_add_u32 s4, s22, s0
	s_addc_u32 s5, s23, s1
	s_add_u32 s8, s28, s0
	s_addc_u32 s9, s29, s1
	s_load_dwordx2 s[4:5], s[4:5], 0x0
	s_load_dwordx2 s[8:9], s[8:9], 0x0
	v_cmp_lt_i64_e64 s10, s[40:41], 1
	s_ashr_i32 s7, s6, 31
	s_ashr_i32 s35, s34, 31
	s_lshl_b64 s[6:7], s[6:7], 5
	s_and_b32 vcc_lo, exec_lo, s10
	s_lshl_b64 s[10:11], s[34:35], 5
	s_cbranch_vccnz .LBB285_7
; %bb.1:
	v_lshl_add_u32 v2, v1, 4, v0
	v_and_b32_e32 v30, 7, v0
	s_add_u32 s12, s12, s0
	s_addc_u32 s13, s13, s1
	v_mov_b32_e32 v3, s7
	v_and_b32_e32 v8, 31, v2
	v_mad_u64_u32 v[4:5], null, s14, v30, 0
	v_lshrrev_b32_e32 v9, 3, v2
	v_lshrrev_b32_e32 v31, 5, v2
	v_or_b32_e32 v2, s6, v8
	s_add_u32 s0, s46, s0
	s_addc_u32 s1, s47, s1
	s_load_dwordx2 s[12:13], s[12:13], 0x0
	s_load_dwordx2 s[22:23], s[0:1], 0x0
	v_add_co_u32 v6, s0, v9, s10
	v_add_co_ci_u32_e64 v7, null, 0, s11, s0
	v_cmp_gt_i64_e64 s0, s[36:37], v[2:3]
	v_mov_b32_e32 v2, v5
	v_lshlrev_b32_e32 v5, 4, v30
	v_cmp_gt_i64_e64 s1, s[38:39], v[6:7]
	v_add_co_u32 v6, s28, s6, v8
	v_mad_u64_u32 v[2:3], null, s15, v30, v[2:3]
	v_lshl_or_b32 v3, v9, 7, v5
	v_add_co_ci_u32_e64 v7, null, s7, 0, s28
	v_lshlrev_b32_e32 v10, 4, v8
	v_mul_lo_u32 v8, s49, v6
	v_add_nc_u32_e32 v33, 0x1000, v3
	v_mov_b32_e32 v5, v2
	v_mul_lo_u32 v7, s48, v7
	v_mad_u64_u32 v[2:3], null, s48, v6, 0
	s_lshl_b64 s[28:29], s[34:35], 9
	v_lshlrev_b64 v[4:5], 4, v[4:5]
	s_lshl_b64 s[16:17], s[16:17], 4
	v_lshlrev_b32_e32 v6, 4, v9
	s_add_u32 s16, s16, s28
	s_addc_u32 s17, s17, s29
	v_add3_u32 v3, v3, v7, v8
	v_add_co_u32 v4, vcc_lo, s16, v4
	v_add_co_ci_u32_e64 v5, null, s17, v5, vcc_lo
	v_lshlrev_b64 v[2:3], 4, v[2:3]
	v_add_co_u32 v4, vcc_lo, v4, v6
	s_lshl_b64 s[16:17], s[50:51], 4
	v_add_co_ci_u32_e64 v5, null, 0, v5, vcc_lo
	v_add_co_u32 v2, vcc_lo, v2, s16
	v_lshlrev_b32_e32 v6, 4, v31
	v_add_co_ci_u32_e64 v3, null, s17, v3, vcc_lo
	s_waitcnt lgkmcnt(0)
	v_add_co_u32 v26, vcc_lo, s12, v4
	v_add_co_ci_u32_e64 v27, null, s13, v5, vcc_lo
	v_add_co_u32 v2, vcc_lo, v2, v6
	v_add_co_ci_u32_e64 v3, null, 0, v3, vcc_lo
	v_lshl_or_b32 v32, v31, 9, v10
	v_add_co_u32 v28, vcc_lo, s22, v2
	v_mov_b32_e32 v12, 0
	v_mov_b32_e32 v10, 0
	;; [unrolled: 1-line block ×8, first 2 shown]
	v_lshlrev_b32_e32 v34, 4, v0
	v_lshl_add_u32 v35, v1, 7, 0x1000
	v_mov_b32_e32 v13, 0
	v_mov_b32_e32 v11, 0
	;; [unrolled: 1-line block ×8, first 2 shown]
	v_add_co_ci_u32_e64 v29, null, s23, v3, vcc_lo
	s_lshl_b64 s[12:13], s[14:15], 7
	s_mov_b64 s[14:15], 0
	s_branch .LBB285_3
.LBB285_2:                              ;   in Loop: Header=BB285_3 Depth=1
	s_or_b32 exec_lo, exec_lo, s16
	ds_write_b128 v33, v[6:9]
	s_waitcnt lgkmcnt(0)
	s_barrier
	buffer_gl0_inv
	ds_read_b128 v[2:5], v35
	ds_read_b128 v[6:9], v34
	ds_read_b128 v[36:39], v34 offset:256
	ds_read_b128 v[40:43], v35 offset:2048
	;; [unrolled: 1-line block ×12, first 2 shown]
	s_add_u32 s14, s14, 8
	s_addc_u32 s15, s15, 0
	v_add_co_u32 v26, vcc_lo, v26, s12
	v_cmp_lt_i64_e64 s16, s[14:15], s[40:41]
	v_add_co_ci_u32_e64 v27, null, s13, v27, vcc_lo
	s_waitcnt lgkmcnt(12)
	v_mul_f64 v[84:85], v[4:5], v[8:9]
	v_mul_f64 v[86:87], v[2:3], v[8:9]
	s_waitcnt lgkmcnt(11)
	v_mul_f64 v[88:89], v[4:5], v[38:39]
	v_mul_f64 v[90:91], v[2:3], v[38:39]
	;; [unrolled: 3-line block ×3, first 2 shown]
	v_mul_f64 v[94:95], v[42:43], v[38:39]
	v_mul_f64 v[38:39], v[40:41], v[38:39]
	s_waitcnt lgkmcnt(8)
	v_mul_f64 v[96:97], v[46:47], v[50:51]
	v_mul_f64 v[98:99], v[44:45], v[50:51]
	s_waitcnt lgkmcnt(7)
	;; [unrolled: 3-line block ×3, first 2 shown]
	v_mul_f64 v[104:105], v[58:59], v[50:51]
	v_mul_f64 v[50:51], v[56:57], v[50:51]
	;; [unrolled: 1-line block ×4, first 2 shown]
	s_waitcnt lgkmcnt(4)
	v_mul_f64 v[108:109], v[62:63], v[66:67]
	v_mul_f64 v[110:111], v[60:61], v[66:67]
	s_waitcnt lgkmcnt(3)
	v_mul_f64 v[112:113], v[62:63], v[70:71]
	v_mul_f64 v[114:115], v[60:61], v[70:71]
	;; [unrolled: 3-line block ×3, first 2 shown]
	v_fma_f64 v[84:85], v[2:3], v[6:7], -v[84:85]
	v_fma_f64 v[86:87], v[4:5], v[6:7], v[86:87]
	v_fma_f64 v[88:89], v[2:3], v[36:37], -v[88:89]
	v_fma_f64 v[90:91], v[4:5], v[36:37], v[90:91]
	v_fma_f64 v[92:93], v[40:41], v[6:7], -v[92:93]
	v_fma_f64 v[118:119], v[42:43], v[6:7], v[8:9]
	v_fma_f64 v[94:95], v[40:41], v[36:37], -v[94:95]
	v_fma_f64 v[120:121], v[42:43], v[36:37], v[38:39]
	v_mul_f64 v[122:123], v[74:75], v[70:71]
	v_mul_f64 v[70:71], v[72:73], v[70:71]
	ds_read_b128 v[2:5], v34 offset:1536
	ds_read_b128 v[6:9], v34 offset:1792
	v_fma_f64 v[96:97], v[44:45], v[48:49], -v[96:97]
	v_fma_f64 v[98:99], v[46:47], v[48:49], v[98:99]
	v_fma_f64 v[100:101], v[44:45], v[52:53], -v[100:101]
	v_fma_f64 v[102:103], v[46:47], v[52:53], v[102:103]
	;; [unrolled: 2-line block ×7, first 2 shown]
	v_add_f64 v[22:23], v[22:23], v[84:85]
	v_add_f64 v[24:25], v[86:87], v[24:25]
	;; [unrolled: 1-line block ×4, first 2 shown]
	s_waitcnt lgkmcnt(1)
	v_mul_f64 v[108:109], v[78:79], v[4:5]
	v_mul_f64 v[110:111], v[76:77], v[4:5]
	s_waitcnt lgkmcnt(0)
	v_mul_f64 v[66:67], v[78:79], v[8:9]
	v_mul_f64 v[112:113], v[76:77], v[8:9]
	v_fma_f64 v[72:73], v[72:73], v[68:69], -v[122:123]
	v_mul_f64 v[114:115], v[82:83], v[4:5]
	v_mul_f64 v[4:5], v[80:81], v[4:5]
	v_fma_f64 v[68:69], v[74:75], v[68:69], v[70:71]
	v_add_f64 v[70:71], v[14:15], v[92:93]
	v_add_f64 v[16:17], v[118:119], v[16:17]
	;; [unrolled: 1-line block ×4, first 2 shown]
	ds_read_b128 v[36:39], v35 offset:64
	ds_read_b128 v[40:43], v34 offset:2048
	;; [unrolled: 1-line block ×5, first 2 shown]
	v_mul_f64 v[86:87], v[82:83], v[8:9]
	v_mul_f64 v[92:93], v[80:81], v[8:9]
	v_add_f64 v[22:23], v[22:23], v[96:97]
	v_add_f64 v[24:25], v[98:99], v[24:25]
	;; [unrolled: 1-line block ×4, first 2 shown]
	v_fma_f64 v[88:89], v[76:77], v[2:3], -v[108:109]
	v_fma_f64 v[90:91], v[78:79], v[2:3], v[110:111]
	v_fma_f64 v[66:67], v[76:77], v[6:7], -v[66:67]
	v_fma_f64 v[78:79], v[78:79], v[6:7], v[112:113]
	ds_read_b128 v[8:11], v35 offset:80
	v_add_co_u32 v28, vcc_lo, 0x80, v28
	v_add_co_ci_u32_e64 v29, null, 0, v29, vcc_lo
	v_add_f64 v[70:71], v[70:71], v[104:105]
	s_waitcnt lgkmcnt(4)
	v_mul_f64 v[76:77], v[38:39], v[42:43]
	v_mul_f64 v[94:95], v[36:37], v[42:43]
	s_waitcnt lgkmcnt(2)
	v_mul_f64 v[112:113], v[50:51], v[42:43]
	v_mul_f64 v[42:43], v[48:49], v[42:43]
	v_add_f64 v[98:99], v[124:125], v[16:17]
	v_add_f64 v[56:57], v[74:75], v[56:57]
	;; [unrolled: 1-line block ×3, first 2 shown]
	v_fma_f64 v[74:75], v[80:81], v[2:3], -v[114:115]
	v_fma_f64 v[84:85], v[82:83], v[2:3], v[4:5]
	ds_read_b128 v[2:5], v34 offset:2560
	v_mul_f64 v[108:109], v[38:39], v[46:47]
	v_mul_f64 v[110:111], v[36:37], v[46:47]
	v_fma_f64 v[80:81], v[80:81], v[6:7], -v[86:87]
	v_fma_f64 v[82:83], v[82:83], v[6:7], v[92:93]
	ds_read_b128 v[16:19], v34 offset:2816
	s_and_b32 vcc_lo, exec_lo, s16
	v_fma_f64 v[76:77], v[36:37], v[40:41], -v[76:77]
	v_fma_f64 v[86:87], v[38:39], v[40:41], v[94:95]
	v_add_f64 v[64:65], v[64:65], v[98:99]
	v_add_f64 v[56:57], v[56:57], v[72:73]
	;; [unrolled: 1-line block ×3, first 2 shown]
	s_waitcnt lgkmcnt(1)
	v_mul_f64 v[68:69], v[10:11], v[4:5]
	v_mul_f64 v[98:99], v[14:15], v[4:5]
	;; [unrolled: 1-line block ×3, first 2 shown]
	v_fma_f64 v[92:93], v[36:37], v[44:45], -v[108:109]
	v_fma_f64 v[94:95], v[38:39], v[44:45], v[110:111]
	v_mul_f64 v[36:37], v[50:51], v[46:47]
	v_mul_f64 v[38:39], v[48:49], v[46:47]
	v_fma_f64 v[46:47], v[48:49], v[40:41], -v[112:113]
	v_fma_f64 v[40:41], v[50:51], v[40:41], v[42:43]
	v_add_f64 v[42:43], v[22:23], v[54:55]
	v_add_f64 v[54:55], v[58:59], v[24:25]
	;; [unrolled: 1-line block ×5, first 2 shown]
	v_mul_f64 v[70:71], v[8:9], v[4:5]
	s_waitcnt lgkmcnt(0)
	v_mul_f64 v[72:73], v[10:11], v[18:19]
	v_mul_f64 v[96:97], v[8:9], v[18:19]
	;; [unrolled: 1-line block ×4, first 2 shown]
	ds_read_b128 v[4:7], v35 offset:96
	ds_read_b128 v[18:21], v34 offset:3072
	v_add_f64 v[56:57], v[56:57], v[80:81]
	v_add_f64 v[52:53], v[82:83], v[52:53]
	v_fma_f64 v[48:49], v[48:49], v[44:45], -v[36:37]
	v_fma_f64 v[44:45], v[50:51], v[44:45], v[38:39]
	ds_read_b128 v[22:25], v34 offset:3328
	ds_read_b128 v[36:39], v35 offset:2144
	v_add_f64 v[42:43], v[42:43], v[88:89]
	v_add_f64 v[50:51], v[90:91], v[54:55]
	;; [unrolled: 1-line block ×6, first 2 shown]
	v_fma_f64 v[64:65], v[8:9], v[2:3], -v[68:69]
	v_fma_f64 v[66:67], v[10:11], v[2:3], v[70:71]
	v_fma_f64 v[68:69], v[8:9], v[16:17], -v[72:73]
	v_fma_f64 v[70:71], v[10:11], v[16:17], v[96:97]
	;; [unrolled: 2-line block ×3, first 2 shown]
	v_fma_f64 v[74:75], v[12:13], v[16:17], -v[102:103]
	s_waitcnt lgkmcnt(2)
	v_mul_f64 v[78:79], v[6:7], v[20:21]
	v_fma_f64 v[16:17], v[14:15], v[16:17], v[104:105]
	v_mul_f64 v[80:81], v[4:5], v[20:21]
	ds_read_b128 v[8:11], v35 offset:112
	ds_read_b128 v[12:15], v35 offset:2160
	s_waitcnt lgkmcnt(3)
	v_mul_f64 v[82:83], v[6:7], v[24:25]
	v_mul_f64 v[84:85], v[4:5], v[24:25]
	s_waitcnt lgkmcnt(2)
	v_mul_f64 v[88:89], v[38:39], v[20:21]
	v_mul_f64 v[20:21], v[36:37], v[20:21]
	v_add_f64 v[76:77], v[42:43], v[76:77]
	v_add_f64 v[50:51], v[86:87], v[50:51]
	;; [unrolled: 1-line block ×8, first 2 shown]
	v_mul_f64 v[56:57], v[38:39], v[24:25]
	v_mul_f64 v[24:25], v[36:37], v[24:25]
	ds_read_b128 v[40:43], v34 offset:3584
	ds_read_b128 v[44:47], v34 offset:3840
	s_waitcnt lgkmcnt(0)
	s_barrier
	v_fma_f64 v[78:79], v[4:5], v[18:19], -v[78:79]
	buffer_gl0_inv
	v_fma_f64 v[80:81], v[6:7], v[18:19], v[80:81]
	v_fma_f64 v[4:5], v[4:5], v[22:23], -v[82:83]
	v_fma_f64 v[6:7], v[6:7], v[22:23], v[84:85]
	v_fma_f64 v[82:83], v[36:37], v[18:19], -v[88:89]
	v_fma_f64 v[18:19], v[38:39], v[18:19], v[20:21]
	v_add_f64 v[20:21], v[76:77], v[64:65]
	v_add_f64 v[50:51], v[66:67], v[50:51]
	;; [unrolled: 1-line block ×8, first 2 shown]
	v_fma_f64 v[36:37], v[36:37], v[22:23], -v[56:57]
	v_fma_f64 v[22:23], v[38:39], v[22:23], v[24:25]
	v_mul_f64 v[24:25], v[10:11], v[42:43]
	v_mul_f64 v[38:39], v[8:9], v[42:43]
	;; [unrolled: 1-line block ×8, first 2 shown]
	v_add_f64 v[20:21], v[20:21], v[78:79]
	v_add_f64 v[50:51], v[80:81], v[50:51]
	;; [unrolled: 1-line block ×8, first 2 shown]
	v_fma_f64 v[16:17], v[8:9], v[40:41], -v[24:25]
	v_fma_f64 v[18:19], v[10:11], v[40:41], v[38:39]
	v_fma_f64 v[8:9], v[8:9], v[44:45], -v[52:53]
	v_fma_f64 v[10:11], v[10:11], v[44:45], v[56:57]
	;; [unrolled: 2-line block ×4, first 2 shown]
	v_add_f64 v[22:23], v[20:21], v[16:17]
	v_add_f64 v[24:25], v[18:19], v[50:51]
	;; [unrolled: 1-line block ×8, first 2 shown]
	s_cbranch_vccz .LBB285_8
.LBB285_3:                              ; =>This Inner Loop Header: Depth=1
	v_add_co_u32 v2, s16, v31, s14
	v_add_co_ci_u32_e64 v3, null, 0, s15, s16
	v_mov_b32_e32 v4, 0
	v_mov_b32_e32 v5, 0
	v_cmp_gt_i64_e32 vcc_lo, s[40:41], v[2:3]
	v_mov_b32_e32 v2, 0
	v_mov_b32_e32 v3, 0
	s_and_b32 s17, s0, vcc_lo
	s_and_saveexec_b32 s16, s17
	s_cbranch_execz .LBB285_5
; %bb.4:                                ;   in Loop: Header=BB285_3 Depth=1
	flat_load_dwordx4 v[2:5], v[28:29]
	s_waitcnt vmcnt(0) lgkmcnt(0)
	v_xor_b32_e32 v5, 0x80000000, v5
.LBB285_5:                              ;   in Loop: Header=BB285_3 Depth=1
	s_or_b32 exec_lo, exec_lo, s16
	v_add_co_u32 v6, s16, v30, s14
	v_add_co_ci_u32_e64 v7, null, 0, s15, s16
	v_mov_b32_e32 v8, 0
	v_mov_b32_e32 v9, 0
	ds_write_b128 v32, v[2:5]
	v_cmp_gt_i64_e32 vcc_lo, s[40:41], v[6:7]
	v_mov_b32_e32 v6, 0
	v_mov_b32_e32 v7, 0
	s_and_b32 s17, vcc_lo, s1
	s_and_saveexec_b32 s16, s17
	s_cbranch_execz .LBB285_2
; %bb.6:                                ;   in Loop: Header=BB285_3 Depth=1
	flat_load_dwordx4 v[6:9], v[26:27]
	s_waitcnt vmcnt(0) lgkmcnt(0)
	v_xor_b32_e32 v9, 0x80000000, v9
	s_branch .LBB285_2
.LBB285_7:
	v_mov_b32_e32 v22, 0
	v_mov_b32_e32 v24, 0
	;; [unrolled: 1-line block ×16, first 2 shown]
.LBB285_8:
	v_cmp_neq_f64_e64 s12, s[18:19], 0
	v_cmp_neq_f64_e64 s13, s[20:21], 0
	s_lshl_b64 s[0:1], s[2:3], 4
	v_add_co_u32 v1, s2, s10, v1
	v_add_co_ci_u32_e64 v2, null, s11, 0, s2
	s_waitcnt lgkmcnt(0)
	s_add_u32 s3, s8, s0
	s_addc_u32 s8, s9, s1
	v_cmp_gt_i64_e64 s0, s[38:39], v[1:2]
	s_or_b32 s1, s12, s13
	s_and_b32 vcc_lo, exec_lo, s1
	s_mov_b32 s1, -1
	s_cbranch_vccnz .LBB285_20
; %bb.9:
	s_and_saveexec_b32 s9, s0
	s_cbranch_execz .LBB285_19
; %bb.10:
	v_mul_lo_u32 v5, v2, s30
	v_mul_lo_u32 v6, v1, s31
	v_mad_u64_u32 v[3:4], null, v1, s30, 0
	v_add3_u32 v4, v4, v6, v5
	v_add_co_u32 v5, s1, s6, v0
	v_add_co_ci_u32_e64 v6, null, s7, 0, s1
	v_lshlrev_b64 v[7:8], 4, v[3:4]
	v_cmp_gt_i64_e32 vcc_lo, s[36:37], v[5:6]
	v_lshlrev_b64 v[3:4], 4, v[5:6]
	v_add_co_u32 v7, s1, s3, v7
	v_add_co_ci_u32_e64 v8, null, s8, v8, s1
	s_and_saveexec_b32 s2, vcc_lo
	s_cbranch_execz .LBB285_12
; %bb.11:
	v_mul_f64 v[26:27], s[44:45], v[24:25]
	v_mul_f64 v[28:29], s[42:43], v[24:25]
	v_add_co_u32 v30, s1, v7, v3
	v_add_co_ci_u32_e64 v31, null, v8, v4, s1
	v_fma_f64 v[26:27], s[42:43], v[22:23], -v[26:27]
	v_fma_f64 v[28:29], s[44:45], v[22:23], v[28:29]
	flat_store_dwordx4 v[30:31], v[26:29]
.LBB285_12:
	s_or_b32 exec_lo, exec_lo, s2
	v_add_co_u32 v5, s1, v5, 16
	v_add_co_ci_u32_e64 v6, null, 0, v6, s1
	v_cmp_gt_i64_e64 s1, s[36:37], v[5:6]
	s_and_saveexec_b32 s10, s1
	s_cbranch_execz .LBB285_14
; %bb.13:
	v_mul_f64 v[5:6], s[44:45], v[20:21]
	v_mul_f64 v[28:29], s[42:43], v[20:21]
	v_fma_f64 v[26:27], s[42:43], v[18:19], -v[5:6]
	v_fma_f64 v[28:29], s[44:45], v[18:19], v[28:29]
	v_add_co_u32 v5, s2, v7, v3
	v_add_co_ci_u32_e64 v6, null, v8, v4, s2
	flat_store_dwordx4 v[5:6], v[26:29] offset:256
.LBB285_14:
	s_or_b32 exec_lo, exec_lo, s10
	v_add_co_u32 v5, s2, v1, 16
	v_add_co_ci_u32_e64 v6, null, 0, v2, s2
	v_cmp_gt_i64_e64 s2, s[38:39], v[5:6]
	s_and_b32 exec_lo, exec_lo, s2
	s_cbranch_execz .LBB285_19
; %bb.15:
	s_lshl_b64 s[10:11], s[30:31], 8
	v_add_co_u32 v5, s2, v7, s10
	v_add_co_ci_u32_e64 v6, null, s11, v8, s2
	v_add_co_u32 v3, s2, v5, v3
	v_add_co_ci_u32_e64 v4, null, v6, v4, s2
	s_and_saveexec_b32 s2, vcc_lo
	s_cbranch_execz .LBB285_17
; %bb.16:
	v_mul_f64 v[5:6], s[44:45], v[16:17]
	v_mul_f64 v[7:8], s[42:43], v[16:17]
	v_fma_f64 v[5:6], s[42:43], v[14:15], -v[5:6]
	v_fma_f64 v[7:8], s[44:45], v[14:15], v[7:8]
	flat_store_dwordx4 v[3:4], v[5:8]
.LBB285_17:
	s_or_b32 exec_lo, exec_lo, s2
	s_and_b32 exec_lo, exec_lo, s1
	s_cbranch_execz .LBB285_19
; %bb.18:
	v_mul_f64 v[5:6], s[44:45], v[12:13]
	v_mul_f64 v[7:8], s[42:43], v[12:13]
	v_fma_f64 v[5:6], s[42:43], v[10:11], -v[5:6]
	v_fma_f64 v[7:8], s[44:45], v[10:11], v[7:8]
	flat_store_dwordx4 v[3:4], v[5:8] offset:256
.LBB285_19:
	s_or_b32 exec_lo, exec_lo, s9
	s_mov_b32 s1, 0
.LBB285_20:
	s_andn2_b32 vcc_lo, exec_lo, s1
	s_cbranch_vccnz .LBB285_31
; %bb.21:
	s_and_saveexec_b32 s1, s0
	s_cbranch_execz .LBB285_31
; %bb.22:
	v_mul_lo_u32 v5, v2, s24
	v_mul_lo_u32 v6, v1, s25
	v_mad_u64_u32 v[3:4], null, v1, s24, 0
	v_mul_lo_u32 v9, v2, s30
	v_mul_lo_u32 v26, v1, s31
	v_mad_u64_u32 v[7:8], null, v1, s30, 0
	s_lshl_b64 s[0:1], s[26:27], 4
	v_add3_u32 v4, v4, v6, v5
	v_add_co_u32 v5, s2, s6, v0
	v_add_co_ci_u32_e64 v6, null, s7, 0, s2
	v_add3_u32 v8, v8, v26, v9
	v_lshlrev_b64 v[3:4], 4, v[3:4]
	s_add_u32 s0, s4, s0
	s_addc_u32 s1, s5, s1
	v_cmp_gt_i64_e32 vcc_lo, s[36:37], v[5:6]
	v_lshlrev_b64 v[8:9], 4, v[7:8]
	v_add_co_u32 v0, s0, s0, v3
	v_add_co_ci_u32_e64 v7, null, s1, v4, s0
	v_add_co_u32 v8, s0, s3, v8
	v_lshlrev_b64 v[3:4], 4, v[5:6]
	v_add_co_ci_u32_e64 v9, null, s8, v9, s0
	s_and_saveexec_b32 s1, vcc_lo
	s_cbranch_execz .LBB285_24
; %bb.23:
	v_add_co_u32 v26, s0, v0, v3
	v_add_co_ci_u32_e64 v27, null, v7, v4, s0
	v_mul_f64 v[30:31], s[44:45], v[24:25]
	v_mul_f64 v[24:25], s[42:43], v[24:25]
	flat_load_dwordx4 v[26:29], v[26:27]
	v_fma_f64 v[30:31], s[42:43], v[22:23], -v[30:31]
	v_fma_f64 v[24:25], s[44:45], v[22:23], v[24:25]
	s_waitcnt vmcnt(0) lgkmcnt(0)
	v_mul_f64 v[32:33], s[20:21], v[28:29]
	v_mul_f64 v[28:29], s[18:19], v[28:29]
	v_fma_f64 v[22:23], s[18:19], v[26:27], -v[32:33]
	v_fma_f64 v[26:27], s[20:21], v[26:27], v[28:29]
	v_add_f64 v[22:23], v[30:31], v[22:23]
	v_add_f64 v[24:25], v[24:25], v[26:27]
	v_add_co_u32 v26, s0, v8, v3
	v_add_co_ci_u32_e64 v27, null, v9, v4, s0
	flat_store_dwordx4 v[26:27], v[22:25]
.LBB285_24:
	s_or_b32 exec_lo, exec_lo, s1
	v_add_co_u32 v5, s0, v5, 16
	v_add_co_ci_u32_e64 v6, null, 0, v6, s0
	v_cmp_gt_i64_e64 s0, s[36:37], v[5:6]
	s_and_saveexec_b32 s2, s0
	s_cbranch_execz .LBB285_26
; %bb.25:
	v_add_co_u32 v5, s1, v0, v3
	v_add_co_ci_u32_e64 v6, null, v7, v4, s1
	flat_load_dwordx4 v[22:25], v[5:6] offset:256
	v_mul_f64 v[5:6], s[44:45], v[20:21]
	v_mul_f64 v[20:21], s[42:43], v[20:21]
	v_fma_f64 v[5:6], s[42:43], v[18:19], -v[5:6]
	v_fma_f64 v[20:21], s[44:45], v[18:19], v[20:21]
	s_waitcnt vmcnt(0) lgkmcnt(0)
	v_mul_f64 v[26:27], s[20:21], v[24:25]
	v_mul_f64 v[24:25], s[18:19], v[24:25]
	v_fma_f64 v[18:19], s[18:19], v[22:23], -v[26:27]
	v_fma_f64 v[22:23], s[20:21], v[22:23], v[24:25]
	v_add_f64 v[18:19], v[5:6], v[18:19]
	v_add_f64 v[20:21], v[20:21], v[22:23]
	v_add_co_u32 v5, s1, v8, v3
	v_add_co_ci_u32_e64 v6, null, v9, v4, s1
	flat_store_dwordx4 v[5:6], v[18:21] offset:256
.LBB285_26:
	s_or_b32 exec_lo, exec_lo, s2
	v_add_co_u32 v1, s1, v1, 16
	v_add_co_ci_u32_e64 v2, null, 0, v2, s1
	v_cmp_gt_i64_e64 s1, s[38:39], v[1:2]
	s_and_b32 exec_lo, exec_lo, s1
	s_cbranch_execz .LBB285_31
; %bb.27:
	s_lshl_b64 s[2:3], s[24:25], 8
	v_add_co_u32 v0, s1, v0, s2
	v_add_co_ci_u32_e64 v1, null, s3, v7, s1
	s_lshl_b64 s[2:3], s[30:31], 8
	v_add_co_u32 v2, s1, v8, s2
	v_add_co_ci_u32_e64 v7, null, s3, v9, s1
	v_add_co_u32 v5, s1, v0, v3
	v_add_co_ci_u32_e64 v6, null, v1, v4, s1
	;; [unrolled: 2-line block ×3, first 2 shown]
	s_and_saveexec_b32 s1, vcc_lo
	s_cbranch_execz .LBB285_29
; %bb.28:
	flat_load_dwordx4 v[18:21], v[5:6]
	v_mul_f64 v[2:3], s[44:45], v[16:17]
	v_mul_f64 v[7:8], s[42:43], v[16:17]
	v_fma_f64 v[2:3], s[42:43], v[14:15], -v[2:3]
	v_fma_f64 v[7:8], s[44:45], v[14:15], v[7:8]
	s_waitcnt vmcnt(0) lgkmcnt(0)
	v_mul_f64 v[16:17], s[20:21], v[20:21]
	v_mul_f64 v[20:21], s[18:19], v[20:21]
	v_fma_f64 v[14:15], s[18:19], v[18:19], -v[16:17]
	v_fma_f64 v[16:17], s[20:21], v[18:19], v[20:21]
	v_add_f64 v[14:15], v[2:3], v[14:15]
	v_add_f64 v[16:17], v[7:8], v[16:17]
	flat_store_dwordx4 v[0:1], v[14:17]
.LBB285_29:
	s_or_b32 exec_lo, exec_lo, s1
	s_and_b32 exec_lo, exec_lo, s0
	s_cbranch_execz .LBB285_31
; %bb.30:
	flat_load_dwordx4 v[2:5], v[5:6] offset:256
	v_mul_f64 v[6:7], s[44:45], v[12:13]
	v_mul_f64 v[8:9], s[42:43], v[12:13]
	v_fma_f64 v[6:7], s[42:43], v[10:11], -v[6:7]
	v_fma_f64 v[8:9], s[44:45], v[10:11], v[8:9]
	s_waitcnt vmcnt(0) lgkmcnt(0)
	v_mul_f64 v[12:13], s[20:21], v[4:5]
	v_mul_f64 v[4:5], s[18:19], v[4:5]
	v_fma_f64 v[10:11], s[18:19], v[2:3], -v[12:13]
	v_fma_f64 v[4:5], s[20:21], v[2:3], v[4:5]
	v_add_f64 v[2:3], v[6:7], v[10:11]
	v_add_f64 v[4:5], v[8:9], v[4:5]
	flat_store_dwordx4 v[0:1], v[2:5] offset:256
.LBB285_31:
	s_endpgm
	.section	.rodata,"a",@progbits
	.p2align	6, 0x0
	.amdhsa_kernel _ZN12_GLOBAL__N_135rocblas_gemm_batched_general_kernelI19rocblas_complex_numIdELi16ELi16ELi32ELi32ELi8ELi32ELi8ELi8ELi32ELc67ELc67EKPKS2_S5_KPS2_EEvlllT_PT11_llSA_llS8_PT12_llPT13_lli
		.amdhsa_group_segment_fixed_size 8192
		.amdhsa_private_segment_fixed_size 0
		.amdhsa_kernarg_size 156
		.amdhsa_user_sgpr_count 6
		.amdhsa_user_sgpr_private_segment_buffer 1
		.amdhsa_user_sgpr_dispatch_ptr 0
		.amdhsa_user_sgpr_queue_ptr 0
		.amdhsa_user_sgpr_kernarg_segment_ptr 1
		.amdhsa_user_sgpr_dispatch_id 0
		.amdhsa_user_sgpr_flat_scratch_init 0
		.amdhsa_user_sgpr_private_segment_size 0
		.amdhsa_wavefront_size32 1
		.amdhsa_uses_dynamic_stack 0
		.amdhsa_system_sgpr_private_segment_wavefront_offset 0
		.amdhsa_system_sgpr_workgroup_id_x 1
		.amdhsa_system_sgpr_workgroup_id_y 1
		.amdhsa_system_sgpr_workgroup_id_z 1
		.amdhsa_system_sgpr_workgroup_info 0
		.amdhsa_system_vgpr_workitem_id 1
		.amdhsa_next_free_vgpr 126
		.amdhsa_next_free_sgpr 52
		.amdhsa_reserve_vcc 1
		.amdhsa_reserve_flat_scratch 0
		.amdhsa_float_round_mode_32 0
		.amdhsa_float_round_mode_16_64 0
		.amdhsa_float_denorm_mode_32 3
		.amdhsa_float_denorm_mode_16_64 3
		.amdhsa_dx10_clamp 1
		.amdhsa_ieee_mode 1
		.amdhsa_fp16_overflow 0
		.amdhsa_workgroup_processor_mode 1
		.amdhsa_memory_ordered 1
		.amdhsa_forward_progress 1
		.amdhsa_shared_vgpr_count 0
		.amdhsa_exception_fp_ieee_invalid_op 0
		.amdhsa_exception_fp_denorm_src 0
		.amdhsa_exception_fp_ieee_div_zero 0
		.amdhsa_exception_fp_ieee_overflow 0
		.amdhsa_exception_fp_ieee_underflow 0
		.amdhsa_exception_fp_ieee_inexact 0
		.amdhsa_exception_int_div_zero 0
	.end_amdhsa_kernel
	.section	.text._ZN12_GLOBAL__N_135rocblas_gemm_batched_general_kernelI19rocblas_complex_numIdELi16ELi16ELi32ELi32ELi8ELi32ELi8ELi8ELi32ELc67ELc67EKPKS2_S5_KPS2_EEvlllT_PT11_llSA_llS8_PT12_llPT13_lli,"axG",@progbits,_ZN12_GLOBAL__N_135rocblas_gemm_batched_general_kernelI19rocblas_complex_numIdELi16ELi16ELi32ELi32ELi8ELi32ELi8ELi8ELi32ELc67ELc67EKPKS2_S5_KPS2_EEvlllT_PT11_llSA_llS8_PT12_llPT13_lli,comdat
.Lfunc_end285:
	.size	_ZN12_GLOBAL__N_135rocblas_gemm_batched_general_kernelI19rocblas_complex_numIdELi16ELi16ELi32ELi32ELi8ELi32ELi8ELi8ELi32ELc67ELc67EKPKS2_S5_KPS2_EEvlllT_PT11_llSA_llS8_PT12_llPT13_lli, .Lfunc_end285-_ZN12_GLOBAL__N_135rocblas_gemm_batched_general_kernelI19rocblas_complex_numIdELi16ELi16ELi32ELi32ELi8ELi32ELi8ELi8ELi32ELc67ELc67EKPKS2_S5_KPS2_EEvlllT_PT11_llSA_llS8_PT12_llPT13_lli
                                        ; -- End function
	.set _ZN12_GLOBAL__N_135rocblas_gemm_batched_general_kernelI19rocblas_complex_numIdELi16ELi16ELi32ELi32ELi8ELi32ELi8ELi8ELi32ELc67ELc67EKPKS2_S5_KPS2_EEvlllT_PT11_llSA_llS8_PT12_llPT13_lli.num_vgpr, 126
	.set _ZN12_GLOBAL__N_135rocblas_gemm_batched_general_kernelI19rocblas_complex_numIdELi16ELi16ELi32ELi32ELi8ELi32ELi8ELi8ELi32ELc67ELc67EKPKS2_S5_KPS2_EEvlllT_PT11_llSA_llS8_PT12_llPT13_lli.num_agpr, 0
	.set _ZN12_GLOBAL__N_135rocblas_gemm_batched_general_kernelI19rocblas_complex_numIdELi16ELi16ELi32ELi32ELi8ELi32ELi8ELi8ELi32ELc67ELc67EKPKS2_S5_KPS2_EEvlllT_PT11_llSA_llS8_PT12_llPT13_lli.numbered_sgpr, 52
	.set _ZN12_GLOBAL__N_135rocblas_gemm_batched_general_kernelI19rocblas_complex_numIdELi16ELi16ELi32ELi32ELi8ELi32ELi8ELi8ELi32ELc67ELc67EKPKS2_S5_KPS2_EEvlllT_PT11_llSA_llS8_PT12_llPT13_lli.num_named_barrier, 0
	.set _ZN12_GLOBAL__N_135rocblas_gemm_batched_general_kernelI19rocblas_complex_numIdELi16ELi16ELi32ELi32ELi8ELi32ELi8ELi8ELi32ELc67ELc67EKPKS2_S5_KPS2_EEvlllT_PT11_llSA_llS8_PT12_llPT13_lli.private_seg_size, 0
	.set _ZN12_GLOBAL__N_135rocblas_gemm_batched_general_kernelI19rocblas_complex_numIdELi16ELi16ELi32ELi32ELi8ELi32ELi8ELi8ELi32ELc67ELc67EKPKS2_S5_KPS2_EEvlllT_PT11_llSA_llS8_PT12_llPT13_lli.uses_vcc, 1
	.set _ZN12_GLOBAL__N_135rocblas_gemm_batched_general_kernelI19rocblas_complex_numIdELi16ELi16ELi32ELi32ELi8ELi32ELi8ELi8ELi32ELc67ELc67EKPKS2_S5_KPS2_EEvlllT_PT11_llSA_llS8_PT12_llPT13_lli.uses_flat_scratch, 0
	.set _ZN12_GLOBAL__N_135rocblas_gemm_batched_general_kernelI19rocblas_complex_numIdELi16ELi16ELi32ELi32ELi8ELi32ELi8ELi8ELi32ELc67ELc67EKPKS2_S5_KPS2_EEvlllT_PT11_llSA_llS8_PT12_llPT13_lli.has_dyn_sized_stack, 0
	.set _ZN12_GLOBAL__N_135rocblas_gemm_batched_general_kernelI19rocblas_complex_numIdELi16ELi16ELi32ELi32ELi8ELi32ELi8ELi8ELi32ELc67ELc67EKPKS2_S5_KPS2_EEvlllT_PT11_llSA_llS8_PT12_llPT13_lli.has_recursion, 0
	.set _ZN12_GLOBAL__N_135rocblas_gemm_batched_general_kernelI19rocblas_complex_numIdELi16ELi16ELi32ELi32ELi8ELi32ELi8ELi8ELi32ELc67ELc67EKPKS2_S5_KPS2_EEvlllT_PT11_llSA_llS8_PT12_llPT13_lli.has_indirect_call, 0
	.section	.AMDGPU.csdata,"",@progbits
; Kernel info:
; codeLenInByte = 4044
; TotalNumSgprs: 54
; NumVgprs: 126
; ScratchSize: 0
; MemoryBound: 1
; FloatMode: 240
; IeeeMode: 1
; LDSByteSize: 8192 bytes/workgroup (compile time only)
; SGPRBlocks: 0
; VGPRBlocks: 15
; NumSGPRsForWavesPerEU: 54
; NumVGPRsForWavesPerEU: 126
; Occupancy: 8
; WaveLimiterHint : 1
; COMPUTE_PGM_RSRC2:SCRATCH_EN: 0
; COMPUTE_PGM_RSRC2:USER_SGPR: 6
; COMPUTE_PGM_RSRC2:TRAP_HANDLER: 0
; COMPUTE_PGM_RSRC2:TGID_X_EN: 1
; COMPUTE_PGM_RSRC2:TGID_Y_EN: 1
; COMPUTE_PGM_RSRC2:TGID_Z_EN: 1
; COMPUTE_PGM_RSRC2:TIDIG_COMP_CNT: 1
	.section	.text._ZN12_GLOBAL__N_135rocblas_gemm_batched_general_kernelI19rocblas_complex_numIdELi16ELi16ELi32ELi32ELi8ELi32ELi8ELi8ELi32ELc67ELc78EKPKS2_S5_KPS2_EEvlllT_PT11_llSA_llS8_PT12_llPT13_lli,"axG",@progbits,_ZN12_GLOBAL__N_135rocblas_gemm_batched_general_kernelI19rocblas_complex_numIdELi16ELi16ELi32ELi32ELi8ELi32ELi8ELi8ELi32ELc67ELc78EKPKS2_S5_KPS2_EEvlllT_PT11_llSA_llS8_PT12_llPT13_lli,comdat
	.globl	_ZN12_GLOBAL__N_135rocblas_gemm_batched_general_kernelI19rocblas_complex_numIdELi16ELi16ELi32ELi32ELi8ELi32ELi8ELi8ELi32ELc67ELc78EKPKS2_S5_KPS2_EEvlllT_PT11_llSA_llS8_PT12_llPT13_lli ; -- Begin function _ZN12_GLOBAL__N_135rocblas_gemm_batched_general_kernelI19rocblas_complex_numIdELi16ELi16ELi32ELi32ELi8ELi32ELi8ELi8ELi32ELc67ELc78EKPKS2_S5_KPS2_EEvlllT_PT11_llSA_llS8_PT12_llPT13_lli
	.p2align	8
	.type	_ZN12_GLOBAL__N_135rocblas_gemm_batched_general_kernelI19rocblas_complex_numIdELi16ELi16ELi32ELi32ELi8ELi32ELi8ELi8ELi32ELc67ELc78EKPKS2_S5_KPS2_EEvlllT_PT11_llSA_llS8_PT12_llPT13_lli,@function
_ZN12_GLOBAL__N_135rocblas_gemm_batched_general_kernelI19rocblas_complex_numIdELi16ELi16ELi32ELi32ELi8ELi32ELi8ELi8ELi32ELc67ELc78EKPKS2_S5_KPS2_EEvlllT_PT11_llSA_llS8_PT12_llPT13_lli: ; @_ZN12_GLOBAL__N_135rocblas_gemm_batched_general_kernelI19rocblas_complex_numIdELi16ELi16ELi32ELi32ELi8ELi32ELi8ELi8ELi32ELc67ELc78EKPKS2_S5_KPS2_EEvlllT_PT11_llSA_llS8_PT12_llPT13_lli
; %bb.0:
	s_clause 0x2
	s_load_dwordx16 s[12:27], s[4:5], 0x40
	s_load_dwordx4 s[28:31], s[4:5], 0x80
	s_load_dwordx16 s[36:51], s[4:5], 0x0
	s_mov_b32 s9, 0
	s_load_dwordx2 s[2:3], s[4:5], 0x90
	s_lshl_b64 s[0:1], s[8:9], 3
	s_mov_b32 s10, s7
	v_mov_b32_e32 v2, 0
	s_waitcnt lgkmcnt(0)
	s_add_u32 s4, s22, s0
	s_addc_u32 s5, s23, s1
	s_add_u32 s8, s28, s0
	s_addc_u32 s9, s29, s1
	s_load_dwordx2 s[4:5], s[4:5], 0x0
	s_load_dwordx2 s[8:9], s[8:9], 0x0
	v_cmp_lt_i64_e64 s22, s[40:41], 1
	s_ashr_i32 s7, s6, 31
	s_ashr_i32 s11, s10, 31
	s_lshl_b64 s[6:7], s[6:7], 5
	s_lshl_b64 s[10:11], s[10:11], 5
	s_and_b32 vcc_lo, exec_lo, s22
	s_cbranch_vccnz .LBB286_9
; %bb.1:
	v_lshl_add_u32 v3, v1, 4, v0
	v_mov_b32_e32 v4, s7
	s_add_u32 s12, s12, s0
	s_addc_u32 s13, s13, s1
	v_and_b32_e32 v27, 7, v0
	v_lshrrev_b32_e32 v8, 3, v3
	v_and_b32_e32 v7, 31, v3
	v_lshrrev_b32_e32 v28, 5, v3
	s_add_u32 s0, s46, s0
	s_addc_u32 s1, s47, s1
	v_add_co_u32 v5, s22, v8, s10
	v_or_b32_e32 v3, s6, v7
	v_add_co_ci_u32_e64 v6, null, 0, s11, s22
	s_load_dwordx2 s[12:13], s[12:13], 0x0
	s_load_dwordx2 s[22:23], s[0:1], 0x0
	v_mul_lo_u32 v9, s15, v5
	v_cmp_gt_i64_e64 s0, s[36:37], v[3:4]
	v_mul_lo_u32 v10, s14, v6
	v_mad_u64_u32 v[3:4], null, s14, v5, 0
	v_add_co_u32 v12, s1, s6, v7
	v_lshlrev_b32_e32 v11, 4, v27
	v_add_co_ci_u32_e64 v13, null, s7, 0, s1
	v_lshlrev_b32_e32 v14, 4, v7
	v_add3_u32 v4, v4, v10, v9
	v_lshl_or_b32 v15, v8, 7, v11
	v_mul_lo_u32 v9, s49, v12
	v_mul_lo_u32 v10, s48, v13
	v_mad_u64_u32 v[7:8], null, s48, v12, 0
	v_lshlrev_b64 v[3:4], 4, v[3:4]
	s_lshl_b64 s[14:15], s[16:17], 4
	v_cmp_gt_i64_e32 vcc_lo, s[38:39], v[5:6]
	v_lshl_or_b32 v29, v28, 9, v14
	v_add_nc_u32_e32 v30, 0x1000, v15
	v_mov_b32_e32 v13, 0
	v_add3_u32 v8, v8, v10, v9
	v_add_co_u32 v5, s1, v3, s14
	v_add_co_ci_u32_e64 v6, null, s15, v4, s1
	v_lshlrev_b64 v[3:4], 4, v[7:8]
	v_add_co_u32 v5, s1, v5, v11
	s_lshl_b64 s[14:15], s[50:51], 4
	v_add_co_ci_u32_e64 v6, null, 0, v6, s1
	v_add_co_u32 v3, s1, v3, s14
	v_lshlrev_b32_e32 v7, 4, v28
	v_add_co_ci_u32_e64 v4, null, s15, v4, s1
	s_waitcnt lgkmcnt(0)
	v_add_co_u32 v23, s1, s12, v5
	v_add_co_ci_u32_e64 v24, null, s13, v6, s1
	v_add_co_u32 v3, s1, v3, v7
	v_add_co_ci_u32_e64 v4, null, 0, v4, s1
	v_mov_b32_e32 v9, 0
	v_add_co_u32 v25, s1, s22, v3
	v_mov_b32_e32 v7, 0
	v_mov_b32_e32 v11, 0
	;; [unrolled: 1-line block ×6, first 2 shown]
	v_lshlrev_b32_e32 v31, 4, v0
	v_lshl_add_u32 v32, v1, 7, 0x1000
	v_mov_b32_e32 v10, 0
	v_mov_b32_e32 v8, 0
	;; [unrolled: 1-line block ×8, first 2 shown]
	v_add_co_ci_u32_e64 v26, null, s23, v4, s1
	s_mov_b64 s[12:13], 0
	s_xor_b32 s1, vcc_lo, -1
	s_branch .LBB286_3
.LBB286_2:                              ;   in Loop: Header=BB286_3 Depth=1
	s_or_b32 exec_lo, exec_lo, s14
	s_waitcnt lgkmcnt(0)
	s_barrier
	buffer_gl0_inv
	ds_read_b128 v[3:6], v32
	ds_read_b128 v[33:36], v31
	ds_read_b128 v[37:40], v31 offset:256
	ds_read_b128 v[41:44], v32 offset:2048
	;; [unrolled: 1-line block ×12, first 2 shown]
	s_add_u32 s12, s12, 8
	s_addc_u32 s13, s13, 0
	v_add_co_u32 v23, vcc_lo, 0x80, v23
	v_cmp_lt_i64_e64 s14, s[12:13], s[40:41]
	v_add_co_ci_u32_e64 v24, null, 0, v24, vcc_lo
	s_waitcnt lgkmcnt(12)
	v_mul_f64 v[85:86], v[5:6], v[35:36]
	v_mul_f64 v[87:88], v[3:4], v[35:36]
	s_waitcnt lgkmcnt(11)
	v_mul_f64 v[89:90], v[5:6], v[39:40]
	v_mul_f64 v[91:92], v[3:4], v[39:40]
	s_waitcnt lgkmcnt(10)
	v_mul_f64 v[93:94], v[43:44], v[35:36]
	v_mul_f64 v[35:36], v[41:42], v[35:36]
	v_mul_f64 v[95:96], v[43:44], v[39:40]
	v_mul_f64 v[39:40], v[41:42], v[39:40]
	s_waitcnt lgkmcnt(8)
	v_mul_f64 v[97:98], v[47:48], v[51:52]
	v_mul_f64 v[99:100], v[45:46], v[51:52]
	s_waitcnt lgkmcnt(7)
	;; [unrolled: 3-line block ×3, first 2 shown]
	v_mul_f64 v[105:106], v[59:60], v[51:52]
	v_mul_f64 v[51:52], v[57:58], v[51:52]
	v_mul_f64 v[107:108], v[59:60], v[55:56]
	v_mul_f64 v[55:56], v[57:58], v[55:56]
	s_waitcnt lgkmcnt(4)
	v_mul_f64 v[109:110], v[63:64], v[67:68]
	v_mul_f64 v[111:112], v[61:62], v[67:68]
	s_waitcnt lgkmcnt(3)
	v_mul_f64 v[113:114], v[63:64], v[71:72]
	v_mul_f64 v[115:116], v[61:62], v[71:72]
	;; [unrolled: 3-line block ×3, first 2 shown]
	v_fma_f64 v[85:86], v[3:4], v[33:34], -v[85:86]
	v_fma_f64 v[87:88], v[5:6], v[33:34], v[87:88]
	v_fma_f64 v[89:90], v[3:4], v[37:38], -v[89:90]
	v_fma_f64 v[91:92], v[5:6], v[37:38], v[91:92]
	;; [unrolled: 2-line block ×4, first 2 shown]
	v_mul_f64 v[123:124], v[75:76], v[71:72]
	v_mul_f64 v[71:72], v[73:74], v[71:72]
	ds_read_b128 v[3:6], v31 offset:1536
	ds_read_b128 v[33:36], v31 offset:1792
	v_fma_f64 v[97:98], v[45:46], v[49:50], -v[97:98]
	v_fma_f64 v[99:100], v[47:48], v[49:50], v[99:100]
	v_fma_f64 v[101:102], v[45:46], v[53:54], -v[101:102]
	v_fma_f64 v[103:104], v[47:48], v[53:54], v[103:104]
	v_fma_f64 v[105:106], v[57:58], v[49:50], -v[105:106]
	v_fma_f64 v[125:126], v[59:60], v[49:50], v[51:52]
	v_fma_f64 v[57:58], v[57:58], v[53:54], -v[107:108]
	v_fma_f64 v[53:54], v[59:60], v[53:54], v[55:56]
	v_fma_f64 v[55:56], v[61:62], v[65:66], -v[109:110]
	v_fma_f64 v[59:60], v[63:64], v[65:66], v[111:112]
	v_fma_f64 v[61:62], v[61:62], v[69:70], -v[113:114]
	v_fma_f64 v[63:64], v[63:64], v[69:70], v[115:116]
	v_fma_f64 v[107:108], v[73:74], v[65:66], -v[117:118]
	v_fma_f64 v[65:66], v[75:76], v[65:66], v[67:68]
	v_add_f64 v[19:20], v[19:20], v[85:86]
	v_add_f64 v[21:22], v[87:88], v[21:22]
	v_add_f64 v[15:16], v[15:16], v[89:90]
	v_add_f64 v[17:18], v[91:92], v[17:18]
	s_waitcnt lgkmcnt(1)
	v_mul_f64 v[109:110], v[79:80], v[5:6]
	s_waitcnt lgkmcnt(0)
	v_mul_f64 v[67:68], v[79:80], v[35:36]
	v_fma_f64 v[73:74], v[73:74], v[69:70], -v[123:124]
	v_fma_f64 v[69:70], v[75:76], v[69:70], v[71:72]
	v_add_f64 v[71:72], v[11:12], v[93:94]
	v_add_f64 v[13:14], v[119:120], v[13:14]
	;; [unrolled: 1-line block ×4, first 2 shown]
	ds_read_b128 v[37:40], v32 offset:64
	ds_read_b128 v[41:44], v31 offset:2048
	;; [unrolled: 1-line block ×3, first 2 shown]
	v_mul_f64 v[111:112], v[77:78], v[5:6]
	v_mul_f64 v[113:114], v[77:78], v[35:36]
	;; [unrolled: 1-line block ×6, first 2 shown]
	ds_read_b128 v[49:52], v32 offset:2112
	ds_read_b128 v[9:12], v32 offset:2128
	v_add_f64 v[97:98], v[19:20], v[97:98]
	v_add_f64 v[21:22], v[99:100], v[21:22]
	;; [unrolled: 1-line block ×4, first 2 shown]
	v_fma_f64 v[89:90], v[77:78], v[3:4], -v[109:110]
	v_fma_f64 v[67:68], v[77:78], v[33:34], -v[67:68]
	ds_read_b128 v[5:8], v32 offset:80
	ds_read_b128 v[17:20], v31 offset:2816
	v_add_f64 v[71:72], v[71:72], v[105:106]
	v_add_f64 v[103:104], v[125:126], v[13:14]
	s_waitcnt lgkmcnt(5)
	v_mul_f64 v[77:78], v[39:40], v[43:44]
	v_mul_f64 v[93:94], v[37:38], v[43:44]
	v_add_f64 v[57:58], v[75:76], v[57:58]
	v_add_f64 v[53:54], v[53:54], v[85:86]
	ds_read_b128 v[13:16], v31 offset:2560
	s_waitcnt lgkmcnt(5)
	v_mul_f64 v[95:96], v[39:40], v[47:48]
	v_mul_f64 v[109:110], v[37:38], v[47:48]
	v_fma_f64 v[91:92], v[79:80], v[3:4], v[111:112]
	v_fma_f64 v[79:80], v[79:80], v[33:34], v[113:114]
	s_waitcnt lgkmcnt(4)
	v_mul_f64 v[111:112], v[51:52], v[43:44]
	v_mul_f64 v[43:44], v[49:50], v[43:44]
	v_fma_f64 v[75:76], v[81:82], v[3:4], -v[115:116]
	v_fma_f64 v[3:4], v[83:84], v[3:4], v[117:118]
	v_fma_f64 v[81:82], v[81:82], v[33:34], -v[87:88]
	v_fma_f64 v[83:84], v[83:84], v[33:34], v[35:36]
	v_add_f64 v[55:56], v[97:98], v[55:56]
	v_add_f64 v[59:60], v[59:60], v[21:22]
	;; [unrolled: 1-line block ×4, first 2 shown]
	s_waitcnt lgkmcnt(1)
	v_mul_f64 v[97:98], v[7:8], v[19:20]
	v_add_f64 v[71:72], v[71:72], v[107:108]
	v_add_f64 v[65:66], v[65:66], v[103:104]
	v_fma_f64 v[77:78], v[37:38], v[41:42], -v[77:78]
	v_fma_f64 v[85:86], v[39:40], v[41:42], v[93:94]
	v_add_f64 v[57:58], v[57:58], v[73:74]
	v_add_f64 v[53:54], v[69:70], v[53:54]
	s_waitcnt lgkmcnt(0)
	v_mul_f64 v[69:70], v[7:8], v[15:16]
	v_fma_f64 v[87:88], v[37:38], v[45:46], -v[95:96]
	v_fma_f64 v[93:94], v[39:40], v[45:46], v[109:110]
	v_mul_f64 v[37:38], v[51:52], v[47:48]
	v_mul_f64 v[39:40], v[49:50], v[47:48]
	v_fma_f64 v[47:48], v[49:50], v[41:42], -v[111:112]
	v_fma_f64 v[95:96], v[51:52], v[41:42], v[43:44]
	v_mul_f64 v[73:74], v[5:6], v[15:16]
	v_mul_f64 v[99:100], v[5:6], v[19:20]
	;; [unrolled: 1-line block ×6, first 2 shown]
	ds_read_b128 v[19:22], v32 offset:96
	ds_read_b128 v[33:36], v31 offset:3072
	v_add_co_u32 v25, vcc_lo, 0x80, v25
	v_add_co_ci_u32_e64 v26, null, 0, v26, vcc_lo
	v_add_f64 v[65:66], v[3:4], v[65:66]
	s_and_b32 vcc_lo, exec_lo, s14
	v_add_f64 v[57:58], v[57:58], v[81:82]
	v_add_f64 v[53:54], v[83:84], v[53:54]
	v_fma_f64 v[49:50], v[49:50], v[45:46], -v[37:38]
	v_fma_f64 v[45:46], v[51:52], v[45:46], v[39:40]
	v_add_f64 v[51:52], v[55:56], v[89:90]
	v_add_f64 v[55:56], v[91:92], v[59:60]
	v_add_f64 v[59:60], v[61:62], v[67:68]
	v_add_f64 v[61:62], v[79:80], v[63:64]
	v_add_f64 v[63:64], v[71:72], v[75:76]
	ds_read_b128 v[37:40], v31 offset:3328
	ds_read_b128 v[41:44], v32 offset:2144
	v_fma_f64 v[67:68], v[5:6], v[13:14], -v[69:70]
	v_fma_f64 v[69:70], v[7:8], v[13:14], v[73:74]
	v_fma_f64 v[71:72], v[5:6], v[17:18], -v[97:98]
	v_fma_f64 v[73:74], v[7:8], v[17:18], v[99:100]
	;; [unrolled: 2-line block ×3, first 2 shown]
	v_fma_f64 v[81:82], v[9:10], v[17:18], -v[103:104]
	s_waitcnt lgkmcnt(2)
	v_mul_f64 v[83:84], v[21:22], v[35:36]
	v_fma_f64 v[89:90], v[11:12], v[17:18], v[105:106]
	v_mul_f64 v[91:92], v[19:20], v[35:36]
	ds_read_b128 v[3:6], v32 offset:112
	ds_read_b128 v[7:10], v32 offset:2160
	;; [unrolled: 1-line block ×4, first 2 shown]
	s_waitcnt lgkmcnt(0)
	v_add_f64 v[49:50], v[57:58], v[49:50]
	v_add_f64 v[45:46], v[45:46], v[53:54]
	v_add_f64 v[51:52], v[51:52], v[77:78]
	v_add_f64 v[55:56], v[85:86], v[55:56]
	v_mul_f64 v[97:98], v[21:22], v[39:40]
	v_mul_f64 v[99:100], v[19:20], v[39:40]
	;; [unrolled: 1-line block ×4, first 2 shown]
	v_add_f64 v[59:60], v[59:60], v[87:88]
	v_add_f64 v[61:62], v[93:94], v[61:62]
	;; [unrolled: 1-line block ×4, first 2 shown]
	v_mul_f64 v[53:54], v[43:44], v[39:40]
	v_mul_f64 v[39:40], v[41:42], v[39:40]
	s_barrier
	v_fma_f64 v[57:58], v[19:20], v[33:34], -v[83:84]
	buffer_gl0_inv
	v_fma_f64 v[65:66], v[21:22], v[33:34], v[91:92]
	v_add_f64 v[49:50], v[49:50], v[81:82]
	v_add_f64 v[45:46], v[89:90], v[45:46]
	v_fma_f64 v[19:20], v[19:20], v[37:38], -v[97:98]
	v_fma_f64 v[21:22], v[21:22], v[37:38], v[99:100]
	v_fma_f64 v[77:78], v[41:42], v[33:34], -v[101:102]
	v_fma_f64 v[33:34], v[43:44], v[33:34], v[35:36]
	v_add_f64 v[35:36], v[51:52], v[67:68]
	v_add_f64 v[51:52], v[69:70], v[55:56]
	v_add_f64 v[55:56], v[59:60], v[71:72]
	v_add_f64 v[59:60], v[73:74], v[61:62]
	v_add_f64 v[47:48], v[47:48], v[75:76]
	v_add_f64 v[61:62], v[79:80], v[63:64]
	v_fma_f64 v[41:42], v[41:42], v[37:38], -v[53:54]
	v_fma_f64 v[37:38], v[43:44], v[37:38], v[39:40]
	v_mul_f64 v[39:40], v[5:6], v[13:14]
	v_mul_f64 v[43:44], v[3:4], v[13:14]
	;; [unrolled: 1-line block ×8, first 2 shown]
	v_add_f64 v[35:36], v[35:36], v[57:58]
	v_add_f64 v[51:52], v[65:66], v[51:52]
	;; [unrolled: 1-line block ×8, first 2 shown]
	v_fma_f64 v[19:20], v[3:4], v[11:12], -v[39:40]
	v_fma_f64 v[21:22], v[5:6], v[11:12], v[43:44]
	v_fma_f64 v[3:4], v[3:4], v[15:16], -v[53:54]
	v_fma_f64 v[5:6], v[5:6], v[15:16], v[63:64]
	;; [unrolled: 2-line block ×4, first 2 shown]
	v_add_f64 v[19:20], v[35:36], v[19:20]
	v_add_f64 v[21:22], v[21:22], v[51:52]
	v_add_f64 v[15:16], v[55:56], v[3:4]
	v_add_f64 v[17:18], v[5:6], v[57:58]
	v_add_f64 v[11:12], v[47:48], v[39:40]
	v_add_f64 v[13:14], v[13:14], v[33:34]
	v_add_f64 v[7:8], v[41:42], v[7:8]
	v_add_f64 v[9:10], v[9:10], v[37:38]
	s_cbranch_vccz .LBB286_10
.LBB286_3:                              ; =>This Inner Loop Header: Depth=1
	v_add_co_u32 v3, s14, v28, s12
	v_add_co_ci_u32_e64 v4, null, 0, s13, s14
	v_mov_b32_e32 v5, 0
	v_mov_b32_e32 v6, 0
	v_cmp_gt_i64_e32 vcc_lo, s[40:41], v[3:4]
	v_mov_b32_e32 v3, 0
	v_mov_b32_e32 v4, 0
	s_and_b32 s15, s0, vcc_lo
	s_and_saveexec_b32 s14, s15
	s_cbranch_execz .LBB286_5
; %bb.4:                                ;   in Loop: Header=BB286_3 Depth=1
	flat_load_dwordx4 v[3:6], v[25:26]
	s_waitcnt vmcnt(0) lgkmcnt(0)
	v_xor_b32_e32 v6, 0x80000000, v6
.LBB286_5:                              ;   in Loop: Header=BB286_3 Depth=1
	s_or_b32 exec_lo, exec_lo, s14
	v_add_co_u32 v33, s14, v27, s12
	v_add_co_ci_u32_e64 v34, null, 0, s13, s14
	ds_write_b128 v29, v[3:6]
	v_cmp_le_i64_e32 vcc_lo, s[40:41], v[33:34]
	s_or_b32 s14, vcc_lo, s1
	s_and_saveexec_b32 s15, s14
	s_xor_b32 s14, exec_lo, s15
	s_cbranch_execz .LBB286_7
; %bb.6:                                ;   in Loop: Header=BB286_3 Depth=1
	v_mov_b32_e32 v3, v2
	v_mov_b32_e32 v4, v2
	;; [unrolled: 1-line block ×3, first 2 shown]
	ds_write_b128 v30, v[2:5]
.LBB286_7:                              ;   in Loop: Header=BB286_3 Depth=1
	s_andn2_saveexec_b32 s14, s14
	s_cbranch_execz .LBB286_2
; %bb.8:                                ;   in Loop: Header=BB286_3 Depth=1
	flat_load_dwordx4 v[3:6], v[23:24]
	s_waitcnt vmcnt(0) lgkmcnt(0)
	ds_write2_b64 v30, v[3:4], v[5:6] offset1:1
	s_branch .LBB286_2
.LBB286_9:
	v_mov_b32_e32 v19, 0
	v_mov_b32_e32 v21, 0
	;; [unrolled: 1-line block ×16, first 2 shown]
.LBB286_10:
	v_cmp_neq_f64_e64 s12, s[18:19], 0
	v_cmp_neq_f64_e64 s13, s[20:21], 0
	s_lshl_b64 s[0:1], s[2:3], 4
	v_add_co_u32 v1, s2, s10, v1
	v_add_co_ci_u32_e64 v2, null, s11, 0, s2
	s_waitcnt lgkmcnt(0)
	s_add_u32 s3, s8, s0
	s_addc_u32 s8, s9, s1
	v_cmp_gt_i64_e64 s0, s[38:39], v[1:2]
	s_or_b32 s1, s12, s13
	s_and_b32 vcc_lo, exec_lo, s1
	s_mov_b32 s1, -1
	s_cbranch_vccnz .LBB286_22
; %bb.11:
	s_and_saveexec_b32 s9, s0
	s_cbranch_execz .LBB286_21
; %bb.12:
	v_mul_lo_u32 v5, v2, s30
	v_mul_lo_u32 v6, v1, s31
	v_mad_u64_u32 v[3:4], null, v1, s30, 0
	v_add3_u32 v4, v4, v6, v5
	v_add_co_u32 v5, s1, s6, v0
	v_add_co_ci_u32_e64 v6, null, s7, 0, s1
	v_lshlrev_b64 v[23:24], 4, v[3:4]
	v_cmp_gt_i64_e32 vcc_lo, s[36:37], v[5:6]
	v_lshlrev_b64 v[3:4], 4, v[5:6]
	v_add_co_u32 v23, s1, s3, v23
	v_add_co_ci_u32_e64 v24, null, s8, v24, s1
	s_and_saveexec_b32 s2, vcc_lo
	s_cbranch_execz .LBB286_14
; %bb.13:
	v_mul_f64 v[25:26], s[44:45], v[21:22]
	v_mul_f64 v[27:28], s[42:43], v[21:22]
	v_add_co_u32 v29, s1, v23, v3
	v_add_co_ci_u32_e64 v30, null, v24, v4, s1
	v_fma_f64 v[25:26], s[42:43], v[19:20], -v[25:26]
	v_fma_f64 v[27:28], s[44:45], v[19:20], v[27:28]
	flat_store_dwordx4 v[29:30], v[25:28]
.LBB286_14:
	s_or_b32 exec_lo, exec_lo, s2
	v_add_co_u32 v5, s1, v5, 16
	v_add_co_ci_u32_e64 v6, null, 0, v6, s1
	v_cmp_gt_i64_e64 s1, s[36:37], v[5:6]
	s_and_saveexec_b32 s10, s1
	s_cbranch_execz .LBB286_16
; %bb.15:
	v_mul_f64 v[5:6], s[44:45], v[17:18]
	v_mul_f64 v[27:28], s[42:43], v[17:18]
	v_fma_f64 v[25:26], s[42:43], v[15:16], -v[5:6]
	v_fma_f64 v[27:28], s[44:45], v[15:16], v[27:28]
	v_add_co_u32 v5, s2, v23, v3
	v_add_co_ci_u32_e64 v6, null, v24, v4, s2
	flat_store_dwordx4 v[5:6], v[25:28] offset:256
.LBB286_16:
	s_or_b32 exec_lo, exec_lo, s10
	v_add_co_u32 v5, s2, v1, 16
	v_add_co_ci_u32_e64 v6, null, 0, v2, s2
	v_cmp_gt_i64_e64 s2, s[38:39], v[5:6]
	s_and_b32 exec_lo, exec_lo, s2
	s_cbranch_execz .LBB286_21
; %bb.17:
	s_lshl_b64 s[10:11], s[30:31], 8
	v_add_co_u32 v5, s2, v23, s10
	v_add_co_ci_u32_e64 v6, null, s11, v24, s2
	v_add_co_u32 v3, s2, v5, v3
	v_add_co_ci_u32_e64 v4, null, v6, v4, s2
	s_and_saveexec_b32 s2, vcc_lo
	s_cbranch_execz .LBB286_19
; %bb.18:
	v_mul_f64 v[5:6], s[44:45], v[13:14]
	v_mul_f64 v[25:26], s[42:43], v[13:14]
	v_fma_f64 v[23:24], s[42:43], v[11:12], -v[5:6]
	v_fma_f64 v[25:26], s[44:45], v[11:12], v[25:26]
	flat_store_dwordx4 v[3:4], v[23:26]
.LBB286_19:
	s_or_b32 exec_lo, exec_lo, s2
	s_and_b32 exec_lo, exec_lo, s1
	s_cbranch_execz .LBB286_21
; %bb.20:
	v_mul_f64 v[5:6], s[44:45], v[9:10]
	v_mul_f64 v[25:26], s[42:43], v[9:10]
	v_fma_f64 v[23:24], s[42:43], v[7:8], -v[5:6]
	v_fma_f64 v[25:26], s[44:45], v[7:8], v[25:26]
	flat_store_dwordx4 v[3:4], v[23:26] offset:256
.LBB286_21:
	s_or_b32 exec_lo, exec_lo, s9
	s_mov_b32 s1, 0
.LBB286_22:
	s_andn2_b32 vcc_lo, exec_lo, s1
	s_cbranch_vccnz .LBB286_33
; %bb.23:
	s_and_saveexec_b32 s1, s0
	s_cbranch_execz .LBB286_33
; %bb.24:
	v_mul_lo_u32 v5, v2, s24
	v_mul_lo_u32 v6, v1, s25
	v_mad_u64_u32 v[3:4], null, v1, s24, 0
	v_mul_lo_u32 v25, v2, s30
	v_mul_lo_u32 v26, v1, s31
	v_mad_u64_u32 v[23:24], null, v1, s30, 0
	s_lshl_b64 s[0:1], s[26:27], 4
	v_add3_u32 v4, v4, v6, v5
	v_add_co_u32 v5, s2, s6, v0
	v_add_co_ci_u32_e64 v6, null, s7, 0, s2
	v_add3_u32 v24, v24, v26, v25
	v_lshlrev_b64 v[3:4], 4, v[3:4]
	s_add_u32 s0, s4, s0
	s_addc_u32 s1, s5, s1
	v_cmp_gt_i64_e32 vcc_lo, s[36:37], v[5:6]
	v_lshlrev_b64 v[24:25], 4, v[23:24]
	v_add_co_u32 v0, s0, s0, v3
	v_add_co_ci_u32_e64 v23, null, s1, v4, s0
	v_add_co_u32 v24, s0, s3, v24
	v_lshlrev_b64 v[3:4], 4, v[5:6]
	v_add_co_ci_u32_e64 v25, null, s8, v25, s0
	s_and_saveexec_b32 s1, vcc_lo
	s_cbranch_execz .LBB286_26
; %bb.25:
	v_add_co_u32 v26, s0, v0, v3
	v_add_co_ci_u32_e64 v27, null, v23, v4, s0
	v_mul_f64 v[30:31], s[44:45], v[21:22]
	v_mul_f64 v[21:22], s[42:43], v[21:22]
	flat_load_dwordx4 v[26:29], v[26:27]
	v_fma_f64 v[30:31], s[42:43], v[19:20], -v[30:31]
	v_fma_f64 v[21:22], s[44:45], v[19:20], v[21:22]
	s_waitcnt vmcnt(0) lgkmcnt(0)
	v_mul_f64 v[32:33], s[20:21], v[28:29]
	v_mul_f64 v[28:29], s[18:19], v[28:29]
	v_fma_f64 v[19:20], s[18:19], v[26:27], -v[32:33]
	v_fma_f64 v[26:27], s[20:21], v[26:27], v[28:29]
	v_add_f64 v[19:20], v[30:31], v[19:20]
	v_add_f64 v[21:22], v[21:22], v[26:27]
	v_add_co_u32 v26, s0, v24, v3
	v_add_co_ci_u32_e64 v27, null, v25, v4, s0
	flat_store_dwordx4 v[26:27], v[19:22]
.LBB286_26:
	s_or_b32 exec_lo, exec_lo, s1
	v_add_co_u32 v5, s0, v5, 16
	v_add_co_ci_u32_e64 v6, null, 0, v6, s0
	v_cmp_gt_i64_e64 s0, s[36:37], v[5:6]
	s_and_saveexec_b32 s2, s0
	s_cbranch_execz .LBB286_28
; %bb.27:
	v_add_co_u32 v5, s1, v0, v3
	v_add_co_ci_u32_e64 v6, null, v23, v4, s1
	flat_load_dwordx4 v[19:22], v[5:6] offset:256
	v_mul_f64 v[5:6], s[44:45], v[17:18]
	v_mul_f64 v[17:18], s[42:43], v[17:18]
	v_fma_f64 v[5:6], s[42:43], v[15:16], -v[5:6]
	v_fma_f64 v[17:18], s[44:45], v[15:16], v[17:18]
	s_waitcnt vmcnt(0) lgkmcnt(0)
	v_mul_f64 v[26:27], s[20:21], v[21:22]
	v_mul_f64 v[21:22], s[18:19], v[21:22]
	v_fma_f64 v[15:16], s[18:19], v[19:20], -v[26:27]
	v_fma_f64 v[19:20], s[20:21], v[19:20], v[21:22]
	v_add_f64 v[15:16], v[5:6], v[15:16]
	v_add_f64 v[17:18], v[17:18], v[19:20]
	v_add_co_u32 v5, s1, v24, v3
	v_add_co_ci_u32_e64 v6, null, v25, v4, s1
	flat_store_dwordx4 v[5:6], v[15:18] offset:256
.LBB286_28:
	s_or_b32 exec_lo, exec_lo, s2
	v_add_co_u32 v1, s1, v1, 16
	v_add_co_ci_u32_e64 v2, null, 0, v2, s1
	v_cmp_gt_i64_e64 s1, s[38:39], v[1:2]
	s_and_b32 exec_lo, exec_lo, s1
	s_cbranch_execz .LBB286_33
; %bb.29:
	s_lshl_b64 s[2:3], s[24:25], 8
	v_add_co_u32 v0, s1, v0, s2
	v_add_co_ci_u32_e64 v1, null, s3, v23, s1
	s_lshl_b64 s[2:3], s[30:31], 8
	v_add_co_u32 v2, s1, v24, s2
	v_add_co_ci_u32_e64 v15, null, s3, v25, s1
	v_add_co_u32 v5, s1, v0, v3
	v_add_co_ci_u32_e64 v6, null, v1, v4, s1
	;; [unrolled: 2-line block ×3, first 2 shown]
	s_and_saveexec_b32 s1, vcc_lo
	s_cbranch_execz .LBB286_31
; %bb.30:
	flat_load_dwordx4 v[15:18], v[5:6]
	v_mul_f64 v[2:3], s[44:45], v[13:14]
	v_mul_f64 v[13:14], s[42:43], v[13:14]
	v_fma_f64 v[2:3], s[42:43], v[11:12], -v[2:3]
	v_fma_f64 v[13:14], s[44:45], v[11:12], v[13:14]
	s_waitcnt vmcnt(0) lgkmcnt(0)
	v_mul_f64 v[19:20], s[20:21], v[17:18]
	v_mul_f64 v[17:18], s[18:19], v[17:18]
	v_fma_f64 v[11:12], s[18:19], v[15:16], -v[19:20]
	v_fma_f64 v[15:16], s[20:21], v[15:16], v[17:18]
	v_add_f64 v[11:12], v[2:3], v[11:12]
	v_add_f64 v[13:14], v[13:14], v[15:16]
	flat_store_dwordx4 v[0:1], v[11:14]
.LBB286_31:
	s_or_b32 exec_lo, exec_lo, s1
	s_and_b32 exec_lo, exec_lo, s0
	s_cbranch_execz .LBB286_33
; %bb.32:
	flat_load_dwordx4 v[2:5], v[5:6] offset:256
	v_mul_f64 v[11:12], s[44:45], v[9:10]
	v_mul_f64 v[9:10], s[42:43], v[9:10]
	v_fma_f64 v[11:12], s[42:43], v[7:8], -v[11:12]
	v_fma_f64 v[6:7], s[44:45], v[7:8], v[9:10]
	s_waitcnt vmcnt(0) lgkmcnt(0)
	v_mul_f64 v[13:14], s[20:21], v[4:5]
	v_mul_f64 v[4:5], s[18:19], v[4:5]
	v_fma_f64 v[8:9], s[18:19], v[2:3], -v[13:14]
	v_fma_f64 v[4:5], s[20:21], v[2:3], v[4:5]
	v_add_f64 v[2:3], v[11:12], v[8:9]
	v_add_f64 v[4:5], v[6:7], v[4:5]
	flat_store_dwordx4 v[0:1], v[2:5] offset:256
.LBB286_33:
	s_endpgm
	.section	.rodata,"a",@progbits
	.p2align	6, 0x0
	.amdhsa_kernel _ZN12_GLOBAL__N_135rocblas_gemm_batched_general_kernelI19rocblas_complex_numIdELi16ELi16ELi32ELi32ELi8ELi32ELi8ELi8ELi32ELc67ELc78EKPKS2_S5_KPS2_EEvlllT_PT11_llSA_llS8_PT12_llPT13_lli
		.amdhsa_group_segment_fixed_size 8192
		.amdhsa_private_segment_fixed_size 0
		.amdhsa_kernarg_size 156
		.amdhsa_user_sgpr_count 6
		.amdhsa_user_sgpr_private_segment_buffer 1
		.amdhsa_user_sgpr_dispatch_ptr 0
		.amdhsa_user_sgpr_queue_ptr 0
		.amdhsa_user_sgpr_kernarg_segment_ptr 1
		.amdhsa_user_sgpr_dispatch_id 0
		.amdhsa_user_sgpr_flat_scratch_init 0
		.amdhsa_user_sgpr_private_segment_size 0
		.amdhsa_wavefront_size32 1
		.amdhsa_uses_dynamic_stack 0
		.amdhsa_system_sgpr_private_segment_wavefront_offset 0
		.amdhsa_system_sgpr_workgroup_id_x 1
		.amdhsa_system_sgpr_workgroup_id_y 1
		.amdhsa_system_sgpr_workgroup_id_z 1
		.amdhsa_system_sgpr_workgroup_info 0
		.amdhsa_system_vgpr_workitem_id 1
		.amdhsa_next_free_vgpr 127
		.amdhsa_next_free_sgpr 52
		.amdhsa_reserve_vcc 1
		.amdhsa_reserve_flat_scratch 0
		.amdhsa_float_round_mode_32 0
		.amdhsa_float_round_mode_16_64 0
		.amdhsa_float_denorm_mode_32 3
		.amdhsa_float_denorm_mode_16_64 3
		.amdhsa_dx10_clamp 1
		.amdhsa_ieee_mode 1
		.amdhsa_fp16_overflow 0
		.amdhsa_workgroup_processor_mode 1
		.amdhsa_memory_ordered 1
		.amdhsa_forward_progress 1
		.amdhsa_shared_vgpr_count 0
		.amdhsa_exception_fp_ieee_invalid_op 0
		.amdhsa_exception_fp_denorm_src 0
		.amdhsa_exception_fp_ieee_div_zero 0
		.amdhsa_exception_fp_ieee_overflow 0
		.amdhsa_exception_fp_ieee_underflow 0
		.amdhsa_exception_fp_ieee_inexact 0
		.amdhsa_exception_int_div_zero 0
	.end_amdhsa_kernel
	.section	.text._ZN12_GLOBAL__N_135rocblas_gemm_batched_general_kernelI19rocblas_complex_numIdELi16ELi16ELi32ELi32ELi8ELi32ELi8ELi8ELi32ELc67ELc78EKPKS2_S5_KPS2_EEvlllT_PT11_llSA_llS8_PT12_llPT13_lli,"axG",@progbits,_ZN12_GLOBAL__N_135rocblas_gemm_batched_general_kernelI19rocblas_complex_numIdELi16ELi16ELi32ELi32ELi8ELi32ELi8ELi8ELi32ELc67ELc78EKPKS2_S5_KPS2_EEvlllT_PT11_llSA_llS8_PT12_llPT13_lli,comdat
.Lfunc_end286:
	.size	_ZN12_GLOBAL__N_135rocblas_gemm_batched_general_kernelI19rocblas_complex_numIdELi16ELi16ELi32ELi32ELi8ELi32ELi8ELi8ELi32ELc67ELc78EKPKS2_S5_KPS2_EEvlllT_PT11_llSA_llS8_PT12_llPT13_lli, .Lfunc_end286-_ZN12_GLOBAL__N_135rocblas_gemm_batched_general_kernelI19rocblas_complex_numIdELi16ELi16ELi32ELi32ELi8ELi32ELi8ELi8ELi32ELc67ELc78EKPKS2_S5_KPS2_EEvlllT_PT11_llSA_llS8_PT12_llPT13_lli
                                        ; -- End function
	.set _ZN12_GLOBAL__N_135rocblas_gemm_batched_general_kernelI19rocblas_complex_numIdELi16ELi16ELi32ELi32ELi8ELi32ELi8ELi8ELi32ELc67ELc78EKPKS2_S5_KPS2_EEvlllT_PT11_llSA_llS8_PT12_llPT13_lli.num_vgpr, 127
	.set _ZN12_GLOBAL__N_135rocblas_gemm_batched_general_kernelI19rocblas_complex_numIdELi16ELi16ELi32ELi32ELi8ELi32ELi8ELi8ELi32ELc67ELc78EKPKS2_S5_KPS2_EEvlllT_PT11_llSA_llS8_PT12_llPT13_lli.num_agpr, 0
	.set _ZN12_GLOBAL__N_135rocblas_gemm_batched_general_kernelI19rocblas_complex_numIdELi16ELi16ELi32ELi32ELi8ELi32ELi8ELi8ELi32ELc67ELc78EKPKS2_S5_KPS2_EEvlllT_PT11_llSA_llS8_PT12_llPT13_lli.numbered_sgpr, 52
	.set _ZN12_GLOBAL__N_135rocblas_gemm_batched_general_kernelI19rocblas_complex_numIdELi16ELi16ELi32ELi32ELi8ELi32ELi8ELi8ELi32ELc67ELc78EKPKS2_S5_KPS2_EEvlllT_PT11_llSA_llS8_PT12_llPT13_lli.num_named_barrier, 0
	.set _ZN12_GLOBAL__N_135rocblas_gemm_batched_general_kernelI19rocblas_complex_numIdELi16ELi16ELi32ELi32ELi8ELi32ELi8ELi8ELi32ELc67ELc78EKPKS2_S5_KPS2_EEvlllT_PT11_llSA_llS8_PT12_llPT13_lli.private_seg_size, 0
	.set _ZN12_GLOBAL__N_135rocblas_gemm_batched_general_kernelI19rocblas_complex_numIdELi16ELi16ELi32ELi32ELi8ELi32ELi8ELi8ELi32ELc67ELc78EKPKS2_S5_KPS2_EEvlllT_PT11_llSA_llS8_PT12_llPT13_lli.uses_vcc, 1
	.set _ZN12_GLOBAL__N_135rocblas_gemm_batched_general_kernelI19rocblas_complex_numIdELi16ELi16ELi32ELi32ELi8ELi32ELi8ELi8ELi32ELc67ELc78EKPKS2_S5_KPS2_EEvlllT_PT11_llSA_llS8_PT12_llPT13_lli.uses_flat_scratch, 0
	.set _ZN12_GLOBAL__N_135rocblas_gemm_batched_general_kernelI19rocblas_complex_numIdELi16ELi16ELi32ELi32ELi8ELi32ELi8ELi8ELi32ELc67ELc78EKPKS2_S5_KPS2_EEvlllT_PT11_llSA_llS8_PT12_llPT13_lli.has_dyn_sized_stack, 0
	.set _ZN12_GLOBAL__N_135rocblas_gemm_batched_general_kernelI19rocblas_complex_numIdELi16ELi16ELi32ELi32ELi8ELi32ELi8ELi8ELi32ELc67ELc78EKPKS2_S5_KPS2_EEvlllT_PT11_llSA_llS8_PT12_llPT13_lli.has_recursion, 0
	.set _ZN12_GLOBAL__N_135rocblas_gemm_batched_general_kernelI19rocblas_complex_numIdELi16ELi16ELi32ELi32ELi8ELi32ELi8ELi8ELi32ELc67ELc78EKPKS2_S5_KPS2_EEvlllT_PT11_llSA_llS8_PT12_llPT13_lli.has_indirect_call, 0
	.section	.AMDGPU.csdata,"",@progbits
; Kernel info:
; codeLenInByte = 4044
; TotalNumSgprs: 54
; NumVgprs: 127
; ScratchSize: 0
; MemoryBound: 1
; FloatMode: 240
; IeeeMode: 1
; LDSByteSize: 8192 bytes/workgroup (compile time only)
; SGPRBlocks: 0
; VGPRBlocks: 15
; NumSGPRsForWavesPerEU: 54
; NumVGPRsForWavesPerEU: 127
; Occupancy: 8
; WaveLimiterHint : 1
; COMPUTE_PGM_RSRC2:SCRATCH_EN: 0
; COMPUTE_PGM_RSRC2:USER_SGPR: 6
; COMPUTE_PGM_RSRC2:TRAP_HANDLER: 0
; COMPUTE_PGM_RSRC2:TGID_X_EN: 1
; COMPUTE_PGM_RSRC2:TGID_Y_EN: 1
; COMPUTE_PGM_RSRC2:TGID_Z_EN: 1
; COMPUTE_PGM_RSRC2:TIDIG_COMP_CNT: 1
	.section	.text._ZN12_GLOBAL__N_135rocblas_gemm_batched_general_kernelI19rocblas_complex_numIdELi16ELi16ELi32ELi32ELi8ELi32ELi8ELi8ELi32ELc67ELc84EKPKS2_S5_KPS2_EEvlllT_PT11_llSA_llS8_PT12_llPT13_lli,"axG",@progbits,_ZN12_GLOBAL__N_135rocblas_gemm_batched_general_kernelI19rocblas_complex_numIdELi16ELi16ELi32ELi32ELi8ELi32ELi8ELi8ELi32ELc67ELc84EKPKS2_S5_KPS2_EEvlllT_PT11_llSA_llS8_PT12_llPT13_lli,comdat
	.globl	_ZN12_GLOBAL__N_135rocblas_gemm_batched_general_kernelI19rocblas_complex_numIdELi16ELi16ELi32ELi32ELi8ELi32ELi8ELi8ELi32ELc67ELc84EKPKS2_S5_KPS2_EEvlllT_PT11_llSA_llS8_PT12_llPT13_lli ; -- Begin function _ZN12_GLOBAL__N_135rocblas_gemm_batched_general_kernelI19rocblas_complex_numIdELi16ELi16ELi32ELi32ELi8ELi32ELi8ELi8ELi32ELc67ELc84EKPKS2_S5_KPS2_EEvlllT_PT11_llSA_llS8_PT12_llPT13_lli
	.p2align	8
	.type	_ZN12_GLOBAL__N_135rocblas_gemm_batched_general_kernelI19rocblas_complex_numIdELi16ELi16ELi32ELi32ELi8ELi32ELi8ELi8ELi32ELc67ELc84EKPKS2_S5_KPS2_EEvlllT_PT11_llSA_llS8_PT12_llPT13_lli,@function
_ZN12_GLOBAL__N_135rocblas_gemm_batched_general_kernelI19rocblas_complex_numIdELi16ELi16ELi32ELi32ELi8ELi32ELi8ELi8ELi32ELc67ELc84EKPKS2_S5_KPS2_EEvlllT_PT11_llSA_llS8_PT12_llPT13_lli: ; @_ZN12_GLOBAL__N_135rocblas_gemm_batched_general_kernelI19rocblas_complex_numIdELi16ELi16ELi32ELi32ELi8ELi32ELi8ELi8ELi32ELc67ELc84EKPKS2_S5_KPS2_EEvlllT_PT11_llSA_llS8_PT12_llPT13_lli
; %bb.0:
	s_clause 0x2
	s_load_dwordx16 s[12:27], s[4:5], 0x40
	s_load_dwordx4 s[28:31], s[4:5], 0x80
	s_load_dwordx16 s[36:51], s[4:5], 0x0
	s_mov_b32 s9, 0
	s_load_dwordx2 s[2:3], s[4:5], 0x90
	s_lshl_b64 s[0:1], s[8:9], 3
	s_mov_b32 s34, s7
	v_mov_b32_e32 v2, 0
	s_waitcnt lgkmcnt(0)
	s_add_u32 s4, s22, s0
	s_addc_u32 s5, s23, s1
	s_add_u32 s8, s28, s0
	s_addc_u32 s9, s29, s1
	s_load_dwordx2 s[4:5], s[4:5], 0x0
	s_load_dwordx2 s[8:9], s[8:9], 0x0
	v_cmp_lt_i64_e64 s10, s[40:41], 1
	s_ashr_i32 s7, s6, 31
	s_ashr_i32 s35, s34, 31
	s_lshl_b64 s[6:7], s[6:7], 5
	s_and_b32 vcc_lo, exec_lo, s10
	s_lshl_b64 s[10:11], s[34:35], 5
	s_cbranch_vccnz .LBB287_9
; %bb.1:
	v_lshl_add_u32 v3, v1, 4, v0
	v_and_b32_e32 v27, 7, v0
	s_add_u32 s12, s12, s0
	s_addc_u32 s13, s13, s1
	v_mov_b32_e32 v4, s7
	v_and_b32_e32 v9, 31, v3
	v_mad_u64_u32 v[5:6], null, s14, v27, 0
	v_lshrrev_b32_e32 v10, 3, v3
	v_lshrrev_b32_e32 v28, 5, v3
	v_or_b32_e32 v3, s6, v9
	s_add_u32 s0, s46, s0
	s_addc_u32 s1, s47, s1
	s_load_dwordx2 s[12:13], s[12:13], 0x0
	s_load_dwordx2 s[22:23], s[0:1], 0x0
	v_add_co_u32 v7, s0, v10, s10
	v_add_co_ci_u32_e64 v8, null, 0, s11, s0
	v_cmp_gt_i64_e64 s0, s[36:37], v[3:4]
	v_mov_b32_e32 v3, v6
	v_lshlrev_b32_e32 v6, 4, v27
	v_cmp_gt_i64_e32 vcc_lo, s[38:39], v[7:8]
	v_add_co_u32 v7, s1, s6, v9
	v_mad_u64_u32 v[3:4], null, s15, v27, v[3:4]
	v_lshl_or_b32 v4, v10, 7, v6
	v_add_co_ci_u32_e64 v8, null, s7, 0, s1
	v_lshlrev_b32_e32 v11, 4, v9
	v_mul_lo_u32 v9, s49, v7
	v_add_nc_u32_e32 v30, 0x1000, v4
	v_mov_b32_e32 v6, v3
	v_mul_lo_u32 v8, s48, v8
	v_mad_u64_u32 v[3:4], null, s48, v7, 0
	s_lshl_b64 s[28:29], s[34:35], 9
	v_lshlrev_b64 v[5:6], 4, v[5:6]
	s_lshl_b64 s[16:17], s[16:17], 4
	v_lshlrev_b32_e32 v7, 4, v10
	s_add_u32 s1, s16, s28
	s_addc_u32 s16, s17, s29
	v_add3_u32 v4, v4, v8, v9
	v_add_co_u32 v5, s1, s1, v5
	v_add_co_ci_u32_e64 v6, null, s16, v6, s1
	v_lshlrev_b64 v[3:4], 4, v[3:4]
	v_add_co_u32 v5, s1, v5, v7
	s_lshl_b64 s[16:17], s[50:51], 4
	v_add_co_ci_u32_e64 v6, null, 0, v6, s1
	v_add_co_u32 v3, s1, v3, s16
	v_lshlrev_b32_e32 v7, 4, v28
	v_add_co_ci_u32_e64 v4, null, s17, v4, s1
	s_waitcnt lgkmcnt(0)
	v_add_co_u32 v23, s1, s12, v5
	v_add_co_ci_u32_e64 v24, null, s13, v6, s1
	v_add_co_u32 v3, s1, v3, v7
	v_add_co_ci_u32_e64 v4, null, 0, v4, s1
	v_lshl_or_b32 v29, v28, 9, v11
	v_add_co_u32 v25, s1, s22, v3
	v_mov_b32_e32 v9, 0
	v_mov_b32_e32 v7, 0
	;; [unrolled: 1-line block ×8, first 2 shown]
	v_lshlrev_b32_e32 v31, 4, v0
	v_lshl_add_u32 v32, v1, 7, 0x1000
	v_mov_b32_e32 v10, 0
	v_mov_b32_e32 v8, 0
	;; [unrolled: 1-line block ×8, first 2 shown]
	v_add_co_ci_u32_e64 v26, null, s23, v4, s1
	s_lshl_b64 s[12:13], s[14:15], 7
	s_mov_b64 s[14:15], 0
	s_xor_b32 s1, vcc_lo, -1
	s_branch .LBB287_3
.LBB287_2:                              ;   in Loop: Header=BB287_3 Depth=1
	s_or_b32 exec_lo, exec_lo, s16
	s_waitcnt lgkmcnt(0)
	s_barrier
	buffer_gl0_inv
	ds_read_b128 v[3:6], v32
	ds_read_b128 v[33:36], v31
	ds_read_b128 v[37:40], v31 offset:256
	ds_read_b128 v[41:44], v32 offset:2048
	;; [unrolled: 1-line block ×12, first 2 shown]
	s_add_u32 s14, s14, 8
	s_addc_u32 s15, s15, 0
	v_add_co_u32 v23, vcc_lo, v23, s12
	v_cmp_lt_i64_e64 s16, s[14:15], s[40:41]
	v_add_co_ci_u32_e64 v24, null, s13, v24, vcc_lo
	s_waitcnt lgkmcnt(12)
	v_mul_f64 v[85:86], v[5:6], v[35:36]
	v_mul_f64 v[87:88], v[3:4], v[35:36]
	s_waitcnt lgkmcnt(11)
	v_mul_f64 v[89:90], v[5:6], v[39:40]
	v_mul_f64 v[91:92], v[3:4], v[39:40]
	;; [unrolled: 3-line block ×3, first 2 shown]
	v_mul_f64 v[95:96], v[43:44], v[39:40]
	v_mul_f64 v[39:40], v[41:42], v[39:40]
	s_waitcnt lgkmcnt(8)
	v_mul_f64 v[97:98], v[47:48], v[51:52]
	v_mul_f64 v[99:100], v[45:46], v[51:52]
	s_waitcnt lgkmcnt(7)
	;; [unrolled: 3-line block ×3, first 2 shown]
	v_mul_f64 v[105:106], v[59:60], v[51:52]
	v_mul_f64 v[51:52], v[57:58], v[51:52]
	;; [unrolled: 1-line block ×4, first 2 shown]
	s_waitcnt lgkmcnt(4)
	v_mul_f64 v[109:110], v[63:64], v[67:68]
	v_mul_f64 v[111:112], v[61:62], v[67:68]
	s_waitcnt lgkmcnt(3)
	v_mul_f64 v[113:114], v[63:64], v[71:72]
	v_mul_f64 v[115:116], v[61:62], v[71:72]
	s_waitcnt lgkmcnt(2)
	v_mul_f64 v[117:118], v[75:76], v[67:68]
	v_mul_f64 v[67:68], v[73:74], v[67:68]
	v_fma_f64 v[85:86], v[3:4], v[33:34], -v[85:86]
	v_fma_f64 v[87:88], v[5:6], v[33:34], v[87:88]
	v_fma_f64 v[89:90], v[3:4], v[37:38], -v[89:90]
	v_fma_f64 v[91:92], v[5:6], v[37:38], v[91:92]
	;; [unrolled: 2-line block ×4, first 2 shown]
	v_mul_f64 v[123:124], v[75:76], v[71:72]
	v_mul_f64 v[71:72], v[73:74], v[71:72]
	ds_read_b128 v[3:6], v31 offset:1536
	ds_read_b128 v[33:36], v31 offset:1792
	v_fma_f64 v[97:98], v[45:46], v[49:50], -v[97:98]
	v_fma_f64 v[99:100], v[47:48], v[49:50], v[99:100]
	v_fma_f64 v[101:102], v[45:46], v[53:54], -v[101:102]
	v_fma_f64 v[103:104], v[47:48], v[53:54], v[103:104]
	;; [unrolled: 2-line block ×7, first 2 shown]
	v_add_f64 v[19:20], v[19:20], v[85:86]
	v_add_f64 v[21:22], v[87:88], v[21:22]
	;; [unrolled: 1-line block ×4, first 2 shown]
	s_waitcnt lgkmcnt(1)
	v_mul_f64 v[109:110], v[79:80], v[5:6]
	s_waitcnt lgkmcnt(0)
	v_mul_f64 v[67:68], v[79:80], v[35:36]
	v_fma_f64 v[73:74], v[73:74], v[69:70], -v[123:124]
	v_fma_f64 v[69:70], v[75:76], v[69:70], v[71:72]
	v_add_f64 v[71:72], v[11:12], v[93:94]
	v_add_f64 v[13:14], v[119:120], v[13:14]
	;; [unrolled: 1-line block ×4, first 2 shown]
	ds_read_b128 v[37:40], v32 offset:64
	ds_read_b128 v[41:44], v31 offset:2048
	;; [unrolled: 1-line block ×3, first 2 shown]
	v_mul_f64 v[111:112], v[77:78], v[5:6]
	v_mul_f64 v[113:114], v[77:78], v[35:36]
	;; [unrolled: 1-line block ×6, first 2 shown]
	ds_read_b128 v[49:52], v32 offset:2112
	ds_read_b128 v[9:12], v32 offset:2128
	v_add_f64 v[97:98], v[19:20], v[97:98]
	v_add_f64 v[21:22], v[99:100], v[21:22]
	;; [unrolled: 1-line block ×4, first 2 shown]
	v_fma_f64 v[89:90], v[77:78], v[3:4], -v[109:110]
	v_fma_f64 v[67:68], v[77:78], v[33:34], -v[67:68]
	ds_read_b128 v[5:8], v32 offset:80
	ds_read_b128 v[17:20], v31 offset:2816
	v_add_f64 v[71:72], v[71:72], v[105:106]
	v_add_f64 v[103:104], v[125:126], v[13:14]
	s_waitcnt lgkmcnt(5)
	v_mul_f64 v[77:78], v[39:40], v[43:44]
	v_mul_f64 v[93:94], v[37:38], v[43:44]
	v_add_f64 v[57:58], v[75:76], v[57:58]
	v_add_f64 v[53:54], v[53:54], v[85:86]
	ds_read_b128 v[13:16], v31 offset:2560
	s_waitcnt lgkmcnt(5)
	v_mul_f64 v[95:96], v[39:40], v[47:48]
	v_mul_f64 v[109:110], v[37:38], v[47:48]
	v_fma_f64 v[91:92], v[79:80], v[3:4], v[111:112]
	v_fma_f64 v[79:80], v[79:80], v[33:34], v[113:114]
	s_waitcnt lgkmcnt(4)
	v_mul_f64 v[111:112], v[51:52], v[43:44]
	v_mul_f64 v[43:44], v[49:50], v[43:44]
	v_fma_f64 v[75:76], v[81:82], v[3:4], -v[115:116]
	v_fma_f64 v[3:4], v[83:84], v[3:4], v[117:118]
	v_fma_f64 v[81:82], v[81:82], v[33:34], -v[87:88]
	v_fma_f64 v[83:84], v[83:84], v[33:34], v[35:36]
	v_add_f64 v[55:56], v[97:98], v[55:56]
	v_add_f64 v[59:60], v[59:60], v[21:22]
	;; [unrolled: 1-line block ×4, first 2 shown]
	s_waitcnt lgkmcnt(1)
	v_mul_f64 v[97:98], v[7:8], v[19:20]
	v_add_f64 v[71:72], v[71:72], v[107:108]
	v_add_f64 v[65:66], v[65:66], v[103:104]
	v_fma_f64 v[77:78], v[37:38], v[41:42], -v[77:78]
	v_fma_f64 v[85:86], v[39:40], v[41:42], v[93:94]
	v_add_f64 v[57:58], v[57:58], v[73:74]
	v_add_f64 v[53:54], v[69:70], v[53:54]
	s_waitcnt lgkmcnt(0)
	v_mul_f64 v[69:70], v[7:8], v[15:16]
	v_fma_f64 v[87:88], v[37:38], v[45:46], -v[95:96]
	v_fma_f64 v[93:94], v[39:40], v[45:46], v[109:110]
	v_mul_f64 v[37:38], v[51:52], v[47:48]
	v_mul_f64 v[39:40], v[49:50], v[47:48]
	v_fma_f64 v[47:48], v[49:50], v[41:42], -v[111:112]
	v_fma_f64 v[95:96], v[51:52], v[41:42], v[43:44]
	v_mul_f64 v[73:74], v[5:6], v[15:16]
	v_mul_f64 v[99:100], v[5:6], v[19:20]
	;; [unrolled: 1-line block ×6, first 2 shown]
	ds_read_b128 v[19:22], v32 offset:96
	ds_read_b128 v[33:36], v31 offset:3072
	v_add_co_u32 v25, vcc_lo, 0x80, v25
	v_add_co_ci_u32_e64 v26, null, 0, v26, vcc_lo
	v_add_f64 v[65:66], v[3:4], v[65:66]
	s_and_b32 vcc_lo, exec_lo, s16
	v_add_f64 v[57:58], v[57:58], v[81:82]
	v_add_f64 v[53:54], v[83:84], v[53:54]
	v_fma_f64 v[49:50], v[49:50], v[45:46], -v[37:38]
	v_fma_f64 v[45:46], v[51:52], v[45:46], v[39:40]
	v_add_f64 v[51:52], v[55:56], v[89:90]
	v_add_f64 v[55:56], v[91:92], v[59:60]
	;; [unrolled: 1-line block ×5, first 2 shown]
	ds_read_b128 v[37:40], v31 offset:3328
	ds_read_b128 v[41:44], v32 offset:2144
	v_fma_f64 v[67:68], v[5:6], v[13:14], -v[69:70]
	v_fma_f64 v[69:70], v[7:8], v[13:14], v[73:74]
	v_fma_f64 v[71:72], v[5:6], v[17:18], -v[97:98]
	v_fma_f64 v[73:74], v[7:8], v[17:18], v[99:100]
	;; [unrolled: 2-line block ×3, first 2 shown]
	v_fma_f64 v[81:82], v[9:10], v[17:18], -v[103:104]
	s_waitcnt lgkmcnt(2)
	v_mul_f64 v[83:84], v[21:22], v[35:36]
	v_fma_f64 v[89:90], v[11:12], v[17:18], v[105:106]
	v_mul_f64 v[91:92], v[19:20], v[35:36]
	ds_read_b128 v[3:6], v32 offset:112
	ds_read_b128 v[7:10], v32 offset:2160
	;; [unrolled: 1-line block ×4, first 2 shown]
	s_waitcnt lgkmcnt(0)
	v_add_f64 v[49:50], v[57:58], v[49:50]
	v_add_f64 v[45:46], v[45:46], v[53:54]
	;; [unrolled: 1-line block ×4, first 2 shown]
	v_mul_f64 v[97:98], v[21:22], v[39:40]
	v_mul_f64 v[99:100], v[19:20], v[39:40]
	;; [unrolled: 1-line block ×4, first 2 shown]
	v_add_f64 v[59:60], v[59:60], v[87:88]
	v_add_f64 v[61:62], v[93:94], v[61:62]
	;; [unrolled: 1-line block ×4, first 2 shown]
	v_mul_f64 v[53:54], v[43:44], v[39:40]
	v_mul_f64 v[39:40], v[41:42], v[39:40]
	s_barrier
	v_fma_f64 v[57:58], v[19:20], v[33:34], -v[83:84]
	buffer_gl0_inv
	v_fma_f64 v[65:66], v[21:22], v[33:34], v[91:92]
	v_add_f64 v[49:50], v[49:50], v[81:82]
	v_add_f64 v[45:46], v[89:90], v[45:46]
	v_fma_f64 v[19:20], v[19:20], v[37:38], -v[97:98]
	v_fma_f64 v[21:22], v[21:22], v[37:38], v[99:100]
	v_fma_f64 v[77:78], v[41:42], v[33:34], -v[101:102]
	v_fma_f64 v[33:34], v[43:44], v[33:34], v[35:36]
	v_add_f64 v[35:36], v[51:52], v[67:68]
	v_add_f64 v[51:52], v[69:70], v[55:56]
	;; [unrolled: 1-line block ×6, first 2 shown]
	v_fma_f64 v[41:42], v[41:42], v[37:38], -v[53:54]
	v_fma_f64 v[37:38], v[43:44], v[37:38], v[39:40]
	v_mul_f64 v[39:40], v[5:6], v[13:14]
	v_mul_f64 v[43:44], v[3:4], v[13:14]
	;; [unrolled: 1-line block ×8, first 2 shown]
	v_add_f64 v[35:36], v[35:36], v[57:58]
	v_add_f64 v[51:52], v[65:66], v[51:52]
	;; [unrolled: 1-line block ×8, first 2 shown]
	v_fma_f64 v[19:20], v[3:4], v[11:12], -v[39:40]
	v_fma_f64 v[21:22], v[5:6], v[11:12], v[43:44]
	v_fma_f64 v[3:4], v[3:4], v[15:16], -v[53:54]
	v_fma_f64 v[5:6], v[5:6], v[15:16], v[63:64]
	;; [unrolled: 2-line block ×4, first 2 shown]
	v_add_f64 v[19:20], v[35:36], v[19:20]
	v_add_f64 v[21:22], v[21:22], v[51:52]
	;; [unrolled: 1-line block ×8, first 2 shown]
	s_cbranch_vccz .LBB287_10
.LBB287_3:                              ; =>This Inner Loop Header: Depth=1
	v_add_co_u32 v3, s16, v28, s14
	v_add_co_ci_u32_e64 v4, null, 0, s15, s16
	v_mov_b32_e32 v5, 0
	v_mov_b32_e32 v6, 0
	v_cmp_gt_i64_e32 vcc_lo, s[40:41], v[3:4]
	v_mov_b32_e32 v3, 0
	v_mov_b32_e32 v4, 0
	s_and_b32 s17, s0, vcc_lo
	s_and_saveexec_b32 s16, s17
	s_cbranch_execz .LBB287_5
; %bb.4:                                ;   in Loop: Header=BB287_3 Depth=1
	flat_load_dwordx4 v[3:6], v[25:26]
	s_waitcnt vmcnt(0) lgkmcnt(0)
	v_xor_b32_e32 v6, 0x80000000, v6
.LBB287_5:                              ;   in Loop: Header=BB287_3 Depth=1
	s_or_b32 exec_lo, exec_lo, s16
	v_add_co_u32 v33, s16, v27, s14
	v_add_co_ci_u32_e64 v34, null, 0, s15, s16
	ds_write_b128 v29, v[3:6]
	v_cmp_le_i64_e32 vcc_lo, s[40:41], v[33:34]
	s_or_b32 s16, vcc_lo, s1
	s_and_saveexec_b32 s17, s16
	s_xor_b32 s16, exec_lo, s17
	s_cbranch_execz .LBB287_7
; %bb.6:                                ;   in Loop: Header=BB287_3 Depth=1
	v_mov_b32_e32 v3, v2
	v_mov_b32_e32 v4, v2
	v_mov_b32_e32 v5, v2
	ds_write_b128 v30, v[2:5]
.LBB287_7:                              ;   in Loop: Header=BB287_3 Depth=1
	s_andn2_saveexec_b32 s16, s16
	s_cbranch_execz .LBB287_2
; %bb.8:                                ;   in Loop: Header=BB287_3 Depth=1
	flat_load_dwordx4 v[3:6], v[23:24]
	s_waitcnt vmcnt(0) lgkmcnt(0)
	ds_write2_b64 v30, v[3:4], v[5:6] offset1:1
	s_branch .LBB287_2
.LBB287_9:
	v_mov_b32_e32 v19, 0
	v_mov_b32_e32 v21, 0
	;; [unrolled: 1-line block ×16, first 2 shown]
.LBB287_10:
	v_cmp_neq_f64_e64 s12, s[18:19], 0
	v_cmp_neq_f64_e64 s13, s[20:21], 0
	s_lshl_b64 s[0:1], s[2:3], 4
	v_add_co_u32 v1, s2, s10, v1
	v_add_co_ci_u32_e64 v2, null, s11, 0, s2
	s_waitcnt lgkmcnt(0)
	s_add_u32 s3, s8, s0
	s_addc_u32 s8, s9, s1
	v_cmp_gt_i64_e64 s0, s[38:39], v[1:2]
	s_or_b32 s1, s12, s13
	s_and_b32 vcc_lo, exec_lo, s1
	s_mov_b32 s1, -1
	s_cbranch_vccnz .LBB287_22
; %bb.11:
	s_and_saveexec_b32 s9, s0
	s_cbranch_execz .LBB287_21
; %bb.12:
	v_mul_lo_u32 v5, v2, s30
	v_mul_lo_u32 v6, v1, s31
	v_mad_u64_u32 v[3:4], null, v1, s30, 0
	v_add3_u32 v4, v4, v6, v5
	v_add_co_u32 v5, s1, s6, v0
	v_add_co_ci_u32_e64 v6, null, s7, 0, s1
	v_lshlrev_b64 v[23:24], 4, v[3:4]
	v_cmp_gt_i64_e32 vcc_lo, s[36:37], v[5:6]
	v_lshlrev_b64 v[3:4], 4, v[5:6]
	v_add_co_u32 v23, s1, s3, v23
	v_add_co_ci_u32_e64 v24, null, s8, v24, s1
	s_and_saveexec_b32 s2, vcc_lo
	s_cbranch_execz .LBB287_14
; %bb.13:
	v_mul_f64 v[25:26], s[44:45], v[21:22]
	v_mul_f64 v[27:28], s[42:43], v[21:22]
	v_add_co_u32 v29, s1, v23, v3
	v_add_co_ci_u32_e64 v30, null, v24, v4, s1
	v_fma_f64 v[25:26], s[42:43], v[19:20], -v[25:26]
	v_fma_f64 v[27:28], s[44:45], v[19:20], v[27:28]
	flat_store_dwordx4 v[29:30], v[25:28]
.LBB287_14:
	s_or_b32 exec_lo, exec_lo, s2
	v_add_co_u32 v5, s1, v5, 16
	v_add_co_ci_u32_e64 v6, null, 0, v6, s1
	v_cmp_gt_i64_e64 s1, s[36:37], v[5:6]
	s_and_saveexec_b32 s10, s1
	s_cbranch_execz .LBB287_16
; %bb.15:
	v_mul_f64 v[5:6], s[44:45], v[17:18]
	v_mul_f64 v[27:28], s[42:43], v[17:18]
	v_fma_f64 v[25:26], s[42:43], v[15:16], -v[5:6]
	v_fma_f64 v[27:28], s[44:45], v[15:16], v[27:28]
	v_add_co_u32 v5, s2, v23, v3
	v_add_co_ci_u32_e64 v6, null, v24, v4, s2
	flat_store_dwordx4 v[5:6], v[25:28] offset:256
.LBB287_16:
	s_or_b32 exec_lo, exec_lo, s10
	v_add_co_u32 v5, s2, v1, 16
	v_add_co_ci_u32_e64 v6, null, 0, v2, s2
	v_cmp_gt_i64_e64 s2, s[38:39], v[5:6]
	s_and_b32 exec_lo, exec_lo, s2
	s_cbranch_execz .LBB287_21
; %bb.17:
	s_lshl_b64 s[10:11], s[30:31], 8
	v_add_co_u32 v5, s2, v23, s10
	v_add_co_ci_u32_e64 v6, null, s11, v24, s2
	v_add_co_u32 v3, s2, v5, v3
	v_add_co_ci_u32_e64 v4, null, v6, v4, s2
	s_and_saveexec_b32 s2, vcc_lo
	s_cbranch_execz .LBB287_19
; %bb.18:
	v_mul_f64 v[5:6], s[44:45], v[13:14]
	v_mul_f64 v[25:26], s[42:43], v[13:14]
	v_fma_f64 v[23:24], s[42:43], v[11:12], -v[5:6]
	v_fma_f64 v[25:26], s[44:45], v[11:12], v[25:26]
	flat_store_dwordx4 v[3:4], v[23:26]
.LBB287_19:
	s_or_b32 exec_lo, exec_lo, s2
	s_and_b32 exec_lo, exec_lo, s1
	s_cbranch_execz .LBB287_21
; %bb.20:
	v_mul_f64 v[5:6], s[44:45], v[9:10]
	v_mul_f64 v[25:26], s[42:43], v[9:10]
	v_fma_f64 v[23:24], s[42:43], v[7:8], -v[5:6]
	v_fma_f64 v[25:26], s[44:45], v[7:8], v[25:26]
	flat_store_dwordx4 v[3:4], v[23:26] offset:256
.LBB287_21:
	s_or_b32 exec_lo, exec_lo, s9
	s_mov_b32 s1, 0
.LBB287_22:
	s_andn2_b32 vcc_lo, exec_lo, s1
	s_cbranch_vccnz .LBB287_33
; %bb.23:
	s_and_saveexec_b32 s1, s0
	s_cbranch_execz .LBB287_33
; %bb.24:
	v_mul_lo_u32 v5, v2, s24
	v_mul_lo_u32 v6, v1, s25
	v_mad_u64_u32 v[3:4], null, v1, s24, 0
	v_mul_lo_u32 v25, v2, s30
	v_mul_lo_u32 v26, v1, s31
	v_mad_u64_u32 v[23:24], null, v1, s30, 0
	s_lshl_b64 s[0:1], s[26:27], 4
	v_add3_u32 v4, v4, v6, v5
	v_add_co_u32 v5, s2, s6, v0
	v_add_co_ci_u32_e64 v6, null, s7, 0, s2
	v_add3_u32 v24, v24, v26, v25
	v_lshlrev_b64 v[3:4], 4, v[3:4]
	s_add_u32 s0, s4, s0
	s_addc_u32 s1, s5, s1
	v_cmp_gt_i64_e32 vcc_lo, s[36:37], v[5:6]
	v_lshlrev_b64 v[24:25], 4, v[23:24]
	v_add_co_u32 v0, s0, s0, v3
	v_add_co_ci_u32_e64 v23, null, s1, v4, s0
	v_add_co_u32 v24, s0, s3, v24
	v_lshlrev_b64 v[3:4], 4, v[5:6]
	v_add_co_ci_u32_e64 v25, null, s8, v25, s0
	s_and_saveexec_b32 s1, vcc_lo
	s_cbranch_execz .LBB287_26
; %bb.25:
	v_add_co_u32 v26, s0, v0, v3
	v_add_co_ci_u32_e64 v27, null, v23, v4, s0
	v_mul_f64 v[30:31], s[44:45], v[21:22]
	v_mul_f64 v[21:22], s[42:43], v[21:22]
	flat_load_dwordx4 v[26:29], v[26:27]
	v_fma_f64 v[30:31], s[42:43], v[19:20], -v[30:31]
	v_fma_f64 v[21:22], s[44:45], v[19:20], v[21:22]
	s_waitcnt vmcnt(0) lgkmcnt(0)
	v_mul_f64 v[32:33], s[20:21], v[28:29]
	v_mul_f64 v[28:29], s[18:19], v[28:29]
	v_fma_f64 v[19:20], s[18:19], v[26:27], -v[32:33]
	v_fma_f64 v[26:27], s[20:21], v[26:27], v[28:29]
	v_add_f64 v[19:20], v[30:31], v[19:20]
	v_add_f64 v[21:22], v[21:22], v[26:27]
	v_add_co_u32 v26, s0, v24, v3
	v_add_co_ci_u32_e64 v27, null, v25, v4, s0
	flat_store_dwordx4 v[26:27], v[19:22]
.LBB287_26:
	s_or_b32 exec_lo, exec_lo, s1
	v_add_co_u32 v5, s0, v5, 16
	v_add_co_ci_u32_e64 v6, null, 0, v6, s0
	v_cmp_gt_i64_e64 s0, s[36:37], v[5:6]
	s_and_saveexec_b32 s2, s0
	s_cbranch_execz .LBB287_28
; %bb.27:
	v_add_co_u32 v5, s1, v0, v3
	v_add_co_ci_u32_e64 v6, null, v23, v4, s1
	flat_load_dwordx4 v[19:22], v[5:6] offset:256
	v_mul_f64 v[5:6], s[44:45], v[17:18]
	v_mul_f64 v[17:18], s[42:43], v[17:18]
	v_fma_f64 v[5:6], s[42:43], v[15:16], -v[5:6]
	v_fma_f64 v[17:18], s[44:45], v[15:16], v[17:18]
	s_waitcnt vmcnt(0) lgkmcnt(0)
	v_mul_f64 v[26:27], s[20:21], v[21:22]
	v_mul_f64 v[21:22], s[18:19], v[21:22]
	v_fma_f64 v[15:16], s[18:19], v[19:20], -v[26:27]
	v_fma_f64 v[19:20], s[20:21], v[19:20], v[21:22]
	v_add_f64 v[15:16], v[5:6], v[15:16]
	v_add_f64 v[17:18], v[17:18], v[19:20]
	v_add_co_u32 v5, s1, v24, v3
	v_add_co_ci_u32_e64 v6, null, v25, v4, s1
	flat_store_dwordx4 v[5:6], v[15:18] offset:256
.LBB287_28:
	s_or_b32 exec_lo, exec_lo, s2
	v_add_co_u32 v1, s1, v1, 16
	v_add_co_ci_u32_e64 v2, null, 0, v2, s1
	v_cmp_gt_i64_e64 s1, s[38:39], v[1:2]
	s_and_b32 exec_lo, exec_lo, s1
	s_cbranch_execz .LBB287_33
; %bb.29:
	s_lshl_b64 s[2:3], s[24:25], 8
	v_add_co_u32 v0, s1, v0, s2
	v_add_co_ci_u32_e64 v1, null, s3, v23, s1
	s_lshl_b64 s[2:3], s[30:31], 8
	v_add_co_u32 v2, s1, v24, s2
	v_add_co_ci_u32_e64 v15, null, s3, v25, s1
	v_add_co_u32 v5, s1, v0, v3
	v_add_co_ci_u32_e64 v6, null, v1, v4, s1
	;; [unrolled: 2-line block ×3, first 2 shown]
	s_and_saveexec_b32 s1, vcc_lo
	s_cbranch_execz .LBB287_31
; %bb.30:
	flat_load_dwordx4 v[15:18], v[5:6]
	v_mul_f64 v[2:3], s[44:45], v[13:14]
	v_mul_f64 v[13:14], s[42:43], v[13:14]
	v_fma_f64 v[2:3], s[42:43], v[11:12], -v[2:3]
	v_fma_f64 v[13:14], s[44:45], v[11:12], v[13:14]
	s_waitcnt vmcnt(0) lgkmcnt(0)
	v_mul_f64 v[19:20], s[20:21], v[17:18]
	v_mul_f64 v[17:18], s[18:19], v[17:18]
	v_fma_f64 v[11:12], s[18:19], v[15:16], -v[19:20]
	v_fma_f64 v[15:16], s[20:21], v[15:16], v[17:18]
	v_add_f64 v[11:12], v[2:3], v[11:12]
	v_add_f64 v[13:14], v[13:14], v[15:16]
	flat_store_dwordx4 v[0:1], v[11:14]
.LBB287_31:
	s_or_b32 exec_lo, exec_lo, s1
	s_and_b32 exec_lo, exec_lo, s0
	s_cbranch_execz .LBB287_33
; %bb.32:
	flat_load_dwordx4 v[2:5], v[5:6] offset:256
	v_mul_f64 v[11:12], s[44:45], v[9:10]
	v_mul_f64 v[9:10], s[42:43], v[9:10]
	v_fma_f64 v[11:12], s[42:43], v[7:8], -v[11:12]
	v_fma_f64 v[6:7], s[44:45], v[7:8], v[9:10]
	s_waitcnt vmcnt(0) lgkmcnt(0)
	v_mul_f64 v[13:14], s[20:21], v[4:5]
	v_mul_f64 v[4:5], s[18:19], v[4:5]
	v_fma_f64 v[8:9], s[18:19], v[2:3], -v[13:14]
	v_fma_f64 v[4:5], s[20:21], v[2:3], v[4:5]
	v_add_f64 v[2:3], v[11:12], v[8:9]
	v_add_f64 v[4:5], v[6:7], v[4:5]
	flat_store_dwordx4 v[0:1], v[2:5] offset:256
.LBB287_33:
	s_endpgm
	.section	.rodata,"a",@progbits
	.p2align	6, 0x0
	.amdhsa_kernel _ZN12_GLOBAL__N_135rocblas_gemm_batched_general_kernelI19rocblas_complex_numIdELi16ELi16ELi32ELi32ELi8ELi32ELi8ELi8ELi32ELc67ELc84EKPKS2_S5_KPS2_EEvlllT_PT11_llSA_llS8_PT12_llPT13_lli
		.amdhsa_group_segment_fixed_size 8192
		.amdhsa_private_segment_fixed_size 0
		.amdhsa_kernarg_size 156
		.amdhsa_user_sgpr_count 6
		.amdhsa_user_sgpr_private_segment_buffer 1
		.amdhsa_user_sgpr_dispatch_ptr 0
		.amdhsa_user_sgpr_queue_ptr 0
		.amdhsa_user_sgpr_kernarg_segment_ptr 1
		.amdhsa_user_sgpr_dispatch_id 0
		.amdhsa_user_sgpr_flat_scratch_init 0
		.amdhsa_user_sgpr_private_segment_size 0
		.amdhsa_wavefront_size32 1
		.amdhsa_uses_dynamic_stack 0
		.amdhsa_system_sgpr_private_segment_wavefront_offset 0
		.amdhsa_system_sgpr_workgroup_id_x 1
		.amdhsa_system_sgpr_workgroup_id_y 1
		.amdhsa_system_sgpr_workgroup_id_z 1
		.amdhsa_system_sgpr_workgroup_info 0
		.amdhsa_system_vgpr_workitem_id 1
		.amdhsa_next_free_vgpr 127
		.amdhsa_next_free_sgpr 52
		.amdhsa_reserve_vcc 1
		.amdhsa_reserve_flat_scratch 0
		.amdhsa_float_round_mode_32 0
		.amdhsa_float_round_mode_16_64 0
		.amdhsa_float_denorm_mode_32 3
		.amdhsa_float_denorm_mode_16_64 3
		.amdhsa_dx10_clamp 1
		.amdhsa_ieee_mode 1
		.amdhsa_fp16_overflow 0
		.amdhsa_workgroup_processor_mode 1
		.amdhsa_memory_ordered 1
		.amdhsa_forward_progress 1
		.amdhsa_shared_vgpr_count 0
		.amdhsa_exception_fp_ieee_invalid_op 0
		.amdhsa_exception_fp_denorm_src 0
		.amdhsa_exception_fp_ieee_div_zero 0
		.amdhsa_exception_fp_ieee_overflow 0
		.amdhsa_exception_fp_ieee_underflow 0
		.amdhsa_exception_fp_ieee_inexact 0
		.amdhsa_exception_int_div_zero 0
	.end_amdhsa_kernel
	.section	.text._ZN12_GLOBAL__N_135rocblas_gemm_batched_general_kernelI19rocblas_complex_numIdELi16ELi16ELi32ELi32ELi8ELi32ELi8ELi8ELi32ELc67ELc84EKPKS2_S5_KPS2_EEvlllT_PT11_llSA_llS8_PT12_llPT13_lli,"axG",@progbits,_ZN12_GLOBAL__N_135rocblas_gemm_batched_general_kernelI19rocblas_complex_numIdELi16ELi16ELi32ELi32ELi8ELi32ELi8ELi8ELi32ELc67ELc84EKPKS2_S5_KPS2_EEvlllT_PT11_llSA_llS8_PT12_llPT13_lli,comdat
.Lfunc_end287:
	.size	_ZN12_GLOBAL__N_135rocblas_gemm_batched_general_kernelI19rocblas_complex_numIdELi16ELi16ELi32ELi32ELi8ELi32ELi8ELi8ELi32ELc67ELc84EKPKS2_S5_KPS2_EEvlllT_PT11_llSA_llS8_PT12_llPT13_lli, .Lfunc_end287-_ZN12_GLOBAL__N_135rocblas_gemm_batched_general_kernelI19rocblas_complex_numIdELi16ELi16ELi32ELi32ELi8ELi32ELi8ELi8ELi32ELc67ELc84EKPKS2_S5_KPS2_EEvlllT_PT11_llSA_llS8_PT12_llPT13_lli
                                        ; -- End function
	.set _ZN12_GLOBAL__N_135rocblas_gemm_batched_general_kernelI19rocblas_complex_numIdELi16ELi16ELi32ELi32ELi8ELi32ELi8ELi8ELi32ELc67ELc84EKPKS2_S5_KPS2_EEvlllT_PT11_llSA_llS8_PT12_llPT13_lli.num_vgpr, 127
	.set _ZN12_GLOBAL__N_135rocblas_gemm_batched_general_kernelI19rocblas_complex_numIdELi16ELi16ELi32ELi32ELi8ELi32ELi8ELi8ELi32ELc67ELc84EKPKS2_S5_KPS2_EEvlllT_PT11_llSA_llS8_PT12_llPT13_lli.num_agpr, 0
	.set _ZN12_GLOBAL__N_135rocblas_gemm_batched_general_kernelI19rocblas_complex_numIdELi16ELi16ELi32ELi32ELi8ELi32ELi8ELi8ELi32ELc67ELc84EKPKS2_S5_KPS2_EEvlllT_PT11_llSA_llS8_PT12_llPT13_lli.numbered_sgpr, 52
	.set _ZN12_GLOBAL__N_135rocblas_gemm_batched_general_kernelI19rocblas_complex_numIdELi16ELi16ELi32ELi32ELi8ELi32ELi8ELi8ELi32ELc67ELc84EKPKS2_S5_KPS2_EEvlllT_PT11_llSA_llS8_PT12_llPT13_lli.num_named_barrier, 0
	.set _ZN12_GLOBAL__N_135rocblas_gemm_batched_general_kernelI19rocblas_complex_numIdELi16ELi16ELi32ELi32ELi8ELi32ELi8ELi8ELi32ELc67ELc84EKPKS2_S5_KPS2_EEvlllT_PT11_llSA_llS8_PT12_llPT13_lli.private_seg_size, 0
	.set _ZN12_GLOBAL__N_135rocblas_gemm_batched_general_kernelI19rocblas_complex_numIdELi16ELi16ELi32ELi32ELi8ELi32ELi8ELi8ELi32ELc67ELc84EKPKS2_S5_KPS2_EEvlllT_PT11_llSA_llS8_PT12_llPT13_lli.uses_vcc, 1
	.set _ZN12_GLOBAL__N_135rocblas_gemm_batched_general_kernelI19rocblas_complex_numIdELi16ELi16ELi32ELi32ELi8ELi32ELi8ELi8ELi32ELc67ELc84EKPKS2_S5_KPS2_EEvlllT_PT11_llSA_llS8_PT12_llPT13_lli.uses_flat_scratch, 0
	.set _ZN12_GLOBAL__N_135rocblas_gemm_batched_general_kernelI19rocblas_complex_numIdELi16ELi16ELi32ELi32ELi8ELi32ELi8ELi8ELi32ELc67ELc84EKPKS2_S5_KPS2_EEvlllT_PT11_llSA_llS8_PT12_llPT13_lli.has_dyn_sized_stack, 0
	.set _ZN12_GLOBAL__N_135rocblas_gemm_batched_general_kernelI19rocblas_complex_numIdELi16ELi16ELi32ELi32ELi8ELi32ELi8ELi8ELi32ELc67ELc84EKPKS2_S5_KPS2_EEvlllT_PT11_llSA_llS8_PT12_llPT13_lli.has_recursion, 0
	.set _ZN12_GLOBAL__N_135rocblas_gemm_batched_general_kernelI19rocblas_complex_numIdELi16ELi16ELi32ELi32ELi8ELi32ELi8ELi8ELi32ELc67ELc84EKPKS2_S5_KPS2_EEvlllT_PT11_llSA_llS8_PT12_llPT13_lli.has_indirect_call, 0
	.section	.AMDGPU.csdata,"",@progbits
; Kernel info:
; codeLenInByte = 4052
; TotalNumSgprs: 54
; NumVgprs: 127
; ScratchSize: 0
; MemoryBound: 1
; FloatMode: 240
; IeeeMode: 1
; LDSByteSize: 8192 bytes/workgroup (compile time only)
; SGPRBlocks: 0
; VGPRBlocks: 15
; NumSGPRsForWavesPerEU: 54
; NumVGPRsForWavesPerEU: 127
; Occupancy: 8
; WaveLimiterHint : 1
; COMPUTE_PGM_RSRC2:SCRATCH_EN: 0
; COMPUTE_PGM_RSRC2:USER_SGPR: 6
; COMPUTE_PGM_RSRC2:TRAP_HANDLER: 0
; COMPUTE_PGM_RSRC2:TGID_X_EN: 1
; COMPUTE_PGM_RSRC2:TGID_Y_EN: 1
; COMPUTE_PGM_RSRC2:TGID_Z_EN: 1
; COMPUTE_PGM_RSRC2:TIDIG_COMP_CNT: 1
	.section	.text._ZN12_GLOBAL__N_135rocblas_gemm_batched_general_kernelI19rocblas_complex_numIdELi16ELi16ELi32ELi32ELi8ELi32ELi8ELi8ELi32ELc78ELc67EKPKS2_S5_KPS2_EEvlllT_PT11_llSA_llS8_PT12_llPT13_lli,"axG",@progbits,_ZN12_GLOBAL__N_135rocblas_gemm_batched_general_kernelI19rocblas_complex_numIdELi16ELi16ELi32ELi32ELi8ELi32ELi8ELi8ELi32ELc78ELc67EKPKS2_S5_KPS2_EEvlllT_PT11_llSA_llS8_PT12_llPT13_lli,comdat
	.globl	_ZN12_GLOBAL__N_135rocblas_gemm_batched_general_kernelI19rocblas_complex_numIdELi16ELi16ELi32ELi32ELi8ELi32ELi8ELi8ELi32ELc78ELc67EKPKS2_S5_KPS2_EEvlllT_PT11_llSA_llS8_PT12_llPT13_lli ; -- Begin function _ZN12_GLOBAL__N_135rocblas_gemm_batched_general_kernelI19rocblas_complex_numIdELi16ELi16ELi32ELi32ELi8ELi32ELi8ELi8ELi32ELc78ELc67EKPKS2_S5_KPS2_EEvlllT_PT11_llSA_llS8_PT12_llPT13_lli
	.p2align	8
	.type	_ZN12_GLOBAL__N_135rocblas_gemm_batched_general_kernelI19rocblas_complex_numIdELi16ELi16ELi32ELi32ELi8ELi32ELi8ELi8ELi32ELc78ELc67EKPKS2_S5_KPS2_EEvlllT_PT11_llSA_llS8_PT12_llPT13_lli,@function
_ZN12_GLOBAL__N_135rocblas_gemm_batched_general_kernelI19rocblas_complex_numIdELi16ELi16ELi32ELi32ELi8ELi32ELi8ELi8ELi32ELc78ELc67EKPKS2_S5_KPS2_EEvlllT_PT11_llSA_llS8_PT12_llPT13_lli: ; @_ZN12_GLOBAL__N_135rocblas_gemm_batched_general_kernelI19rocblas_complex_numIdELi16ELi16ELi32ELi32ELi8ELi32ELi8ELi8ELi32ELc78ELc67EKPKS2_S5_KPS2_EEvlllT_PT11_llSA_llS8_PT12_llPT13_lli
; %bb.0:
	s_clause 0x2
	s_load_dwordx16 s[12:27], s[4:5], 0x40
	s_load_dwordx4 s[28:31], s[4:5], 0x80
	s_load_dwordx16 s[36:51], s[4:5], 0x0
	s_mov_b32 s9, 0
	s_load_dwordx2 s[2:3], s[4:5], 0x90
	s_lshl_b64 s[0:1], s[8:9], 3
	s_mov_b32 s34, s7
	v_mov_b32_e32 v2, 0
	s_waitcnt lgkmcnt(0)
	s_add_u32 s4, s22, s0
	s_addc_u32 s5, s23, s1
	s_add_u32 s8, s28, s0
	s_addc_u32 s9, s29, s1
	s_load_dwordx2 s[4:5], s[4:5], 0x0
	s_load_dwordx2 s[10:11], s[8:9], 0x0
	v_cmp_lt_i64_e64 s22, s[40:41], 1
	s_ashr_i32 s7, s6, 31
	s_ashr_i32 s35, s34, 31
	s_lshl_b64 s[8:9], s[6:7], 5
	s_and_b32 vcc_lo, exec_lo, s22
	s_lshl_b64 s[22:23], s[34:35], 5
	s_cbranch_vccnz .LBB288_9
; %bb.1:
	v_lshl_add_u32 v5, v1, 4, v0
	v_and_b32_e32 v27, 7, v0
	s_add_u32 s12, s12, s0
	s_addc_u32 s13, s13, s1
	s_add_u32 s0, s46, s0
	v_lshrrev_b32_e32 v12, 3, v5
	v_mad_u64_u32 v[3:4], null, s14, v27, 0
	s_addc_u32 s1, s47, s1
	v_lshrrev_b32_e32 v28, 5, v5
	s_load_dwordx2 s[12:13], s[12:13], 0x0
	s_load_dwordx2 s[28:29], s[0:1], 0x0
	v_and_b32_e32 v11, 31, v5
	v_add_co_u32 v5, s0, v12, s22
	v_add_co_ci_u32_e64 v6, null, 0, s23, s0
	v_or_b32_e32 v7, s8, v11
	v_mad_u64_u32 v[9:10], null, s15, v27, v[4:5]
	v_lshlrev_b32_e32 v14, 4, v11
	v_mad_u64_u32 v[10:11], null, s48, v28, 0
	v_cmp_gt_i64_e64 s0, s[38:39], v[5:6]
	s_lshl_b64 s[34:35], s[34:35], 9
	s_lshl_b64 s[16:17], s[16:17], 4
	v_mov_b32_e32 v4, v9
	s_add_u32 s1, s16, s34
	s_addc_u32 s16, s17, s35
	v_mov_b32_e32 v5, v11
	s_lshl_b64 s[34:35], s[50:51], 4
	v_lshlrev_b64 v[3:4], 4, v[3:4]
	v_lshlrev_b32_e32 v13, 4, v27
	v_mov_b32_e32 v8, s9
	v_mad_u64_u32 v[5:6], null, s49, v28, v[5:6]
	v_lshlrev_b32_e32 v6, 4, v12
	v_add_co_u32 v3, s1, s1, v3
	v_add_co_ci_u32_e64 v4, null, s16, v4, s1
	s_lshl_b64 s[16:17], s[6:7], 9
	v_mov_b32_e32 v11, v5
	v_add_co_u32 v5, s1, v3, v6
	v_add_co_ci_u32_e64 v6, null, 0, v4, s1
	v_lshlrev_b64 v[3:4], 4, v[10:11]
	s_lshl_b64 s[6:7], s[14:15], 7
	s_add_u32 s1, s34, s16
	s_addc_u32 s14, s35, s17
	v_lshl_or_b32 v13, v12, 7, v13
	v_cmp_gt_i64_e32 vcc_lo, s[36:37], v[7:8]
	v_add_co_u32 v3, s1, s1, v3
	v_add_co_ci_u32_e64 v4, null, s14, v4, s1
	s_waitcnt lgkmcnt(0)
	v_add_co_u32 v23, s1, s12, v5
	v_add_co_ci_u32_e64 v24, null, s13, v6, s1
	v_add_co_u32 v3, s1, v3, v14
	v_add_co_ci_u32_e64 v4, null, 0, v4, s1
	v_lshl_or_b32 v29, v28, 9, v14
	v_add_co_u32 v25, s1, s28, v3
	v_add_nc_u32_e32 v30, 0x1000, v13
	v_mov_b32_e32 v9, 0
	v_mov_b32_e32 v7, 0
	;; [unrolled: 1-line block ×8, first 2 shown]
	v_lshlrev_b32_e32 v31, 4, v0
	v_lshl_add_u32 v32, v1, 7, 0x1000
	v_mov_b32_e32 v10, 0
	v_mov_b32_e32 v8, 0
	;; [unrolled: 1-line block ×8, first 2 shown]
	v_add_co_ci_u32_e64 v26, null, s29, v4, s1
	s_lshl_b64 s[12:13], s[48:49], 7
	s_mov_b64 s[14:15], 0
	s_xor_b32 s1, vcc_lo, -1
	s_branch .LBB288_3
.LBB288_2:                              ;   in Loop: Header=BB288_3 Depth=1
	s_or_b32 exec_lo, exec_lo, s16
	ds_write_b128 v30, v[3:6]
	s_waitcnt lgkmcnt(0)
	s_barrier
	buffer_gl0_inv
	ds_read_b128 v[3:6], v32
	ds_read_b128 v[33:36], v31
	ds_read_b128 v[37:40], v31 offset:256
	ds_read_b128 v[41:44], v32 offset:2048
	;; [unrolled: 1-line block ×12, first 2 shown]
	s_add_u32 s14, s14, 8
	s_addc_u32 s15, s15, 0
	v_add_co_u32 v23, vcc_lo, v23, s6
	v_cmp_lt_i64_e64 s16, s[14:15], s[40:41]
	v_add_co_ci_u32_e64 v24, null, s7, v24, vcc_lo
	s_waitcnt lgkmcnt(12)
	v_mul_f64 v[85:86], v[5:6], v[35:36]
	v_mul_f64 v[87:88], v[3:4], v[35:36]
	s_waitcnt lgkmcnt(11)
	v_mul_f64 v[89:90], v[5:6], v[39:40]
	v_mul_f64 v[91:92], v[3:4], v[39:40]
	s_waitcnt lgkmcnt(10)
	v_mul_f64 v[93:94], v[43:44], v[35:36]
	v_mul_f64 v[35:36], v[41:42], v[35:36]
	v_mul_f64 v[95:96], v[43:44], v[39:40]
	v_mul_f64 v[39:40], v[41:42], v[39:40]
	s_waitcnt lgkmcnt(8)
	v_mul_f64 v[97:98], v[47:48], v[51:52]
	v_mul_f64 v[99:100], v[45:46], v[51:52]
	s_waitcnt lgkmcnt(7)
	;; [unrolled: 3-line block ×3, first 2 shown]
	v_mul_f64 v[105:106], v[59:60], v[51:52]
	v_mul_f64 v[51:52], v[57:58], v[51:52]
	;; [unrolled: 1-line block ×4, first 2 shown]
	s_waitcnt lgkmcnt(4)
	v_mul_f64 v[109:110], v[63:64], v[67:68]
	v_mul_f64 v[111:112], v[61:62], v[67:68]
	s_waitcnt lgkmcnt(3)
	v_mul_f64 v[113:114], v[63:64], v[71:72]
	v_mul_f64 v[115:116], v[61:62], v[71:72]
	;; [unrolled: 3-line block ×3, first 2 shown]
	v_fma_f64 v[85:86], v[3:4], v[33:34], -v[85:86]
	v_fma_f64 v[87:88], v[5:6], v[33:34], v[87:88]
	v_fma_f64 v[89:90], v[3:4], v[37:38], -v[89:90]
	v_fma_f64 v[91:92], v[5:6], v[37:38], v[91:92]
	;; [unrolled: 2-line block ×4, first 2 shown]
	v_mul_f64 v[123:124], v[75:76], v[71:72]
	v_mul_f64 v[71:72], v[73:74], v[71:72]
	ds_read_b128 v[3:6], v31 offset:1536
	ds_read_b128 v[33:36], v31 offset:1792
	v_fma_f64 v[97:98], v[45:46], v[49:50], -v[97:98]
	v_fma_f64 v[99:100], v[47:48], v[49:50], v[99:100]
	v_fma_f64 v[101:102], v[45:46], v[53:54], -v[101:102]
	v_fma_f64 v[103:104], v[47:48], v[53:54], v[103:104]
	;; [unrolled: 2-line block ×7, first 2 shown]
	v_add_f64 v[19:20], v[19:20], v[85:86]
	v_add_f64 v[21:22], v[87:88], v[21:22]
	;; [unrolled: 1-line block ×4, first 2 shown]
	s_waitcnt lgkmcnt(1)
	v_mul_f64 v[109:110], v[79:80], v[5:6]
	s_waitcnt lgkmcnt(0)
	v_mul_f64 v[67:68], v[79:80], v[35:36]
	v_fma_f64 v[73:74], v[73:74], v[69:70], -v[123:124]
	v_fma_f64 v[69:70], v[75:76], v[69:70], v[71:72]
	v_add_f64 v[71:72], v[11:12], v[93:94]
	v_add_f64 v[13:14], v[119:120], v[13:14]
	;; [unrolled: 1-line block ×4, first 2 shown]
	ds_read_b128 v[37:40], v32 offset:64
	ds_read_b128 v[41:44], v31 offset:2048
	;; [unrolled: 1-line block ×3, first 2 shown]
	v_mul_f64 v[111:112], v[77:78], v[5:6]
	v_mul_f64 v[113:114], v[77:78], v[35:36]
	;; [unrolled: 1-line block ×6, first 2 shown]
	ds_read_b128 v[49:52], v32 offset:2112
	ds_read_b128 v[9:12], v32 offset:2128
	v_add_f64 v[97:98], v[19:20], v[97:98]
	v_add_f64 v[21:22], v[99:100], v[21:22]
	;; [unrolled: 1-line block ×4, first 2 shown]
	v_fma_f64 v[89:90], v[77:78], v[3:4], -v[109:110]
	v_fma_f64 v[67:68], v[77:78], v[33:34], -v[67:68]
	ds_read_b128 v[5:8], v32 offset:80
	ds_read_b128 v[17:20], v31 offset:2816
	v_add_f64 v[71:72], v[71:72], v[105:106]
	v_add_f64 v[103:104], v[125:126], v[13:14]
	s_waitcnt lgkmcnt(5)
	v_mul_f64 v[77:78], v[39:40], v[43:44]
	v_mul_f64 v[93:94], v[37:38], v[43:44]
	v_add_f64 v[57:58], v[75:76], v[57:58]
	v_add_f64 v[53:54], v[53:54], v[85:86]
	ds_read_b128 v[13:16], v31 offset:2560
	s_waitcnt lgkmcnt(5)
	v_mul_f64 v[95:96], v[39:40], v[47:48]
	v_mul_f64 v[109:110], v[37:38], v[47:48]
	v_fma_f64 v[91:92], v[79:80], v[3:4], v[111:112]
	v_fma_f64 v[79:80], v[79:80], v[33:34], v[113:114]
	s_waitcnt lgkmcnt(4)
	v_mul_f64 v[111:112], v[51:52], v[43:44]
	v_mul_f64 v[43:44], v[49:50], v[43:44]
	v_fma_f64 v[75:76], v[81:82], v[3:4], -v[115:116]
	v_fma_f64 v[3:4], v[83:84], v[3:4], v[117:118]
	v_fma_f64 v[81:82], v[81:82], v[33:34], -v[87:88]
	v_fma_f64 v[83:84], v[83:84], v[33:34], v[35:36]
	v_add_f64 v[55:56], v[97:98], v[55:56]
	v_add_f64 v[59:60], v[59:60], v[21:22]
	;; [unrolled: 1-line block ×4, first 2 shown]
	s_waitcnt lgkmcnt(1)
	v_mul_f64 v[97:98], v[7:8], v[19:20]
	v_add_f64 v[71:72], v[71:72], v[107:108]
	v_add_f64 v[65:66], v[65:66], v[103:104]
	v_fma_f64 v[77:78], v[37:38], v[41:42], -v[77:78]
	v_fma_f64 v[85:86], v[39:40], v[41:42], v[93:94]
	v_add_f64 v[57:58], v[57:58], v[73:74]
	v_add_f64 v[53:54], v[69:70], v[53:54]
	s_waitcnt lgkmcnt(0)
	v_mul_f64 v[69:70], v[7:8], v[15:16]
	v_fma_f64 v[87:88], v[37:38], v[45:46], -v[95:96]
	v_fma_f64 v[93:94], v[39:40], v[45:46], v[109:110]
	v_mul_f64 v[37:38], v[51:52], v[47:48]
	v_mul_f64 v[39:40], v[49:50], v[47:48]
	v_fma_f64 v[47:48], v[49:50], v[41:42], -v[111:112]
	v_fma_f64 v[95:96], v[51:52], v[41:42], v[43:44]
	v_mul_f64 v[73:74], v[5:6], v[15:16]
	v_mul_f64 v[99:100], v[5:6], v[19:20]
	;; [unrolled: 1-line block ×6, first 2 shown]
	ds_read_b128 v[19:22], v32 offset:96
	ds_read_b128 v[33:36], v31 offset:3072
	v_add_co_u32 v25, vcc_lo, v25, s12
	v_add_co_ci_u32_e64 v26, null, s13, v26, vcc_lo
	v_add_f64 v[65:66], v[3:4], v[65:66]
	s_and_b32 vcc_lo, exec_lo, s16
	v_add_f64 v[57:58], v[57:58], v[81:82]
	v_add_f64 v[53:54], v[83:84], v[53:54]
	v_fma_f64 v[49:50], v[49:50], v[45:46], -v[37:38]
	v_fma_f64 v[45:46], v[51:52], v[45:46], v[39:40]
	v_add_f64 v[51:52], v[55:56], v[89:90]
	v_add_f64 v[55:56], v[91:92], v[59:60]
	;; [unrolled: 1-line block ×5, first 2 shown]
	ds_read_b128 v[37:40], v31 offset:3328
	ds_read_b128 v[41:44], v32 offset:2144
	v_fma_f64 v[67:68], v[5:6], v[13:14], -v[69:70]
	v_fma_f64 v[69:70], v[7:8], v[13:14], v[73:74]
	v_fma_f64 v[71:72], v[5:6], v[17:18], -v[97:98]
	v_fma_f64 v[73:74], v[7:8], v[17:18], v[99:100]
	;; [unrolled: 2-line block ×3, first 2 shown]
	v_fma_f64 v[81:82], v[9:10], v[17:18], -v[103:104]
	s_waitcnt lgkmcnt(2)
	v_mul_f64 v[83:84], v[21:22], v[35:36]
	v_fma_f64 v[89:90], v[11:12], v[17:18], v[105:106]
	v_mul_f64 v[91:92], v[19:20], v[35:36]
	ds_read_b128 v[3:6], v32 offset:112
	ds_read_b128 v[7:10], v32 offset:2160
	;; [unrolled: 1-line block ×4, first 2 shown]
	s_waitcnt lgkmcnt(0)
	v_add_f64 v[49:50], v[57:58], v[49:50]
	v_add_f64 v[45:46], v[45:46], v[53:54]
	;; [unrolled: 1-line block ×4, first 2 shown]
	v_mul_f64 v[97:98], v[21:22], v[39:40]
	v_mul_f64 v[99:100], v[19:20], v[39:40]
	;; [unrolled: 1-line block ×4, first 2 shown]
	v_add_f64 v[59:60], v[59:60], v[87:88]
	v_add_f64 v[61:62], v[93:94], v[61:62]
	;; [unrolled: 1-line block ×4, first 2 shown]
	v_mul_f64 v[53:54], v[43:44], v[39:40]
	v_mul_f64 v[39:40], v[41:42], v[39:40]
	s_barrier
	v_fma_f64 v[57:58], v[19:20], v[33:34], -v[83:84]
	buffer_gl0_inv
	v_fma_f64 v[65:66], v[21:22], v[33:34], v[91:92]
	v_add_f64 v[49:50], v[49:50], v[81:82]
	v_add_f64 v[45:46], v[89:90], v[45:46]
	v_fma_f64 v[19:20], v[19:20], v[37:38], -v[97:98]
	v_fma_f64 v[21:22], v[21:22], v[37:38], v[99:100]
	v_fma_f64 v[77:78], v[41:42], v[33:34], -v[101:102]
	v_fma_f64 v[33:34], v[43:44], v[33:34], v[35:36]
	v_add_f64 v[35:36], v[51:52], v[67:68]
	v_add_f64 v[51:52], v[69:70], v[55:56]
	;; [unrolled: 1-line block ×6, first 2 shown]
	v_fma_f64 v[41:42], v[41:42], v[37:38], -v[53:54]
	v_fma_f64 v[37:38], v[43:44], v[37:38], v[39:40]
	v_mul_f64 v[39:40], v[5:6], v[13:14]
	v_mul_f64 v[43:44], v[3:4], v[13:14]
	;; [unrolled: 1-line block ×8, first 2 shown]
	v_add_f64 v[35:36], v[35:36], v[57:58]
	v_add_f64 v[51:52], v[65:66], v[51:52]
	;; [unrolled: 1-line block ×8, first 2 shown]
	v_fma_f64 v[19:20], v[3:4], v[11:12], -v[39:40]
	v_fma_f64 v[21:22], v[5:6], v[11:12], v[43:44]
	v_fma_f64 v[3:4], v[3:4], v[15:16], -v[53:54]
	v_fma_f64 v[5:6], v[5:6], v[15:16], v[63:64]
	;; [unrolled: 2-line block ×4, first 2 shown]
	v_add_f64 v[19:20], v[35:36], v[19:20]
	v_add_f64 v[21:22], v[21:22], v[51:52]
	;; [unrolled: 1-line block ×8, first 2 shown]
	s_cbranch_vccz .LBB288_10
.LBB288_3:                              ; =>This Inner Loop Header: Depth=1
	v_add_co_u32 v3, s16, v28, s14
	v_add_co_ci_u32_e64 v4, null, 0, s15, s16
	v_cmp_le_i64_e32 vcc_lo, s[40:41], v[3:4]
	s_or_b32 s16, s1, vcc_lo
	s_and_saveexec_b32 s17, s16
	s_xor_b32 s16, exec_lo, s17
	s_cbranch_execz .LBB288_5
; %bb.4:                                ;   in Loop: Header=BB288_3 Depth=1
	v_mov_b32_e32 v3, v2
	v_mov_b32_e32 v4, v2
	;; [unrolled: 1-line block ×3, first 2 shown]
	ds_write_b128 v29, v[2:5]
.LBB288_5:                              ;   in Loop: Header=BB288_3 Depth=1
	s_andn2_saveexec_b32 s16, s16
	s_cbranch_execz .LBB288_7
; %bb.6:                                ;   in Loop: Header=BB288_3 Depth=1
	flat_load_dwordx4 v[3:6], v[25:26]
	s_waitcnt vmcnt(0) lgkmcnt(0)
	ds_write2_b64 v29, v[3:4], v[5:6] offset1:1
.LBB288_7:                              ;   in Loop: Header=BB288_3 Depth=1
	s_or_b32 exec_lo, exec_lo, s16
	v_add_co_u32 v3, s16, v27, s14
	v_add_co_ci_u32_e64 v4, null, 0, s15, s16
	v_mov_b32_e32 v5, 0
	v_mov_b32_e32 v6, 0
	v_cmp_gt_i64_e32 vcc_lo, s[40:41], v[3:4]
	v_mov_b32_e32 v3, 0
	v_mov_b32_e32 v4, 0
	s_and_b32 s17, vcc_lo, s0
	s_and_saveexec_b32 s16, s17
	s_cbranch_execz .LBB288_2
; %bb.8:                                ;   in Loop: Header=BB288_3 Depth=1
	flat_load_dwordx4 v[3:6], v[23:24]
	s_waitcnt vmcnt(0) lgkmcnt(0)
	v_xor_b32_e32 v6, 0x80000000, v6
	s_branch .LBB288_2
.LBB288_9:
	v_mov_b32_e32 v19, 0
	v_mov_b32_e32 v21, 0
	;; [unrolled: 1-line block ×16, first 2 shown]
.LBB288_10:
	v_cmp_neq_f64_e64 s7, s[18:19], 0
	v_cmp_neq_f64_e64 s12, s[20:21], 0
	s_lshl_b64 s[0:1], s[2:3], 4
	v_add_co_u32 v1, s2, s22, v1
	v_add_co_ci_u32_e64 v2, null, s23, 0, s2
	s_waitcnt lgkmcnt(0)
	s_add_u32 s3, s10, s0
	s_addc_u32 s6, s11, s1
	v_cmp_gt_i64_e64 s0, s[38:39], v[1:2]
	s_or_b32 s1, s7, s12
	s_and_b32 vcc_lo, exec_lo, s1
	s_mov_b32 s1, -1
	s_cbranch_vccnz .LBB288_22
; %bb.11:
	s_and_saveexec_b32 s7, s0
	s_cbranch_execz .LBB288_21
; %bb.12:
	v_mul_lo_u32 v5, v2, s30
	v_mul_lo_u32 v6, v1, s31
	v_mad_u64_u32 v[3:4], null, v1, s30, 0
	v_add3_u32 v4, v4, v6, v5
	v_add_co_u32 v5, s1, s8, v0
	v_add_co_ci_u32_e64 v6, null, s9, 0, s1
	v_lshlrev_b64 v[23:24], 4, v[3:4]
	v_cmp_gt_i64_e32 vcc_lo, s[36:37], v[5:6]
	v_lshlrev_b64 v[3:4], 4, v[5:6]
	v_add_co_u32 v23, s1, s3, v23
	v_add_co_ci_u32_e64 v24, null, s6, v24, s1
	s_and_saveexec_b32 s2, vcc_lo
	s_cbranch_execz .LBB288_14
; %bb.13:
	v_mul_f64 v[25:26], s[44:45], v[21:22]
	v_mul_f64 v[27:28], s[42:43], v[21:22]
	v_add_co_u32 v29, s1, v23, v3
	v_add_co_ci_u32_e64 v30, null, v24, v4, s1
	v_fma_f64 v[25:26], s[42:43], v[19:20], -v[25:26]
	v_fma_f64 v[27:28], s[44:45], v[19:20], v[27:28]
	flat_store_dwordx4 v[29:30], v[25:28]
.LBB288_14:
	s_or_b32 exec_lo, exec_lo, s2
	v_add_co_u32 v5, s1, v5, 16
	v_add_co_ci_u32_e64 v6, null, 0, v6, s1
	v_cmp_gt_i64_e64 s1, s[36:37], v[5:6]
	s_and_saveexec_b32 s10, s1
	s_cbranch_execz .LBB288_16
; %bb.15:
	v_mul_f64 v[5:6], s[44:45], v[17:18]
	v_mul_f64 v[27:28], s[42:43], v[17:18]
	v_fma_f64 v[25:26], s[42:43], v[15:16], -v[5:6]
	v_fma_f64 v[27:28], s[44:45], v[15:16], v[27:28]
	v_add_co_u32 v5, s2, v23, v3
	v_add_co_ci_u32_e64 v6, null, v24, v4, s2
	flat_store_dwordx4 v[5:6], v[25:28] offset:256
.LBB288_16:
	s_or_b32 exec_lo, exec_lo, s10
	v_add_co_u32 v5, s2, v1, 16
	v_add_co_ci_u32_e64 v6, null, 0, v2, s2
	v_cmp_gt_i64_e64 s2, s[38:39], v[5:6]
	s_and_b32 exec_lo, exec_lo, s2
	s_cbranch_execz .LBB288_21
; %bb.17:
	s_lshl_b64 s[10:11], s[30:31], 8
	v_add_co_u32 v5, s2, v23, s10
	v_add_co_ci_u32_e64 v6, null, s11, v24, s2
	v_add_co_u32 v3, s2, v5, v3
	v_add_co_ci_u32_e64 v4, null, v6, v4, s2
	s_and_saveexec_b32 s2, vcc_lo
	s_cbranch_execz .LBB288_19
; %bb.18:
	v_mul_f64 v[5:6], s[44:45], v[13:14]
	v_mul_f64 v[25:26], s[42:43], v[13:14]
	v_fma_f64 v[23:24], s[42:43], v[11:12], -v[5:6]
	v_fma_f64 v[25:26], s[44:45], v[11:12], v[25:26]
	flat_store_dwordx4 v[3:4], v[23:26]
.LBB288_19:
	s_or_b32 exec_lo, exec_lo, s2
	s_and_b32 exec_lo, exec_lo, s1
	s_cbranch_execz .LBB288_21
; %bb.20:
	v_mul_f64 v[5:6], s[44:45], v[9:10]
	v_mul_f64 v[25:26], s[42:43], v[9:10]
	v_fma_f64 v[23:24], s[42:43], v[7:8], -v[5:6]
	v_fma_f64 v[25:26], s[44:45], v[7:8], v[25:26]
	flat_store_dwordx4 v[3:4], v[23:26] offset:256
.LBB288_21:
	s_or_b32 exec_lo, exec_lo, s7
	s_mov_b32 s1, 0
.LBB288_22:
	s_andn2_b32 vcc_lo, exec_lo, s1
	s_cbranch_vccnz .LBB288_33
; %bb.23:
	s_and_saveexec_b32 s1, s0
	s_cbranch_execz .LBB288_33
; %bb.24:
	v_mul_lo_u32 v5, v2, s24
	v_mul_lo_u32 v6, v1, s25
	v_mad_u64_u32 v[3:4], null, v1, s24, 0
	v_mul_lo_u32 v25, v2, s30
	v_mul_lo_u32 v26, v1, s31
	v_mad_u64_u32 v[23:24], null, v1, s30, 0
	s_lshl_b64 s[0:1], s[26:27], 4
	v_add3_u32 v4, v4, v6, v5
	v_add_co_u32 v5, s2, s8, v0
	v_add_co_ci_u32_e64 v6, null, s9, 0, s2
	v_add3_u32 v24, v24, v26, v25
	v_lshlrev_b64 v[3:4], 4, v[3:4]
	s_add_u32 s0, s4, s0
	s_addc_u32 s1, s5, s1
	v_cmp_gt_i64_e32 vcc_lo, s[36:37], v[5:6]
	v_lshlrev_b64 v[24:25], 4, v[23:24]
	v_add_co_u32 v0, s0, s0, v3
	v_add_co_ci_u32_e64 v23, null, s1, v4, s0
	v_add_co_u32 v24, s0, s3, v24
	v_lshlrev_b64 v[3:4], 4, v[5:6]
	v_add_co_ci_u32_e64 v25, null, s6, v25, s0
	s_and_saveexec_b32 s1, vcc_lo
	s_cbranch_execz .LBB288_26
; %bb.25:
	v_add_co_u32 v26, s0, v0, v3
	v_add_co_ci_u32_e64 v27, null, v23, v4, s0
	v_mul_f64 v[30:31], s[44:45], v[21:22]
	v_mul_f64 v[21:22], s[42:43], v[21:22]
	flat_load_dwordx4 v[26:29], v[26:27]
	v_fma_f64 v[30:31], s[42:43], v[19:20], -v[30:31]
	v_fma_f64 v[21:22], s[44:45], v[19:20], v[21:22]
	s_waitcnt vmcnt(0) lgkmcnt(0)
	v_mul_f64 v[32:33], s[20:21], v[28:29]
	v_mul_f64 v[28:29], s[18:19], v[28:29]
	v_fma_f64 v[19:20], s[18:19], v[26:27], -v[32:33]
	v_fma_f64 v[26:27], s[20:21], v[26:27], v[28:29]
	v_add_f64 v[19:20], v[30:31], v[19:20]
	v_add_f64 v[21:22], v[21:22], v[26:27]
	v_add_co_u32 v26, s0, v24, v3
	v_add_co_ci_u32_e64 v27, null, v25, v4, s0
	flat_store_dwordx4 v[26:27], v[19:22]
.LBB288_26:
	s_or_b32 exec_lo, exec_lo, s1
	v_add_co_u32 v5, s0, v5, 16
	v_add_co_ci_u32_e64 v6, null, 0, v6, s0
	v_cmp_gt_i64_e64 s0, s[36:37], v[5:6]
	s_and_saveexec_b32 s2, s0
	s_cbranch_execz .LBB288_28
; %bb.27:
	v_add_co_u32 v5, s1, v0, v3
	v_add_co_ci_u32_e64 v6, null, v23, v4, s1
	flat_load_dwordx4 v[19:22], v[5:6] offset:256
	v_mul_f64 v[5:6], s[44:45], v[17:18]
	v_mul_f64 v[17:18], s[42:43], v[17:18]
	v_fma_f64 v[5:6], s[42:43], v[15:16], -v[5:6]
	v_fma_f64 v[17:18], s[44:45], v[15:16], v[17:18]
	s_waitcnt vmcnt(0) lgkmcnt(0)
	v_mul_f64 v[26:27], s[20:21], v[21:22]
	v_mul_f64 v[21:22], s[18:19], v[21:22]
	v_fma_f64 v[15:16], s[18:19], v[19:20], -v[26:27]
	v_fma_f64 v[19:20], s[20:21], v[19:20], v[21:22]
	v_add_f64 v[15:16], v[5:6], v[15:16]
	v_add_f64 v[17:18], v[17:18], v[19:20]
	v_add_co_u32 v5, s1, v24, v3
	v_add_co_ci_u32_e64 v6, null, v25, v4, s1
	flat_store_dwordx4 v[5:6], v[15:18] offset:256
.LBB288_28:
	s_or_b32 exec_lo, exec_lo, s2
	v_add_co_u32 v1, s1, v1, 16
	v_add_co_ci_u32_e64 v2, null, 0, v2, s1
	v_cmp_gt_i64_e64 s1, s[38:39], v[1:2]
	s_and_b32 exec_lo, exec_lo, s1
	s_cbranch_execz .LBB288_33
; %bb.29:
	s_lshl_b64 s[2:3], s[24:25], 8
	v_add_co_u32 v0, s1, v0, s2
	v_add_co_ci_u32_e64 v1, null, s3, v23, s1
	s_lshl_b64 s[2:3], s[30:31], 8
	v_add_co_u32 v2, s1, v24, s2
	v_add_co_ci_u32_e64 v15, null, s3, v25, s1
	v_add_co_u32 v5, s1, v0, v3
	v_add_co_ci_u32_e64 v6, null, v1, v4, s1
	;; [unrolled: 2-line block ×3, first 2 shown]
	s_and_saveexec_b32 s1, vcc_lo
	s_cbranch_execz .LBB288_31
; %bb.30:
	flat_load_dwordx4 v[15:18], v[5:6]
	v_mul_f64 v[2:3], s[44:45], v[13:14]
	v_mul_f64 v[13:14], s[42:43], v[13:14]
	v_fma_f64 v[2:3], s[42:43], v[11:12], -v[2:3]
	v_fma_f64 v[13:14], s[44:45], v[11:12], v[13:14]
	s_waitcnt vmcnt(0) lgkmcnt(0)
	v_mul_f64 v[19:20], s[20:21], v[17:18]
	v_mul_f64 v[17:18], s[18:19], v[17:18]
	v_fma_f64 v[11:12], s[18:19], v[15:16], -v[19:20]
	v_fma_f64 v[15:16], s[20:21], v[15:16], v[17:18]
	v_add_f64 v[11:12], v[2:3], v[11:12]
	v_add_f64 v[13:14], v[13:14], v[15:16]
	flat_store_dwordx4 v[0:1], v[11:14]
.LBB288_31:
	s_or_b32 exec_lo, exec_lo, s1
	s_and_b32 exec_lo, exec_lo, s0
	s_cbranch_execz .LBB288_33
; %bb.32:
	flat_load_dwordx4 v[2:5], v[5:6] offset:256
	v_mul_f64 v[11:12], s[44:45], v[9:10]
	v_mul_f64 v[9:10], s[42:43], v[9:10]
	v_fma_f64 v[11:12], s[42:43], v[7:8], -v[11:12]
	v_fma_f64 v[6:7], s[44:45], v[7:8], v[9:10]
	s_waitcnt vmcnt(0) lgkmcnt(0)
	v_mul_f64 v[13:14], s[20:21], v[4:5]
	v_mul_f64 v[4:5], s[18:19], v[4:5]
	v_fma_f64 v[8:9], s[18:19], v[2:3], -v[13:14]
	v_fma_f64 v[4:5], s[20:21], v[2:3], v[4:5]
	v_add_f64 v[2:3], v[11:12], v[8:9]
	v_add_f64 v[4:5], v[6:7], v[4:5]
	flat_store_dwordx4 v[0:1], v[2:5] offset:256
.LBB288_33:
	s_endpgm
	.section	.rodata,"a",@progbits
	.p2align	6, 0x0
	.amdhsa_kernel _ZN12_GLOBAL__N_135rocblas_gemm_batched_general_kernelI19rocblas_complex_numIdELi16ELi16ELi32ELi32ELi8ELi32ELi8ELi8ELi32ELc78ELc67EKPKS2_S5_KPS2_EEvlllT_PT11_llSA_llS8_PT12_llPT13_lli
		.amdhsa_group_segment_fixed_size 8192
		.amdhsa_private_segment_fixed_size 0
		.amdhsa_kernarg_size 156
		.amdhsa_user_sgpr_count 6
		.amdhsa_user_sgpr_private_segment_buffer 1
		.amdhsa_user_sgpr_dispatch_ptr 0
		.amdhsa_user_sgpr_queue_ptr 0
		.amdhsa_user_sgpr_kernarg_segment_ptr 1
		.amdhsa_user_sgpr_dispatch_id 0
		.amdhsa_user_sgpr_flat_scratch_init 0
		.amdhsa_user_sgpr_private_segment_size 0
		.amdhsa_wavefront_size32 1
		.amdhsa_uses_dynamic_stack 0
		.amdhsa_system_sgpr_private_segment_wavefront_offset 0
		.amdhsa_system_sgpr_workgroup_id_x 1
		.amdhsa_system_sgpr_workgroup_id_y 1
		.amdhsa_system_sgpr_workgroup_id_z 1
		.amdhsa_system_sgpr_workgroup_info 0
		.amdhsa_system_vgpr_workitem_id 1
		.amdhsa_next_free_vgpr 127
		.amdhsa_next_free_sgpr 52
		.amdhsa_reserve_vcc 1
		.amdhsa_reserve_flat_scratch 0
		.amdhsa_float_round_mode_32 0
		.amdhsa_float_round_mode_16_64 0
		.amdhsa_float_denorm_mode_32 3
		.amdhsa_float_denorm_mode_16_64 3
		.amdhsa_dx10_clamp 1
		.amdhsa_ieee_mode 1
		.amdhsa_fp16_overflow 0
		.amdhsa_workgroup_processor_mode 1
		.amdhsa_memory_ordered 1
		.amdhsa_forward_progress 1
		.amdhsa_shared_vgpr_count 0
		.amdhsa_exception_fp_ieee_invalid_op 0
		.amdhsa_exception_fp_denorm_src 0
		.amdhsa_exception_fp_ieee_div_zero 0
		.amdhsa_exception_fp_ieee_overflow 0
		.amdhsa_exception_fp_ieee_underflow 0
		.amdhsa_exception_fp_ieee_inexact 0
		.amdhsa_exception_int_div_zero 0
	.end_amdhsa_kernel
	.section	.text._ZN12_GLOBAL__N_135rocblas_gemm_batched_general_kernelI19rocblas_complex_numIdELi16ELi16ELi32ELi32ELi8ELi32ELi8ELi8ELi32ELc78ELc67EKPKS2_S5_KPS2_EEvlllT_PT11_llSA_llS8_PT12_llPT13_lli,"axG",@progbits,_ZN12_GLOBAL__N_135rocblas_gemm_batched_general_kernelI19rocblas_complex_numIdELi16ELi16ELi32ELi32ELi8ELi32ELi8ELi8ELi32ELc78ELc67EKPKS2_S5_KPS2_EEvlllT_PT11_llSA_llS8_PT12_llPT13_lli,comdat
.Lfunc_end288:
	.size	_ZN12_GLOBAL__N_135rocblas_gemm_batched_general_kernelI19rocblas_complex_numIdELi16ELi16ELi32ELi32ELi8ELi32ELi8ELi8ELi32ELc78ELc67EKPKS2_S5_KPS2_EEvlllT_PT11_llSA_llS8_PT12_llPT13_lli, .Lfunc_end288-_ZN12_GLOBAL__N_135rocblas_gemm_batched_general_kernelI19rocblas_complex_numIdELi16ELi16ELi32ELi32ELi8ELi32ELi8ELi8ELi32ELc78ELc67EKPKS2_S5_KPS2_EEvlllT_PT11_llSA_llS8_PT12_llPT13_lli
                                        ; -- End function
	.set _ZN12_GLOBAL__N_135rocblas_gemm_batched_general_kernelI19rocblas_complex_numIdELi16ELi16ELi32ELi32ELi8ELi32ELi8ELi8ELi32ELc78ELc67EKPKS2_S5_KPS2_EEvlllT_PT11_llSA_llS8_PT12_llPT13_lli.num_vgpr, 127
	.set _ZN12_GLOBAL__N_135rocblas_gemm_batched_general_kernelI19rocblas_complex_numIdELi16ELi16ELi32ELi32ELi8ELi32ELi8ELi8ELi32ELc78ELc67EKPKS2_S5_KPS2_EEvlllT_PT11_llSA_llS8_PT12_llPT13_lli.num_agpr, 0
	.set _ZN12_GLOBAL__N_135rocblas_gemm_batched_general_kernelI19rocblas_complex_numIdELi16ELi16ELi32ELi32ELi8ELi32ELi8ELi8ELi32ELc78ELc67EKPKS2_S5_KPS2_EEvlllT_PT11_llSA_llS8_PT12_llPT13_lli.numbered_sgpr, 52
	.set _ZN12_GLOBAL__N_135rocblas_gemm_batched_general_kernelI19rocblas_complex_numIdELi16ELi16ELi32ELi32ELi8ELi32ELi8ELi8ELi32ELc78ELc67EKPKS2_S5_KPS2_EEvlllT_PT11_llSA_llS8_PT12_llPT13_lli.num_named_barrier, 0
	.set _ZN12_GLOBAL__N_135rocblas_gemm_batched_general_kernelI19rocblas_complex_numIdELi16ELi16ELi32ELi32ELi8ELi32ELi8ELi8ELi32ELc78ELc67EKPKS2_S5_KPS2_EEvlllT_PT11_llSA_llS8_PT12_llPT13_lli.private_seg_size, 0
	.set _ZN12_GLOBAL__N_135rocblas_gemm_batched_general_kernelI19rocblas_complex_numIdELi16ELi16ELi32ELi32ELi8ELi32ELi8ELi8ELi32ELc78ELc67EKPKS2_S5_KPS2_EEvlllT_PT11_llSA_llS8_PT12_llPT13_lli.uses_vcc, 1
	.set _ZN12_GLOBAL__N_135rocblas_gemm_batched_general_kernelI19rocblas_complex_numIdELi16ELi16ELi32ELi32ELi8ELi32ELi8ELi8ELi32ELc78ELc67EKPKS2_S5_KPS2_EEvlllT_PT11_llSA_llS8_PT12_llPT13_lli.uses_flat_scratch, 0
	.set _ZN12_GLOBAL__N_135rocblas_gemm_batched_general_kernelI19rocblas_complex_numIdELi16ELi16ELi32ELi32ELi8ELi32ELi8ELi8ELi32ELc78ELc67EKPKS2_S5_KPS2_EEvlllT_PT11_llSA_llS8_PT12_llPT13_lli.has_dyn_sized_stack, 0
	.set _ZN12_GLOBAL__N_135rocblas_gemm_batched_general_kernelI19rocblas_complex_numIdELi16ELi16ELi32ELi32ELi8ELi32ELi8ELi8ELi32ELc78ELc67EKPKS2_S5_KPS2_EEvlllT_PT11_llSA_llS8_PT12_llPT13_lli.has_recursion, 0
	.set _ZN12_GLOBAL__N_135rocblas_gemm_batched_general_kernelI19rocblas_complex_numIdELi16ELi16ELi32ELi32ELi8ELi32ELi8ELi8ELi32ELc78ELc67EKPKS2_S5_KPS2_EEvlllT_PT11_llSA_llS8_PT12_llPT13_lli.has_indirect_call, 0
	.section	.AMDGPU.csdata,"",@progbits
; Kernel info:
; codeLenInByte = 4032
; TotalNumSgprs: 54
; NumVgprs: 127
; ScratchSize: 0
; MemoryBound: 1
; FloatMode: 240
; IeeeMode: 1
; LDSByteSize: 8192 bytes/workgroup (compile time only)
; SGPRBlocks: 0
; VGPRBlocks: 15
; NumSGPRsForWavesPerEU: 54
; NumVGPRsForWavesPerEU: 127
; Occupancy: 8
; WaveLimiterHint : 1
; COMPUTE_PGM_RSRC2:SCRATCH_EN: 0
; COMPUTE_PGM_RSRC2:USER_SGPR: 6
; COMPUTE_PGM_RSRC2:TRAP_HANDLER: 0
; COMPUTE_PGM_RSRC2:TGID_X_EN: 1
; COMPUTE_PGM_RSRC2:TGID_Y_EN: 1
; COMPUTE_PGM_RSRC2:TGID_Z_EN: 1
; COMPUTE_PGM_RSRC2:TIDIG_COMP_CNT: 1
	.section	.text._ZN12_GLOBAL__N_135rocblas_gemm_batched_general_kernelI19rocblas_complex_numIdELi16ELi16ELi32ELi32ELi8ELi32ELi8ELi8ELi32ELc84ELc67EKPKS2_S5_KPS2_EEvlllT_PT11_llSA_llS8_PT12_llPT13_lli,"axG",@progbits,_ZN12_GLOBAL__N_135rocblas_gemm_batched_general_kernelI19rocblas_complex_numIdELi16ELi16ELi32ELi32ELi8ELi32ELi8ELi8ELi32ELc84ELc67EKPKS2_S5_KPS2_EEvlllT_PT11_llSA_llS8_PT12_llPT13_lli,comdat
	.globl	_ZN12_GLOBAL__N_135rocblas_gemm_batched_general_kernelI19rocblas_complex_numIdELi16ELi16ELi32ELi32ELi8ELi32ELi8ELi8ELi32ELc84ELc67EKPKS2_S5_KPS2_EEvlllT_PT11_llSA_llS8_PT12_llPT13_lli ; -- Begin function _ZN12_GLOBAL__N_135rocblas_gemm_batched_general_kernelI19rocblas_complex_numIdELi16ELi16ELi32ELi32ELi8ELi32ELi8ELi8ELi32ELc84ELc67EKPKS2_S5_KPS2_EEvlllT_PT11_llSA_llS8_PT12_llPT13_lli
	.p2align	8
	.type	_ZN12_GLOBAL__N_135rocblas_gemm_batched_general_kernelI19rocblas_complex_numIdELi16ELi16ELi32ELi32ELi8ELi32ELi8ELi8ELi32ELc84ELc67EKPKS2_S5_KPS2_EEvlllT_PT11_llSA_llS8_PT12_llPT13_lli,@function
_ZN12_GLOBAL__N_135rocblas_gemm_batched_general_kernelI19rocblas_complex_numIdELi16ELi16ELi32ELi32ELi8ELi32ELi8ELi8ELi32ELc84ELc67EKPKS2_S5_KPS2_EEvlllT_PT11_llSA_llS8_PT12_llPT13_lli: ; @_ZN12_GLOBAL__N_135rocblas_gemm_batched_general_kernelI19rocblas_complex_numIdELi16ELi16ELi32ELi32ELi8ELi32ELi8ELi8ELi32ELc84ELc67EKPKS2_S5_KPS2_EEvlllT_PT11_llSA_llS8_PT12_llPT13_lli
; %bb.0:
	s_clause 0x2
	s_load_dwordx16 s[12:27], s[4:5], 0x40
	s_load_dwordx4 s[28:31], s[4:5], 0x80
	s_load_dwordx16 s[36:51], s[4:5], 0x0
	s_mov_b32 s9, 0
	s_load_dwordx2 s[2:3], s[4:5], 0x90
	s_lshl_b64 s[0:1], s[8:9], 3
	s_mov_b32 s34, s7
	v_mov_b32_e32 v2, 0
	s_waitcnt lgkmcnt(0)
	s_add_u32 s4, s22, s0
	s_addc_u32 s5, s23, s1
	s_add_u32 s8, s28, s0
	s_addc_u32 s9, s29, s1
	s_load_dwordx2 s[4:5], s[4:5], 0x0
	s_load_dwordx2 s[8:9], s[8:9], 0x0
	v_cmp_lt_i64_e64 s10, s[40:41], 1
	s_ashr_i32 s7, s6, 31
	s_ashr_i32 s35, s34, 31
	s_lshl_b64 s[6:7], s[6:7], 5
	s_and_b32 vcc_lo, exec_lo, s10
	s_lshl_b64 s[10:11], s[34:35], 5
	s_cbranch_vccnz .LBB289_9
; %bb.1:
	v_lshl_add_u32 v3, v1, 4, v0
	v_and_b32_e32 v27, 7, v0
	s_add_u32 s12, s12, s0
	v_mov_b32_e32 v4, s7
	s_addc_u32 s13, s13, s1
	v_and_b32_e32 v9, 31, v3
	v_mad_u64_u32 v[5:6], null, s14, v27, 0
	v_lshrrev_b32_e32 v10, 3, v3
	v_lshrrev_b32_e32 v28, 5, v3
	v_or_b32_e32 v3, s6, v9
	s_add_u32 s0, s46, s0
	s_addc_u32 s1, s47, s1
	s_load_dwordx2 s[12:13], s[12:13], 0x0
	s_load_dwordx2 s[22:23], s[0:1], 0x0
	v_add_co_u32 v7, s0, v10, s10
	v_cmp_gt_i64_e32 vcc_lo, s[36:37], v[3:4]
	v_mov_b32_e32 v3, v6
	v_add_co_ci_u32_e64 v8, null, 0, s11, s0
	v_lshlrev_b32_e32 v6, 4, v27
	v_lshlrev_b32_e32 v11, 4, v9
	v_mad_u64_u32 v[3:4], null, s15, v27, v[3:4]
	v_cmp_gt_i64_e64 s0, s[38:39], v[7:8]
	v_add_co_u32 v7, s1, s6, v9
	v_lshl_or_b32 v4, v10, 7, v6
	v_add_co_ci_u32_e64 v8, null, s7, 0, s1
	v_mov_b32_e32 v6, v3
	v_mul_lo_u32 v9, s49, v7
	v_add_nc_u32_e32 v30, 0x1000, v4
	v_mul_lo_u32 v8, s48, v8
	v_mad_u64_u32 v[3:4], null, s48, v7, 0
	v_lshlrev_b64 v[5:6], 4, v[5:6]
	s_lshl_b64 s[28:29], s[34:35], 9
	s_lshl_b64 s[16:17], s[16:17], 4
	v_lshlrev_b32_e32 v7, 4, v10
	s_add_u32 s1, s16, s28
	s_addc_u32 s16, s17, s29
	v_add3_u32 v4, v4, v8, v9
	v_add_co_u32 v5, s1, s1, v5
	v_add_co_ci_u32_e64 v6, null, s16, v6, s1
	v_lshlrev_b64 v[3:4], 4, v[3:4]
	v_add_co_u32 v5, s1, v5, v7
	s_lshl_b64 s[16:17], s[50:51], 4
	v_add_co_ci_u32_e64 v6, null, 0, v6, s1
	v_add_co_u32 v3, s1, v3, s16
	v_lshlrev_b32_e32 v7, 4, v28
	v_add_co_ci_u32_e64 v4, null, s17, v4, s1
	s_waitcnt lgkmcnt(0)
	v_add_co_u32 v23, s1, s12, v5
	v_add_co_ci_u32_e64 v24, null, s13, v6, s1
	v_add_co_u32 v3, s1, v3, v7
	v_add_co_ci_u32_e64 v4, null, 0, v4, s1
	v_lshl_or_b32 v29, v28, 9, v11
	v_add_co_u32 v25, s1, s22, v3
	v_mov_b32_e32 v9, 0
	v_mov_b32_e32 v7, 0
	;; [unrolled: 1-line block ×8, first 2 shown]
	v_lshlrev_b32_e32 v31, 4, v0
	v_lshl_add_u32 v32, v1, 7, 0x1000
	v_mov_b32_e32 v10, 0
	v_mov_b32_e32 v8, 0
	;; [unrolled: 1-line block ×8, first 2 shown]
	v_add_co_ci_u32_e64 v26, null, s23, v4, s1
	s_lshl_b64 s[12:13], s[14:15], 7
	s_mov_b64 s[14:15], 0
	s_xor_b32 s1, vcc_lo, -1
	s_branch .LBB289_3
.LBB289_2:                              ;   in Loop: Header=BB289_3 Depth=1
	s_or_b32 exec_lo, exec_lo, s16
	ds_write_b128 v30, v[3:6]
	s_waitcnt lgkmcnt(0)
	s_barrier
	buffer_gl0_inv
	ds_read_b128 v[3:6], v32
	ds_read_b128 v[33:36], v31
	ds_read_b128 v[37:40], v31 offset:256
	ds_read_b128 v[41:44], v32 offset:2048
	;; [unrolled: 1-line block ×12, first 2 shown]
	s_add_u32 s14, s14, 8
	s_addc_u32 s15, s15, 0
	v_add_co_u32 v23, vcc_lo, v23, s12
	v_cmp_lt_i64_e64 s16, s[14:15], s[40:41]
	v_add_co_ci_u32_e64 v24, null, s13, v24, vcc_lo
	s_waitcnt lgkmcnt(12)
	v_mul_f64 v[85:86], v[5:6], v[35:36]
	v_mul_f64 v[87:88], v[3:4], v[35:36]
	s_waitcnt lgkmcnt(11)
	v_mul_f64 v[89:90], v[5:6], v[39:40]
	v_mul_f64 v[91:92], v[3:4], v[39:40]
	;; [unrolled: 3-line block ×3, first 2 shown]
	v_mul_f64 v[95:96], v[43:44], v[39:40]
	v_mul_f64 v[39:40], v[41:42], v[39:40]
	s_waitcnt lgkmcnt(8)
	v_mul_f64 v[97:98], v[47:48], v[51:52]
	v_mul_f64 v[99:100], v[45:46], v[51:52]
	s_waitcnt lgkmcnt(7)
	v_mul_f64 v[101:102], v[47:48], v[55:56]
	v_mul_f64 v[103:104], v[45:46], v[55:56]
	s_waitcnt lgkmcnt(6)
	v_mul_f64 v[105:106], v[59:60], v[51:52]
	v_mul_f64 v[51:52], v[57:58], v[51:52]
	v_mul_f64 v[107:108], v[59:60], v[55:56]
	v_mul_f64 v[55:56], v[57:58], v[55:56]
	s_waitcnt lgkmcnt(4)
	v_mul_f64 v[109:110], v[63:64], v[67:68]
	v_mul_f64 v[111:112], v[61:62], v[67:68]
	s_waitcnt lgkmcnt(3)
	v_mul_f64 v[113:114], v[63:64], v[71:72]
	v_mul_f64 v[115:116], v[61:62], v[71:72]
	;; [unrolled: 3-line block ×3, first 2 shown]
	v_fma_f64 v[85:86], v[3:4], v[33:34], -v[85:86]
	v_fma_f64 v[87:88], v[5:6], v[33:34], v[87:88]
	v_fma_f64 v[89:90], v[3:4], v[37:38], -v[89:90]
	v_fma_f64 v[91:92], v[5:6], v[37:38], v[91:92]
	;; [unrolled: 2-line block ×4, first 2 shown]
	v_mul_f64 v[123:124], v[75:76], v[71:72]
	v_mul_f64 v[71:72], v[73:74], v[71:72]
	ds_read_b128 v[3:6], v31 offset:1536
	ds_read_b128 v[33:36], v31 offset:1792
	v_fma_f64 v[97:98], v[45:46], v[49:50], -v[97:98]
	v_fma_f64 v[99:100], v[47:48], v[49:50], v[99:100]
	v_fma_f64 v[101:102], v[45:46], v[53:54], -v[101:102]
	v_fma_f64 v[103:104], v[47:48], v[53:54], v[103:104]
	;; [unrolled: 2-line block ×7, first 2 shown]
	v_add_f64 v[19:20], v[19:20], v[85:86]
	v_add_f64 v[21:22], v[87:88], v[21:22]
	v_add_f64 v[15:16], v[15:16], v[89:90]
	v_add_f64 v[17:18], v[91:92], v[17:18]
	s_waitcnt lgkmcnt(1)
	v_mul_f64 v[109:110], v[79:80], v[5:6]
	s_waitcnt lgkmcnt(0)
	v_mul_f64 v[67:68], v[79:80], v[35:36]
	v_fma_f64 v[73:74], v[73:74], v[69:70], -v[123:124]
	v_fma_f64 v[69:70], v[75:76], v[69:70], v[71:72]
	v_add_f64 v[71:72], v[11:12], v[93:94]
	v_add_f64 v[13:14], v[119:120], v[13:14]
	;; [unrolled: 1-line block ×4, first 2 shown]
	ds_read_b128 v[37:40], v32 offset:64
	ds_read_b128 v[41:44], v31 offset:2048
	ds_read_b128 v[45:48], v31 offset:2304
	v_mul_f64 v[111:112], v[77:78], v[5:6]
	v_mul_f64 v[113:114], v[77:78], v[35:36]
	;; [unrolled: 1-line block ×6, first 2 shown]
	ds_read_b128 v[49:52], v32 offset:2112
	ds_read_b128 v[9:12], v32 offset:2128
	v_add_f64 v[97:98], v[19:20], v[97:98]
	v_add_f64 v[21:22], v[99:100], v[21:22]
	;; [unrolled: 1-line block ×4, first 2 shown]
	v_fma_f64 v[89:90], v[77:78], v[3:4], -v[109:110]
	v_fma_f64 v[67:68], v[77:78], v[33:34], -v[67:68]
	ds_read_b128 v[5:8], v32 offset:80
	ds_read_b128 v[17:20], v31 offset:2816
	v_add_f64 v[71:72], v[71:72], v[105:106]
	v_add_f64 v[103:104], v[125:126], v[13:14]
	s_waitcnt lgkmcnt(5)
	v_mul_f64 v[77:78], v[39:40], v[43:44]
	v_mul_f64 v[93:94], v[37:38], v[43:44]
	v_add_f64 v[57:58], v[75:76], v[57:58]
	v_add_f64 v[53:54], v[53:54], v[85:86]
	ds_read_b128 v[13:16], v31 offset:2560
	s_waitcnt lgkmcnt(5)
	v_mul_f64 v[95:96], v[39:40], v[47:48]
	v_mul_f64 v[109:110], v[37:38], v[47:48]
	v_fma_f64 v[91:92], v[79:80], v[3:4], v[111:112]
	v_fma_f64 v[79:80], v[79:80], v[33:34], v[113:114]
	s_waitcnt lgkmcnt(4)
	v_mul_f64 v[111:112], v[51:52], v[43:44]
	v_mul_f64 v[43:44], v[49:50], v[43:44]
	v_fma_f64 v[75:76], v[81:82], v[3:4], -v[115:116]
	v_fma_f64 v[3:4], v[83:84], v[3:4], v[117:118]
	v_fma_f64 v[81:82], v[81:82], v[33:34], -v[87:88]
	v_fma_f64 v[83:84], v[83:84], v[33:34], v[35:36]
	v_add_f64 v[55:56], v[97:98], v[55:56]
	v_add_f64 v[59:60], v[59:60], v[21:22]
	;; [unrolled: 1-line block ×4, first 2 shown]
	s_waitcnt lgkmcnt(1)
	v_mul_f64 v[97:98], v[7:8], v[19:20]
	v_add_f64 v[71:72], v[71:72], v[107:108]
	v_add_f64 v[65:66], v[65:66], v[103:104]
	v_fma_f64 v[77:78], v[37:38], v[41:42], -v[77:78]
	v_fma_f64 v[85:86], v[39:40], v[41:42], v[93:94]
	v_add_f64 v[57:58], v[57:58], v[73:74]
	v_add_f64 v[53:54], v[69:70], v[53:54]
	s_waitcnt lgkmcnt(0)
	v_mul_f64 v[69:70], v[7:8], v[15:16]
	v_fma_f64 v[87:88], v[37:38], v[45:46], -v[95:96]
	v_fma_f64 v[93:94], v[39:40], v[45:46], v[109:110]
	v_mul_f64 v[37:38], v[51:52], v[47:48]
	v_mul_f64 v[39:40], v[49:50], v[47:48]
	v_fma_f64 v[47:48], v[49:50], v[41:42], -v[111:112]
	v_fma_f64 v[95:96], v[51:52], v[41:42], v[43:44]
	v_mul_f64 v[73:74], v[5:6], v[15:16]
	v_mul_f64 v[99:100], v[5:6], v[19:20]
	;; [unrolled: 1-line block ×6, first 2 shown]
	ds_read_b128 v[19:22], v32 offset:96
	ds_read_b128 v[33:36], v31 offset:3072
	v_add_co_u32 v25, vcc_lo, 0x80, v25
	v_add_co_ci_u32_e64 v26, null, 0, v26, vcc_lo
	v_add_f64 v[65:66], v[3:4], v[65:66]
	s_and_b32 vcc_lo, exec_lo, s16
	v_add_f64 v[57:58], v[57:58], v[81:82]
	v_add_f64 v[53:54], v[83:84], v[53:54]
	v_fma_f64 v[49:50], v[49:50], v[45:46], -v[37:38]
	v_fma_f64 v[45:46], v[51:52], v[45:46], v[39:40]
	v_add_f64 v[51:52], v[55:56], v[89:90]
	v_add_f64 v[55:56], v[91:92], v[59:60]
	;; [unrolled: 1-line block ×5, first 2 shown]
	ds_read_b128 v[37:40], v31 offset:3328
	ds_read_b128 v[41:44], v32 offset:2144
	v_fma_f64 v[67:68], v[5:6], v[13:14], -v[69:70]
	v_fma_f64 v[69:70], v[7:8], v[13:14], v[73:74]
	v_fma_f64 v[71:72], v[5:6], v[17:18], -v[97:98]
	v_fma_f64 v[73:74], v[7:8], v[17:18], v[99:100]
	;; [unrolled: 2-line block ×3, first 2 shown]
	v_fma_f64 v[81:82], v[9:10], v[17:18], -v[103:104]
	s_waitcnt lgkmcnt(2)
	v_mul_f64 v[83:84], v[21:22], v[35:36]
	v_fma_f64 v[89:90], v[11:12], v[17:18], v[105:106]
	v_mul_f64 v[91:92], v[19:20], v[35:36]
	ds_read_b128 v[3:6], v32 offset:112
	ds_read_b128 v[7:10], v32 offset:2160
	;; [unrolled: 1-line block ×4, first 2 shown]
	s_waitcnt lgkmcnt(0)
	v_add_f64 v[49:50], v[57:58], v[49:50]
	v_add_f64 v[45:46], v[45:46], v[53:54]
	;; [unrolled: 1-line block ×4, first 2 shown]
	v_mul_f64 v[97:98], v[21:22], v[39:40]
	v_mul_f64 v[99:100], v[19:20], v[39:40]
	v_mul_f64 v[101:102], v[43:44], v[35:36]
	v_mul_f64 v[35:36], v[41:42], v[35:36]
	v_add_f64 v[59:60], v[59:60], v[87:88]
	v_add_f64 v[61:62], v[93:94], v[61:62]
	;; [unrolled: 1-line block ×4, first 2 shown]
	v_mul_f64 v[53:54], v[43:44], v[39:40]
	v_mul_f64 v[39:40], v[41:42], v[39:40]
	s_barrier
	v_fma_f64 v[57:58], v[19:20], v[33:34], -v[83:84]
	buffer_gl0_inv
	v_fma_f64 v[65:66], v[21:22], v[33:34], v[91:92]
	v_add_f64 v[49:50], v[49:50], v[81:82]
	v_add_f64 v[45:46], v[89:90], v[45:46]
	v_fma_f64 v[19:20], v[19:20], v[37:38], -v[97:98]
	v_fma_f64 v[21:22], v[21:22], v[37:38], v[99:100]
	v_fma_f64 v[77:78], v[41:42], v[33:34], -v[101:102]
	v_fma_f64 v[33:34], v[43:44], v[33:34], v[35:36]
	v_add_f64 v[35:36], v[51:52], v[67:68]
	v_add_f64 v[51:52], v[69:70], v[55:56]
	;; [unrolled: 1-line block ×6, first 2 shown]
	v_fma_f64 v[41:42], v[41:42], v[37:38], -v[53:54]
	v_fma_f64 v[37:38], v[43:44], v[37:38], v[39:40]
	v_mul_f64 v[39:40], v[5:6], v[13:14]
	v_mul_f64 v[43:44], v[3:4], v[13:14]
	v_mul_f64 v[53:54], v[5:6], v[17:18]
	v_mul_f64 v[63:64], v[3:4], v[17:18]
	v_mul_f64 v[67:68], v[9:10], v[13:14]
	v_mul_f64 v[13:14], v[7:8], v[13:14]
	v_mul_f64 v[69:70], v[9:10], v[17:18]
	v_mul_f64 v[17:18], v[7:8], v[17:18]
	v_add_f64 v[35:36], v[35:36], v[57:58]
	v_add_f64 v[51:52], v[65:66], v[51:52]
	;; [unrolled: 1-line block ×8, first 2 shown]
	v_fma_f64 v[19:20], v[3:4], v[11:12], -v[39:40]
	v_fma_f64 v[21:22], v[5:6], v[11:12], v[43:44]
	v_fma_f64 v[3:4], v[3:4], v[15:16], -v[53:54]
	v_fma_f64 v[5:6], v[5:6], v[15:16], v[63:64]
	;; [unrolled: 2-line block ×4, first 2 shown]
	v_add_f64 v[19:20], v[35:36], v[19:20]
	v_add_f64 v[21:22], v[21:22], v[51:52]
	;; [unrolled: 1-line block ×8, first 2 shown]
	s_cbranch_vccz .LBB289_10
.LBB289_3:                              ; =>This Inner Loop Header: Depth=1
	v_add_co_u32 v3, s16, v28, s14
	v_add_co_ci_u32_e64 v4, null, 0, s15, s16
	v_cmp_le_i64_e32 vcc_lo, s[40:41], v[3:4]
	s_or_b32 s16, s1, vcc_lo
	s_and_saveexec_b32 s17, s16
	s_xor_b32 s16, exec_lo, s17
	s_cbranch_execz .LBB289_5
; %bb.4:                                ;   in Loop: Header=BB289_3 Depth=1
	v_mov_b32_e32 v3, v2
	v_mov_b32_e32 v4, v2
	;; [unrolled: 1-line block ×3, first 2 shown]
	ds_write_b128 v29, v[2:5]
.LBB289_5:                              ;   in Loop: Header=BB289_3 Depth=1
	s_andn2_saveexec_b32 s16, s16
	s_cbranch_execz .LBB289_7
; %bb.6:                                ;   in Loop: Header=BB289_3 Depth=1
	flat_load_dwordx4 v[3:6], v[25:26]
	s_waitcnt vmcnt(0) lgkmcnt(0)
	ds_write2_b64 v29, v[3:4], v[5:6] offset1:1
.LBB289_7:                              ;   in Loop: Header=BB289_3 Depth=1
	s_or_b32 exec_lo, exec_lo, s16
	v_add_co_u32 v3, s16, v27, s14
	v_add_co_ci_u32_e64 v4, null, 0, s15, s16
	v_mov_b32_e32 v5, 0
	v_mov_b32_e32 v6, 0
	v_cmp_gt_i64_e32 vcc_lo, s[40:41], v[3:4]
	v_mov_b32_e32 v3, 0
	v_mov_b32_e32 v4, 0
	s_and_b32 s17, vcc_lo, s0
	s_and_saveexec_b32 s16, s17
	s_cbranch_execz .LBB289_2
; %bb.8:                                ;   in Loop: Header=BB289_3 Depth=1
	flat_load_dwordx4 v[3:6], v[23:24]
	s_waitcnt vmcnt(0) lgkmcnt(0)
	v_xor_b32_e32 v6, 0x80000000, v6
	s_branch .LBB289_2
.LBB289_9:
	v_mov_b32_e32 v19, 0
	v_mov_b32_e32 v21, 0
	;; [unrolled: 1-line block ×16, first 2 shown]
.LBB289_10:
	v_cmp_neq_f64_e64 s12, s[18:19], 0
	v_cmp_neq_f64_e64 s13, s[20:21], 0
	s_lshl_b64 s[0:1], s[2:3], 4
	v_add_co_u32 v1, s2, s10, v1
	v_add_co_ci_u32_e64 v2, null, s11, 0, s2
	s_waitcnt lgkmcnt(0)
	s_add_u32 s3, s8, s0
	s_addc_u32 s8, s9, s1
	v_cmp_gt_i64_e64 s0, s[38:39], v[1:2]
	s_or_b32 s1, s12, s13
	s_and_b32 vcc_lo, exec_lo, s1
	s_mov_b32 s1, -1
	s_cbranch_vccnz .LBB289_22
; %bb.11:
	s_and_saveexec_b32 s9, s0
	s_cbranch_execz .LBB289_21
; %bb.12:
	v_mul_lo_u32 v5, v2, s30
	v_mul_lo_u32 v6, v1, s31
	v_mad_u64_u32 v[3:4], null, v1, s30, 0
	v_add3_u32 v4, v4, v6, v5
	v_add_co_u32 v5, s1, s6, v0
	v_add_co_ci_u32_e64 v6, null, s7, 0, s1
	v_lshlrev_b64 v[23:24], 4, v[3:4]
	v_cmp_gt_i64_e32 vcc_lo, s[36:37], v[5:6]
	v_lshlrev_b64 v[3:4], 4, v[5:6]
	v_add_co_u32 v23, s1, s3, v23
	v_add_co_ci_u32_e64 v24, null, s8, v24, s1
	s_and_saveexec_b32 s2, vcc_lo
	s_cbranch_execz .LBB289_14
; %bb.13:
	v_mul_f64 v[25:26], s[44:45], v[21:22]
	v_mul_f64 v[27:28], s[42:43], v[21:22]
	v_add_co_u32 v29, s1, v23, v3
	v_add_co_ci_u32_e64 v30, null, v24, v4, s1
	v_fma_f64 v[25:26], s[42:43], v[19:20], -v[25:26]
	v_fma_f64 v[27:28], s[44:45], v[19:20], v[27:28]
	flat_store_dwordx4 v[29:30], v[25:28]
.LBB289_14:
	s_or_b32 exec_lo, exec_lo, s2
	v_add_co_u32 v5, s1, v5, 16
	v_add_co_ci_u32_e64 v6, null, 0, v6, s1
	v_cmp_gt_i64_e64 s1, s[36:37], v[5:6]
	s_and_saveexec_b32 s10, s1
	s_cbranch_execz .LBB289_16
; %bb.15:
	v_mul_f64 v[5:6], s[44:45], v[17:18]
	v_mul_f64 v[27:28], s[42:43], v[17:18]
	v_fma_f64 v[25:26], s[42:43], v[15:16], -v[5:6]
	v_fma_f64 v[27:28], s[44:45], v[15:16], v[27:28]
	v_add_co_u32 v5, s2, v23, v3
	v_add_co_ci_u32_e64 v6, null, v24, v4, s2
	flat_store_dwordx4 v[5:6], v[25:28] offset:256
.LBB289_16:
	s_or_b32 exec_lo, exec_lo, s10
	v_add_co_u32 v5, s2, v1, 16
	v_add_co_ci_u32_e64 v6, null, 0, v2, s2
	v_cmp_gt_i64_e64 s2, s[38:39], v[5:6]
	s_and_b32 exec_lo, exec_lo, s2
	s_cbranch_execz .LBB289_21
; %bb.17:
	s_lshl_b64 s[10:11], s[30:31], 8
	v_add_co_u32 v5, s2, v23, s10
	v_add_co_ci_u32_e64 v6, null, s11, v24, s2
	v_add_co_u32 v3, s2, v5, v3
	v_add_co_ci_u32_e64 v4, null, v6, v4, s2
	s_and_saveexec_b32 s2, vcc_lo
	s_cbranch_execz .LBB289_19
; %bb.18:
	v_mul_f64 v[5:6], s[44:45], v[13:14]
	v_mul_f64 v[25:26], s[42:43], v[13:14]
	v_fma_f64 v[23:24], s[42:43], v[11:12], -v[5:6]
	v_fma_f64 v[25:26], s[44:45], v[11:12], v[25:26]
	flat_store_dwordx4 v[3:4], v[23:26]
.LBB289_19:
	s_or_b32 exec_lo, exec_lo, s2
	s_and_b32 exec_lo, exec_lo, s1
	s_cbranch_execz .LBB289_21
; %bb.20:
	v_mul_f64 v[5:6], s[44:45], v[9:10]
	v_mul_f64 v[25:26], s[42:43], v[9:10]
	v_fma_f64 v[23:24], s[42:43], v[7:8], -v[5:6]
	v_fma_f64 v[25:26], s[44:45], v[7:8], v[25:26]
	flat_store_dwordx4 v[3:4], v[23:26] offset:256
.LBB289_21:
	s_or_b32 exec_lo, exec_lo, s9
	s_mov_b32 s1, 0
.LBB289_22:
	s_andn2_b32 vcc_lo, exec_lo, s1
	s_cbranch_vccnz .LBB289_33
; %bb.23:
	s_and_saveexec_b32 s1, s0
	s_cbranch_execz .LBB289_33
; %bb.24:
	v_mul_lo_u32 v5, v2, s24
	v_mul_lo_u32 v6, v1, s25
	v_mad_u64_u32 v[3:4], null, v1, s24, 0
	v_mul_lo_u32 v25, v2, s30
	v_mul_lo_u32 v26, v1, s31
	v_mad_u64_u32 v[23:24], null, v1, s30, 0
	s_lshl_b64 s[0:1], s[26:27], 4
	v_add3_u32 v4, v4, v6, v5
	v_add_co_u32 v5, s2, s6, v0
	v_add_co_ci_u32_e64 v6, null, s7, 0, s2
	v_add3_u32 v24, v24, v26, v25
	v_lshlrev_b64 v[3:4], 4, v[3:4]
	s_add_u32 s0, s4, s0
	s_addc_u32 s1, s5, s1
	v_cmp_gt_i64_e32 vcc_lo, s[36:37], v[5:6]
	v_lshlrev_b64 v[24:25], 4, v[23:24]
	v_add_co_u32 v0, s0, s0, v3
	v_add_co_ci_u32_e64 v23, null, s1, v4, s0
	v_add_co_u32 v24, s0, s3, v24
	v_lshlrev_b64 v[3:4], 4, v[5:6]
	v_add_co_ci_u32_e64 v25, null, s8, v25, s0
	s_and_saveexec_b32 s1, vcc_lo
	s_cbranch_execz .LBB289_26
; %bb.25:
	v_add_co_u32 v26, s0, v0, v3
	v_add_co_ci_u32_e64 v27, null, v23, v4, s0
	v_mul_f64 v[30:31], s[44:45], v[21:22]
	v_mul_f64 v[21:22], s[42:43], v[21:22]
	flat_load_dwordx4 v[26:29], v[26:27]
	v_fma_f64 v[30:31], s[42:43], v[19:20], -v[30:31]
	v_fma_f64 v[21:22], s[44:45], v[19:20], v[21:22]
	s_waitcnt vmcnt(0) lgkmcnt(0)
	v_mul_f64 v[32:33], s[20:21], v[28:29]
	v_mul_f64 v[28:29], s[18:19], v[28:29]
	v_fma_f64 v[19:20], s[18:19], v[26:27], -v[32:33]
	v_fma_f64 v[26:27], s[20:21], v[26:27], v[28:29]
	v_add_f64 v[19:20], v[30:31], v[19:20]
	v_add_f64 v[21:22], v[21:22], v[26:27]
	v_add_co_u32 v26, s0, v24, v3
	v_add_co_ci_u32_e64 v27, null, v25, v4, s0
	flat_store_dwordx4 v[26:27], v[19:22]
.LBB289_26:
	s_or_b32 exec_lo, exec_lo, s1
	v_add_co_u32 v5, s0, v5, 16
	v_add_co_ci_u32_e64 v6, null, 0, v6, s0
	v_cmp_gt_i64_e64 s0, s[36:37], v[5:6]
	s_and_saveexec_b32 s2, s0
	s_cbranch_execz .LBB289_28
; %bb.27:
	v_add_co_u32 v5, s1, v0, v3
	v_add_co_ci_u32_e64 v6, null, v23, v4, s1
	flat_load_dwordx4 v[19:22], v[5:6] offset:256
	v_mul_f64 v[5:6], s[44:45], v[17:18]
	v_mul_f64 v[17:18], s[42:43], v[17:18]
	v_fma_f64 v[5:6], s[42:43], v[15:16], -v[5:6]
	v_fma_f64 v[17:18], s[44:45], v[15:16], v[17:18]
	s_waitcnt vmcnt(0) lgkmcnt(0)
	v_mul_f64 v[26:27], s[20:21], v[21:22]
	v_mul_f64 v[21:22], s[18:19], v[21:22]
	v_fma_f64 v[15:16], s[18:19], v[19:20], -v[26:27]
	v_fma_f64 v[19:20], s[20:21], v[19:20], v[21:22]
	v_add_f64 v[15:16], v[5:6], v[15:16]
	v_add_f64 v[17:18], v[17:18], v[19:20]
	v_add_co_u32 v5, s1, v24, v3
	v_add_co_ci_u32_e64 v6, null, v25, v4, s1
	flat_store_dwordx4 v[5:6], v[15:18] offset:256
.LBB289_28:
	s_or_b32 exec_lo, exec_lo, s2
	v_add_co_u32 v1, s1, v1, 16
	v_add_co_ci_u32_e64 v2, null, 0, v2, s1
	v_cmp_gt_i64_e64 s1, s[38:39], v[1:2]
	s_and_b32 exec_lo, exec_lo, s1
	s_cbranch_execz .LBB289_33
; %bb.29:
	s_lshl_b64 s[2:3], s[24:25], 8
	v_add_co_u32 v0, s1, v0, s2
	v_add_co_ci_u32_e64 v1, null, s3, v23, s1
	s_lshl_b64 s[2:3], s[30:31], 8
	v_add_co_u32 v2, s1, v24, s2
	v_add_co_ci_u32_e64 v15, null, s3, v25, s1
	v_add_co_u32 v5, s1, v0, v3
	v_add_co_ci_u32_e64 v6, null, v1, v4, s1
	;; [unrolled: 2-line block ×3, first 2 shown]
	s_and_saveexec_b32 s1, vcc_lo
	s_cbranch_execz .LBB289_31
; %bb.30:
	flat_load_dwordx4 v[15:18], v[5:6]
	v_mul_f64 v[2:3], s[44:45], v[13:14]
	v_mul_f64 v[13:14], s[42:43], v[13:14]
	v_fma_f64 v[2:3], s[42:43], v[11:12], -v[2:3]
	v_fma_f64 v[13:14], s[44:45], v[11:12], v[13:14]
	s_waitcnt vmcnt(0) lgkmcnt(0)
	v_mul_f64 v[19:20], s[20:21], v[17:18]
	v_mul_f64 v[17:18], s[18:19], v[17:18]
	v_fma_f64 v[11:12], s[18:19], v[15:16], -v[19:20]
	v_fma_f64 v[15:16], s[20:21], v[15:16], v[17:18]
	v_add_f64 v[11:12], v[2:3], v[11:12]
	v_add_f64 v[13:14], v[13:14], v[15:16]
	flat_store_dwordx4 v[0:1], v[11:14]
.LBB289_31:
	s_or_b32 exec_lo, exec_lo, s1
	s_and_b32 exec_lo, exec_lo, s0
	s_cbranch_execz .LBB289_33
; %bb.32:
	flat_load_dwordx4 v[2:5], v[5:6] offset:256
	v_mul_f64 v[11:12], s[44:45], v[9:10]
	v_mul_f64 v[9:10], s[42:43], v[9:10]
	v_fma_f64 v[11:12], s[42:43], v[7:8], -v[11:12]
	v_fma_f64 v[6:7], s[44:45], v[7:8], v[9:10]
	s_waitcnt vmcnt(0) lgkmcnt(0)
	v_mul_f64 v[13:14], s[20:21], v[4:5]
	v_mul_f64 v[4:5], s[18:19], v[4:5]
	v_fma_f64 v[8:9], s[18:19], v[2:3], -v[13:14]
	v_fma_f64 v[4:5], s[20:21], v[2:3], v[4:5]
	v_add_f64 v[2:3], v[11:12], v[8:9]
	v_add_f64 v[4:5], v[6:7], v[4:5]
	flat_store_dwordx4 v[0:1], v[2:5] offset:256
.LBB289_33:
	s_endpgm
	.section	.rodata,"a",@progbits
	.p2align	6, 0x0
	.amdhsa_kernel _ZN12_GLOBAL__N_135rocblas_gemm_batched_general_kernelI19rocblas_complex_numIdELi16ELi16ELi32ELi32ELi8ELi32ELi8ELi8ELi32ELc84ELc67EKPKS2_S5_KPS2_EEvlllT_PT11_llSA_llS8_PT12_llPT13_lli
		.amdhsa_group_segment_fixed_size 8192
		.amdhsa_private_segment_fixed_size 0
		.amdhsa_kernarg_size 156
		.amdhsa_user_sgpr_count 6
		.amdhsa_user_sgpr_private_segment_buffer 1
		.amdhsa_user_sgpr_dispatch_ptr 0
		.amdhsa_user_sgpr_queue_ptr 0
		.amdhsa_user_sgpr_kernarg_segment_ptr 1
		.amdhsa_user_sgpr_dispatch_id 0
		.amdhsa_user_sgpr_flat_scratch_init 0
		.amdhsa_user_sgpr_private_segment_size 0
		.amdhsa_wavefront_size32 1
		.amdhsa_uses_dynamic_stack 0
		.amdhsa_system_sgpr_private_segment_wavefront_offset 0
		.amdhsa_system_sgpr_workgroup_id_x 1
		.amdhsa_system_sgpr_workgroup_id_y 1
		.amdhsa_system_sgpr_workgroup_id_z 1
		.amdhsa_system_sgpr_workgroup_info 0
		.amdhsa_system_vgpr_workitem_id 1
		.amdhsa_next_free_vgpr 127
		.amdhsa_next_free_sgpr 52
		.amdhsa_reserve_vcc 1
		.amdhsa_reserve_flat_scratch 0
		.amdhsa_float_round_mode_32 0
		.amdhsa_float_round_mode_16_64 0
		.amdhsa_float_denorm_mode_32 3
		.amdhsa_float_denorm_mode_16_64 3
		.amdhsa_dx10_clamp 1
		.amdhsa_ieee_mode 1
		.amdhsa_fp16_overflow 0
		.amdhsa_workgroup_processor_mode 1
		.amdhsa_memory_ordered 1
		.amdhsa_forward_progress 1
		.amdhsa_shared_vgpr_count 0
		.amdhsa_exception_fp_ieee_invalid_op 0
		.amdhsa_exception_fp_denorm_src 0
		.amdhsa_exception_fp_ieee_div_zero 0
		.amdhsa_exception_fp_ieee_overflow 0
		.amdhsa_exception_fp_ieee_underflow 0
		.amdhsa_exception_fp_ieee_inexact 0
		.amdhsa_exception_int_div_zero 0
	.end_amdhsa_kernel
	.section	.text._ZN12_GLOBAL__N_135rocblas_gemm_batched_general_kernelI19rocblas_complex_numIdELi16ELi16ELi32ELi32ELi8ELi32ELi8ELi8ELi32ELc84ELc67EKPKS2_S5_KPS2_EEvlllT_PT11_llSA_llS8_PT12_llPT13_lli,"axG",@progbits,_ZN12_GLOBAL__N_135rocblas_gemm_batched_general_kernelI19rocblas_complex_numIdELi16ELi16ELi32ELi32ELi8ELi32ELi8ELi8ELi32ELc84ELc67EKPKS2_S5_KPS2_EEvlllT_PT11_llSA_llS8_PT12_llPT13_lli,comdat
.Lfunc_end289:
	.size	_ZN12_GLOBAL__N_135rocblas_gemm_batched_general_kernelI19rocblas_complex_numIdELi16ELi16ELi32ELi32ELi8ELi32ELi8ELi8ELi32ELc84ELc67EKPKS2_S5_KPS2_EEvlllT_PT11_llSA_llS8_PT12_llPT13_lli, .Lfunc_end289-_ZN12_GLOBAL__N_135rocblas_gemm_batched_general_kernelI19rocblas_complex_numIdELi16ELi16ELi32ELi32ELi8ELi32ELi8ELi8ELi32ELc84ELc67EKPKS2_S5_KPS2_EEvlllT_PT11_llSA_llS8_PT12_llPT13_lli
                                        ; -- End function
	.set _ZN12_GLOBAL__N_135rocblas_gemm_batched_general_kernelI19rocblas_complex_numIdELi16ELi16ELi32ELi32ELi8ELi32ELi8ELi8ELi32ELc84ELc67EKPKS2_S5_KPS2_EEvlllT_PT11_llSA_llS8_PT12_llPT13_lli.num_vgpr, 127
	.set _ZN12_GLOBAL__N_135rocblas_gemm_batched_general_kernelI19rocblas_complex_numIdELi16ELi16ELi32ELi32ELi8ELi32ELi8ELi8ELi32ELc84ELc67EKPKS2_S5_KPS2_EEvlllT_PT11_llSA_llS8_PT12_llPT13_lli.num_agpr, 0
	.set _ZN12_GLOBAL__N_135rocblas_gemm_batched_general_kernelI19rocblas_complex_numIdELi16ELi16ELi32ELi32ELi8ELi32ELi8ELi8ELi32ELc84ELc67EKPKS2_S5_KPS2_EEvlllT_PT11_llSA_llS8_PT12_llPT13_lli.numbered_sgpr, 52
	.set _ZN12_GLOBAL__N_135rocblas_gemm_batched_general_kernelI19rocblas_complex_numIdELi16ELi16ELi32ELi32ELi8ELi32ELi8ELi8ELi32ELc84ELc67EKPKS2_S5_KPS2_EEvlllT_PT11_llSA_llS8_PT12_llPT13_lli.num_named_barrier, 0
	.set _ZN12_GLOBAL__N_135rocblas_gemm_batched_general_kernelI19rocblas_complex_numIdELi16ELi16ELi32ELi32ELi8ELi32ELi8ELi8ELi32ELc84ELc67EKPKS2_S5_KPS2_EEvlllT_PT11_llSA_llS8_PT12_llPT13_lli.private_seg_size, 0
	.set _ZN12_GLOBAL__N_135rocblas_gemm_batched_general_kernelI19rocblas_complex_numIdELi16ELi16ELi32ELi32ELi8ELi32ELi8ELi8ELi32ELc84ELc67EKPKS2_S5_KPS2_EEvlllT_PT11_llSA_llS8_PT12_llPT13_lli.uses_vcc, 1
	.set _ZN12_GLOBAL__N_135rocblas_gemm_batched_general_kernelI19rocblas_complex_numIdELi16ELi16ELi32ELi32ELi8ELi32ELi8ELi8ELi32ELc84ELc67EKPKS2_S5_KPS2_EEvlllT_PT11_llSA_llS8_PT12_llPT13_lli.uses_flat_scratch, 0
	.set _ZN12_GLOBAL__N_135rocblas_gemm_batched_general_kernelI19rocblas_complex_numIdELi16ELi16ELi32ELi32ELi8ELi32ELi8ELi8ELi32ELc84ELc67EKPKS2_S5_KPS2_EEvlllT_PT11_llSA_llS8_PT12_llPT13_lli.has_dyn_sized_stack, 0
	.set _ZN12_GLOBAL__N_135rocblas_gemm_batched_general_kernelI19rocblas_complex_numIdELi16ELi16ELi32ELi32ELi8ELi32ELi8ELi8ELi32ELc84ELc67EKPKS2_S5_KPS2_EEvlllT_PT11_llSA_llS8_PT12_llPT13_lli.has_recursion, 0
	.set _ZN12_GLOBAL__N_135rocblas_gemm_batched_general_kernelI19rocblas_complex_numIdELi16ELi16ELi32ELi32ELi8ELi32ELi8ELi8ELi32ELc84ELc67EKPKS2_S5_KPS2_EEvlllT_PT11_llSA_llS8_PT12_llPT13_lli.has_indirect_call, 0
	.section	.AMDGPU.csdata,"",@progbits
; Kernel info:
; codeLenInByte = 4052
; TotalNumSgprs: 54
; NumVgprs: 127
; ScratchSize: 0
; MemoryBound: 1
; FloatMode: 240
; IeeeMode: 1
; LDSByteSize: 8192 bytes/workgroup (compile time only)
; SGPRBlocks: 0
; VGPRBlocks: 15
; NumSGPRsForWavesPerEU: 54
; NumVGPRsForWavesPerEU: 127
; Occupancy: 8
; WaveLimiterHint : 1
; COMPUTE_PGM_RSRC2:SCRATCH_EN: 0
; COMPUTE_PGM_RSRC2:USER_SGPR: 6
; COMPUTE_PGM_RSRC2:TRAP_HANDLER: 0
; COMPUTE_PGM_RSRC2:TGID_X_EN: 1
; COMPUTE_PGM_RSRC2:TGID_Y_EN: 1
; COMPUTE_PGM_RSRC2:TGID_Z_EN: 1
; COMPUTE_PGM_RSRC2:TIDIG_COMP_CNT: 1
	.section	.AMDGPU.gpr_maximums,"",@progbits
	.set amdgpu.max_num_vgpr, 0
	.set amdgpu.max_num_agpr, 0
	.set amdgpu.max_num_sgpr, 0
	.section	.AMDGPU.csdata,"",@progbits
	.type	__hip_cuid_d575a9aa570072ce,@object ; @__hip_cuid_d575a9aa570072ce
	.section	.bss,"aw",@nobits
	.globl	__hip_cuid_d575a9aa570072ce
__hip_cuid_d575a9aa570072ce:
	.byte	0                               ; 0x0
	.size	__hip_cuid_d575a9aa570072ce, 1

	.ident	"AMD clang version 22.0.0git (https://github.com/RadeonOpenCompute/llvm-project roc-7.2.4 26084 f58b06dce1f9c15707c5f808fd002e18c2accf7e)"
	.section	".note.GNU-stack","",@progbits
	.addrsig
	.addrsig_sym __hip_cuid_d575a9aa570072ce
	.amdgpu_metadata
---
amdhsa.kernels:
  - .args:
      - .offset:         0
        .size:           4
        .value_kind:     by_value
      - .offset:         4
        .size:           4
        .value_kind:     by_value
      - .offset:         8
        .size:           2
        .value_kind:     by_value
      - .address_space:  global
        .offset:         16
        .size:           8
        .value_kind:     global_buffer
      - .offset:         24
        .size:           8
        .value_kind:     by_value
      - .offset:         32
        .size:           8
        .value_kind:     by_value
      - .offset:         40
        .size:           8
        .value_kind:     by_value
      - .offset:         48
        .size:           4
        .value_kind:     by_value
    .group_segment_fixed_size: 0
    .kernarg_segment_align: 8
    .kernarg_segment_size: 52
    .language:       OpenCL C
    .language_version:
      - 2
      - 0
    .max_flat_workgroup_size: 1024
    .name:           _ZN12_GLOBAL__N_125rocblas_gemm_scale_kernelILi32ELi32EDF16_PDF16_EEviiT1_T2_llli
    .private_segment_fixed_size: 0
    .sgpr_count:     22
    .sgpr_spill_count: 0
    .symbol:         _ZN12_GLOBAL__N_125rocblas_gemm_scale_kernelILi32ELi32EDF16_PDF16_EEviiT1_T2_llli.kd
    .uniform_work_group_size: 1
    .uses_dynamic_stack: false
    .vgpr_count:     6
    .vgpr_spill_count: 0
    .wavefront_size: 32
    .workgroup_processor_mode: 1
  - .args:
      - .offset:         0
        .size:           4
        .value_kind:     by_value
      - .offset:         4
        .size:           4
        .value_kind:     by_value
      - .offset:         8
        .size:           2
        .value_kind:     by_value
      - .address_space:  global
        .offset:         16
        .size:           8
        .value_kind:     global_buffer
      - .offset:         24
        .size:           8
        .value_kind:     by_value
      - .offset:         32
        .size:           8
        .value_kind:     by_value
      - .offset:         40
        .size:           8
        .value_kind:     by_value
      - .address_space:  global
        .offset:         48
        .size:           8
        .value_kind:     global_buffer
      - .offset:         56
        .size:           8
        .value_kind:     by_value
      - .offset:         64
        .size:           8
        .value_kind:     by_value
      - .offset:         72
        .size:           8
        .value_kind:     by_value
      - .offset:         80
        .size:           4
        .value_kind:     by_value
    .group_segment_fixed_size: 0
    .kernarg_segment_align: 8
    .kernarg_segment_size: 84
    .language:       OpenCL C
    .language_version:
      - 2
      - 0
    .max_flat_workgroup_size: 1024
    .name:           _ZN12_GLOBAL__N_120gemm_ex_scale_kernelILi32ELi32EDF16_PKDF16_PDF16_EEviiT1_T2_lllT3_llli
    .private_segment_fixed_size: 0
    .sgpr_count:     30
    .sgpr_spill_count: 0
    .symbol:         _ZN12_GLOBAL__N_120gemm_ex_scale_kernelILi32ELi32EDF16_PKDF16_PDF16_EEviiT1_T2_lllT3_llli.kd
    .uniform_work_group_size: 1
    .uses_dynamic_stack: false
    .vgpr_count:     8
    .vgpr_spill_count: 0
    .wavefront_size: 32
    .workgroup_processor_mode: 1
  - .args:
      - .offset:         0
        .size:           8
        .value_kind:     by_value
      - .offset:         8
        .size:           8
        .value_kind:     by_value
      - .offset:         16
        .size:           8
        .value_kind:     by_value
      - .offset:         24
        .size:           2
        .value_kind:     by_value
      - .address_space:  global
        .offset:         32
        .size:           8
        .value_kind:     global_buffer
      - .offset:         40
        .size:           8
        .value_kind:     by_value
      - .offset:         48
        .size:           8
        .value_kind:     by_value
      - .address_space:  global
        .offset:         56
        .size:           8
        .value_kind:     global_buffer
      - .offset:         64
        .size:           8
        .value_kind:     by_value
      - .offset:         72
        .size:           8
        .value_kind:     by_value
      - .offset:         80
        .size:           2
        .value_kind:     by_value
      - .address_space:  global
        .offset:         88
        .size:           8
        .value_kind:     global_buffer
      - .offset:         96
        .size:           8
        .value_kind:     by_value
      - .offset:         104
        .size:           8
        .value_kind:     by_value
      - .address_space:  global
        .offset:         112
        .size:           8
        .value_kind:     global_buffer
      - .offset:         120
        .size:           8
        .value_kind:     by_value
      - .offset:         128
        .size:           8
        .value_kind:     by_value
      - .offset:         136
        .size:           4
        .value_kind:     by_value
    .group_segment_fixed_size: 1024
    .kernarg_segment_align: 8
    .kernarg_segment_size: 140
    .language:       OpenCL C
    .language_version:
      - 2
      - 0
    .max_flat_workgroup_size: 256
    .name:           _ZN12_GLOBAL__N_127rocblas_gemm_batched_kernelIDF16_Li16ELi16ELi64ELi64ELi4ELi64ELi4ELi4ELi64ELc78ELc78EKDF16_S1_DF16_EEvlllT_PT11_llS4_llS2_PT12_llPT13_lli
    .private_segment_fixed_size: 0
    .sgpr_count:     26
    .sgpr_spill_count: 0
    .symbol:         _ZN12_GLOBAL__N_127rocblas_gemm_batched_kernelIDF16_Li16ELi16ELi64ELi64ELi4ELi64ELi4ELi4ELi64ELc78ELc78EKDF16_S1_DF16_EEvlllT_PT11_llS4_llS2_PT12_llPT13_lli.kd
    .uniform_work_group_size: 1
    .uses_dynamic_stack: false
    .vgpr_count:     36
    .vgpr_spill_count: 0
    .wavefront_size: 32
    .workgroup_processor_mode: 1
  - .args:
      - .offset:         0
        .size:           8
        .value_kind:     by_value
      - .offset:         8
        .size:           8
        .value_kind:     by_value
      - .offset:         16
        .size:           8
        .value_kind:     by_value
      - .offset:         24
        .size:           2
        .value_kind:     by_value
      - .address_space:  global
        .offset:         32
        .size:           8
        .value_kind:     global_buffer
      - .offset:         40
        .size:           8
        .value_kind:     by_value
      - .offset:         48
        .size:           8
        .value_kind:     by_value
      - .address_space:  global
        .offset:         56
        .size:           8
        .value_kind:     global_buffer
      - .offset:         64
        .size:           8
        .value_kind:     by_value
      - .offset:         72
        .size:           8
        .value_kind:     by_value
      - .offset:         80
        .size:           2
        .value_kind:     by_value
      - .address_space:  global
        .offset:         88
        .size:           8
        .value_kind:     global_buffer
      - .offset:         96
        .size:           8
        .value_kind:     by_value
      - .offset:         104
        .size:           8
        .value_kind:     by_value
      - .address_space:  global
        .offset:         112
        .size:           8
        .value_kind:     global_buffer
      - .offset:         120
        .size:           8
        .value_kind:     by_value
      - .offset:         128
        .size:           8
        .value_kind:     by_value
      - .offset:         136
        .size:           4
        .value_kind:     by_value
    .group_segment_fixed_size: 1024
    .kernarg_segment_align: 8
    .kernarg_segment_size: 140
    .language:       OpenCL C
    .language_version:
      - 2
      - 0
    .max_flat_workgroup_size: 256
    .name:           _ZN12_GLOBAL__N_127rocblas_gemm_batched_kernelIDF16_Li16ELi16ELi64ELi64ELi4ELi64ELi4ELi4ELi64ELc84ELc78EKDF16_S1_DF16_EEvlllT_PT11_llS4_llS2_PT12_llPT13_lli
    .private_segment_fixed_size: 0
    .sgpr_count:     26
    .sgpr_spill_count: 0
    .symbol:         _ZN12_GLOBAL__N_127rocblas_gemm_batched_kernelIDF16_Li16ELi16ELi64ELi64ELi4ELi64ELi4ELi4ELi64ELc84ELc78EKDF16_S1_DF16_EEvlllT_PT11_llS4_llS2_PT12_llPT13_lli.kd
    .uniform_work_group_size: 1
    .uses_dynamic_stack: false
    .vgpr_count:     36
    .vgpr_spill_count: 0
    .wavefront_size: 32
    .workgroup_processor_mode: 1
  - .args:
      - .offset:         0
        .size:           8
        .value_kind:     by_value
      - .offset:         8
        .size:           8
        .value_kind:     by_value
      - .offset:         16
        .size:           8
        .value_kind:     by_value
      - .offset:         24
        .size:           2
        .value_kind:     by_value
      - .address_space:  global
        .offset:         32
        .size:           8
        .value_kind:     global_buffer
      - .offset:         40
        .size:           8
        .value_kind:     by_value
      - .offset:         48
        .size:           8
        .value_kind:     by_value
      - .address_space:  global
        .offset:         56
        .size:           8
        .value_kind:     global_buffer
      - .offset:         64
        .size:           8
        .value_kind:     by_value
      - .offset:         72
        .size:           8
        .value_kind:     by_value
      - .offset:         80
        .size:           2
        .value_kind:     by_value
      - .address_space:  global
        .offset:         88
        .size:           8
        .value_kind:     global_buffer
      - .offset:         96
        .size:           8
        .value_kind:     by_value
      - .offset:         104
        .size:           8
        .value_kind:     by_value
      - .address_space:  global
        .offset:         112
        .size:           8
        .value_kind:     global_buffer
      - .offset:         120
        .size:           8
        .value_kind:     by_value
      - .offset:         128
        .size:           8
        .value_kind:     by_value
      - .offset:         136
        .size:           4
        .value_kind:     by_value
    .group_segment_fixed_size: 1024
    .kernarg_segment_align: 8
    .kernarg_segment_size: 140
    .language:       OpenCL C
    .language_version:
      - 2
      - 0
    .max_flat_workgroup_size: 256
    .name:           _ZN12_GLOBAL__N_127rocblas_gemm_batched_kernelIDF16_Li16ELi16ELi64ELi64ELi4ELi64ELi4ELi4ELi64ELc78ELc84EKDF16_S1_DF16_EEvlllT_PT11_llS4_llS2_PT12_llPT13_lli
    .private_segment_fixed_size: 0
    .sgpr_count:     26
    .sgpr_spill_count: 0
    .symbol:         _ZN12_GLOBAL__N_127rocblas_gemm_batched_kernelIDF16_Li16ELi16ELi64ELi64ELi4ELi64ELi4ELi4ELi64ELc78ELc84EKDF16_S1_DF16_EEvlllT_PT11_llS4_llS2_PT12_llPT13_lli.kd
    .uniform_work_group_size: 1
    .uses_dynamic_stack: false
    .vgpr_count:     36
    .vgpr_spill_count: 0
    .wavefront_size: 32
    .workgroup_processor_mode: 1
  - .args:
      - .offset:         0
        .size:           8
        .value_kind:     by_value
      - .offset:         8
        .size:           8
        .value_kind:     by_value
      - .offset:         16
        .size:           8
        .value_kind:     by_value
      - .offset:         24
        .size:           2
        .value_kind:     by_value
      - .address_space:  global
        .offset:         32
        .size:           8
        .value_kind:     global_buffer
      - .offset:         40
        .size:           8
        .value_kind:     by_value
      - .offset:         48
        .size:           8
        .value_kind:     by_value
      - .address_space:  global
        .offset:         56
        .size:           8
        .value_kind:     global_buffer
      - .offset:         64
        .size:           8
        .value_kind:     by_value
      - .offset:         72
        .size:           8
        .value_kind:     by_value
      - .offset:         80
        .size:           2
        .value_kind:     by_value
      - .address_space:  global
        .offset:         88
        .size:           8
        .value_kind:     global_buffer
      - .offset:         96
        .size:           8
        .value_kind:     by_value
      - .offset:         104
        .size:           8
        .value_kind:     by_value
      - .address_space:  global
        .offset:         112
        .size:           8
        .value_kind:     global_buffer
      - .offset:         120
        .size:           8
        .value_kind:     by_value
      - .offset:         128
        .size:           8
        .value_kind:     by_value
      - .offset:         136
        .size:           4
        .value_kind:     by_value
    .group_segment_fixed_size: 1024
    .kernarg_segment_align: 8
    .kernarg_segment_size: 140
    .language:       OpenCL C
    .language_version:
      - 2
      - 0
    .max_flat_workgroup_size: 256
    .name:           _ZN12_GLOBAL__N_127rocblas_gemm_batched_kernelIDF16_Li16ELi16ELi64ELi64ELi4ELi64ELi4ELi4ELi64ELc84ELc84EKDF16_S1_DF16_EEvlllT_PT11_llS4_llS2_PT12_llPT13_lli
    .private_segment_fixed_size: 0
    .sgpr_count:     26
    .sgpr_spill_count: 0
    .symbol:         _ZN12_GLOBAL__N_127rocblas_gemm_batched_kernelIDF16_Li16ELi16ELi64ELi64ELi4ELi64ELi4ELi4ELi64ELc84ELc84EKDF16_S1_DF16_EEvlllT_PT11_llS4_llS2_PT12_llPT13_lli.kd
    .uniform_work_group_size: 1
    .uses_dynamic_stack: false
    .vgpr_count:     36
    .vgpr_spill_count: 0
    .wavefront_size: 32
    .workgroup_processor_mode: 1
  - .args:
      - .offset:         0
        .size:           8
        .value_kind:     by_value
      - .offset:         8
        .size:           8
        .value_kind:     by_value
      - .offset:         16
        .size:           8
        .value_kind:     by_value
      - .offset:         24
        .size:           2
        .value_kind:     by_value
      - .address_space:  global
        .offset:         32
        .size:           8
        .value_kind:     global_buffer
      - .offset:         40
        .size:           8
        .value_kind:     by_value
      - .offset:         48
        .size:           8
        .value_kind:     by_value
      - .address_space:  global
        .offset:         56
        .size:           8
        .value_kind:     global_buffer
      - .offset:         64
        .size:           8
        .value_kind:     by_value
      - .offset:         72
        .size:           8
        .value_kind:     by_value
      - .offset:         80
        .size:           2
        .value_kind:     by_value
      - .address_space:  global
        .offset:         88
        .size:           8
        .value_kind:     global_buffer
      - .offset:         96
        .size:           8
        .value_kind:     by_value
      - .offset:         104
        .size:           8
        .value_kind:     by_value
      - .address_space:  global
        .offset:         112
        .size:           8
        .value_kind:     global_buffer
      - .offset:         120
        .size:           8
        .value_kind:     by_value
      - .offset:         128
        .size:           8
        .value_kind:     by_value
      - .offset:         136
        .size:           4
        .value_kind:     by_value
    .group_segment_fixed_size: 1024
    .kernarg_segment_align: 8
    .kernarg_segment_size: 140
    .language:       OpenCL C
    .language_version:
      - 2
      - 0
    .max_flat_workgroup_size: 256
    .name:           _ZN12_GLOBAL__N_127rocblas_gemm_batched_kernelIDF16_Li16ELi16ELi64ELi64ELi4ELi64ELi4ELi4ELi64ELc67ELc67EKDF16_S1_DF16_EEvlllT_PT11_llS4_llS2_PT12_llPT13_lli
    .private_segment_fixed_size: 0
    .sgpr_count:     26
    .sgpr_spill_count: 0
    .symbol:         _ZN12_GLOBAL__N_127rocblas_gemm_batched_kernelIDF16_Li16ELi16ELi64ELi64ELi4ELi64ELi4ELi4ELi64ELc67ELc67EKDF16_S1_DF16_EEvlllT_PT11_llS4_llS2_PT12_llPT13_lli.kd
    .uniform_work_group_size: 1
    .uses_dynamic_stack: false
    .vgpr_count:     36
    .vgpr_spill_count: 0
    .wavefront_size: 32
    .workgroup_processor_mode: 1
  - .args:
      - .offset:         0
        .size:           8
        .value_kind:     by_value
      - .offset:         8
        .size:           8
        .value_kind:     by_value
      - .offset:         16
        .size:           8
        .value_kind:     by_value
      - .offset:         24
        .size:           2
        .value_kind:     by_value
      - .address_space:  global
        .offset:         32
        .size:           8
        .value_kind:     global_buffer
      - .offset:         40
        .size:           8
        .value_kind:     by_value
      - .offset:         48
        .size:           8
        .value_kind:     by_value
      - .address_space:  global
        .offset:         56
        .size:           8
        .value_kind:     global_buffer
      - .offset:         64
        .size:           8
        .value_kind:     by_value
      - .offset:         72
        .size:           8
        .value_kind:     by_value
      - .offset:         80
        .size:           2
        .value_kind:     by_value
      - .address_space:  global
        .offset:         88
        .size:           8
        .value_kind:     global_buffer
      - .offset:         96
        .size:           8
        .value_kind:     by_value
      - .offset:         104
        .size:           8
        .value_kind:     by_value
      - .address_space:  global
        .offset:         112
        .size:           8
        .value_kind:     global_buffer
      - .offset:         120
        .size:           8
        .value_kind:     by_value
      - .offset:         128
        .size:           8
        .value_kind:     by_value
      - .offset:         136
        .size:           4
        .value_kind:     by_value
    .group_segment_fixed_size: 1024
    .kernarg_segment_align: 8
    .kernarg_segment_size: 140
    .language:       OpenCL C
    .language_version:
      - 2
      - 0
    .max_flat_workgroup_size: 256
    .name:           _ZN12_GLOBAL__N_127rocblas_gemm_batched_kernelIDF16_Li16ELi16ELi64ELi64ELi4ELi64ELi4ELi4ELi64ELc67ELc78EKDF16_S1_DF16_EEvlllT_PT11_llS4_llS2_PT12_llPT13_lli
    .private_segment_fixed_size: 0
    .sgpr_count:     26
    .sgpr_spill_count: 0
    .symbol:         _ZN12_GLOBAL__N_127rocblas_gemm_batched_kernelIDF16_Li16ELi16ELi64ELi64ELi4ELi64ELi4ELi4ELi64ELc67ELc78EKDF16_S1_DF16_EEvlllT_PT11_llS4_llS2_PT12_llPT13_lli.kd
    .uniform_work_group_size: 1
    .uses_dynamic_stack: false
    .vgpr_count:     36
    .vgpr_spill_count: 0
    .wavefront_size: 32
    .workgroup_processor_mode: 1
  - .args:
      - .offset:         0
        .size:           8
        .value_kind:     by_value
      - .offset:         8
        .size:           8
        .value_kind:     by_value
      - .offset:         16
        .size:           8
        .value_kind:     by_value
      - .offset:         24
        .size:           2
        .value_kind:     by_value
      - .address_space:  global
        .offset:         32
        .size:           8
        .value_kind:     global_buffer
      - .offset:         40
        .size:           8
        .value_kind:     by_value
      - .offset:         48
        .size:           8
        .value_kind:     by_value
      - .address_space:  global
        .offset:         56
        .size:           8
        .value_kind:     global_buffer
      - .offset:         64
        .size:           8
        .value_kind:     by_value
      - .offset:         72
        .size:           8
        .value_kind:     by_value
      - .offset:         80
        .size:           2
        .value_kind:     by_value
      - .address_space:  global
        .offset:         88
        .size:           8
        .value_kind:     global_buffer
      - .offset:         96
        .size:           8
        .value_kind:     by_value
      - .offset:         104
        .size:           8
        .value_kind:     by_value
      - .address_space:  global
        .offset:         112
        .size:           8
        .value_kind:     global_buffer
      - .offset:         120
        .size:           8
        .value_kind:     by_value
      - .offset:         128
        .size:           8
        .value_kind:     by_value
      - .offset:         136
        .size:           4
        .value_kind:     by_value
    .group_segment_fixed_size: 1024
    .kernarg_segment_align: 8
    .kernarg_segment_size: 140
    .language:       OpenCL C
    .language_version:
      - 2
      - 0
    .max_flat_workgroup_size: 256
    .name:           _ZN12_GLOBAL__N_127rocblas_gemm_batched_kernelIDF16_Li16ELi16ELi64ELi64ELi4ELi64ELi4ELi4ELi64ELc67ELc84EKDF16_S1_DF16_EEvlllT_PT11_llS4_llS2_PT12_llPT13_lli
    .private_segment_fixed_size: 0
    .sgpr_count:     26
    .sgpr_spill_count: 0
    .symbol:         _ZN12_GLOBAL__N_127rocblas_gemm_batched_kernelIDF16_Li16ELi16ELi64ELi64ELi4ELi64ELi4ELi4ELi64ELc67ELc84EKDF16_S1_DF16_EEvlllT_PT11_llS4_llS2_PT12_llPT13_lli.kd
    .uniform_work_group_size: 1
    .uses_dynamic_stack: false
    .vgpr_count:     36
    .vgpr_spill_count: 0
    .wavefront_size: 32
    .workgroup_processor_mode: 1
  - .args:
      - .offset:         0
        .size:           8
        .value_kind:     by_value
      - .offset:         8
        .size:           8
        .value_kind:     by_value
      - .offset:         16
        .size:           8
        .value_kind:     by_value
      - .offset:         24
        .size:           2
        .value_kind:     by_value
      - .address_space:  global
        .offset:         32
        .size:           8
        .value_kind:     global_buffer
      - .offset:         40
        .size:           8
        .value_kind:     by_value
      - .offset:         48
        .size:           8
        .value_kind:     by_value
      - .address_space:  global
        .offset:         56
        .size:           8
        .value_kind:     global_buffer
      - .offset:         64
        .size:           8
        .value_kind:     by_value
      - .offset:         72
        .size:           8
        .value_kind:     by_value
      - .offset:         80
        .size:           2
        .value_kind:     by_value
      - .address_space:  global
        .offset:         88
        .size:           8
        .value_kind:     global_buffer
      - .offset:         96
        .size:           8
        .value_kind:     by_value
      - .offset:         104
        .size:           8
        .value_kind:     by_value
      - .address_space:  global
        .offset:         112
        .size:           8
        .value_kind:     global_buffer
      - .offset:         120
        .size:           8
        .value_kind:     by_value
      - .offset:         128
        .size:           8
        .value_kind:     by_value
      - .offset:         136
        .size:           4
        .value_kind:     by_value
    .group_segment_fixed_size: 1024
    .kernarg_segment_align: 8
    .kernarg_segment_size: 140
    .language:       OpenCL C
    .language_version:
      - 2
      - 0
    .max_flat_workgroup_size: 256
    .name:           _ZN12_GLOBAL__N_127rocblas_gemm_batched_kernelIDF16_Li16ELi16ELi64ELi64ELi4ELi64ELi4ELi4ELi64ELc78ELc67EKDF16_S1_DF16_EEvlllT_PT11_llS4_llS2_PT12_llPT13_lli
    .private_segment_fixed_size: 0
    .sgpr_count:     26
    .sgpr_spill_count: 0
    .symbol:         _ZN12_GLOBAL__N_127rocblas_gemm_batched_kernelIDF16_Li16ELi16ELi64ELi64ELi4ELi64ELi4ELi4ELi64ELc78ELc67EKDF16_S1_DF16_EEvlllT_PT11_llS4_llS2_PT12_llPT13_lli.kd
    .uniform_work_group_size: 1
    .uses_dynamic_stack: false
    .vgpr_count:     36
    .vgpr_spill_count: 0
    .wavefront_size: 32
    .workgroup_processor_mode: 1
  - .args:
      - .offset:         0
        .size:           8
        .value_kind:     by_value
      - .offset:         8
        .size:           8
        .value_kind:     by_value
      - .offset:         16
        .size:           8
        .value_kind:     by_value
      - .offset:         24
        .size:           2
        .value_kind:     by_value
      - .address_space:  global
        .offset:         32
        .size:           8
        .value_kind:     global_buffer
      - .offset:         40
        .size:           8
        .value_kind:     by_value
      - .offset:         48
        .size:           8
        .value_kind:     by_value
      - .address_space:  global
        .offset:         56
        .size:           8
        .value_kind:     global_buffer
      - .offset:         64
        .size:           8
        .value_kind:     by_value
      - .offset:         72
        .size:           8
        .value_kind:     by_value
      - .offset:         80
        .size:           2
        .value_kind:     by_value
      - .address_space:  global
        .offset:         88
        .size:           8
        .value_kind:     global_buffer
      - .offset:         96
        .size:           8
        .value_kind:     by_value
      - .offset:         104
        .size:           8
        .value_kind:     by_value
      - .address_space:  global
        .offset:         112
        .size:           8
        .value_kind:     global_buffer
      - .offset:         120
        .size:           8
        .value_kind:     by_value
      - .offset:         128
        .size:           8
        .value_kind:     by_value
      - .offset:         136
        .size:           4
        .value_kind:     by_value
    .group_segment_fixed_size: 1024
    .kernarg_segment_align: 8
    .kernarg_segment_size: 140
    .language:       OpenCL C
    .language_version:
      - 2
      - 0
    .max_flat_workgroup_size: 256
    .name:           _ZN12_GLOBAL__N_127rocblas_gemm_batched_kernelIDF16_Li16ELi16ELi64ELi64ELi4ELi64ELi4ELi4ELi64ELc84ELc67EKDF16_S1_DF16_EEvlllT_PT11_llS4_llS2_PT12_llPT13_lli
    .private_segment_fixed_size: 0
    .sgpr_count:     26
    .sgpr_spill_count: 0
    .symbol:         _ZN12_GLOBAL__N_127rocblas_gemm_batched_kernelIDF16_Li16ELi16ELi64ELi64ELi4ELi64ELi4ELi4ELi64ELc84ELc67EKDF16_S1_DF16_EEvlllT_PT11_llS4_llS2_PT12_llPT13_lli.kd
    .uniform_work_group_size: 1
    .uses_dynamic_stack: false
    .vgpr_count:     36
    .vgpr_spill_count: 0
    .wavefront_size: 32
    .workgroup_processor_mode: 1
  - .args:
      - .offset:         0
        .size:           8
        .value_kind:     by_value
      - .offset:         8
        .size:           8
        .value_kind:     by_value
      - .offset:         16
        .size:           8
        .value_kind:     by_value
      - .offset:         24
        .size:           2
        .value_kind:     by_value
      - .address_space:  global
        .offset:         32
        .size:           8
        .value_kind:     global_buffer
      - .offset:         40
        .size:           8
        .value_kind:     by_value
      - .offset:         48
        .size:           8
        .value_kind:     by_value
      - .address_space:  global
        .offset:         56
        .size:           8
        .value_kind:     global_buffer
      - .offset:         64
        .size:           8
        .value_kind:     by_value
      - .offset:         72
        .size:           8
        .value_kind:     by_value
      - .offset:         80
        .size:           2
        .value_kind:     by_value
      - .address_space:  global
        .offset:         88
        .size:           8
        .value_kind:     global_buffer
      - .offset:         96
        .size:           8
        .value_kind:     by_value
      - .offset:         104
        .size:           8
        .value_kind:     by_value
      - .address_space:  global
        .offset:         112
        .size:           8
        .value_kind:     global_buffer
      - .offset:         120
        .size:           8
        .value_kind:     by_value
      - .offset:         128
        .size:           8
        .value_kind:     by_value
      - .offset:         136
        .size:           4
        .value_kind:     by_value
    .group_segment_fixed_size: 1024
    .kernarg_segment_align: 8
    .kernarg_segment_size: 140
    .language:       OpenCL C
    .language_version:
      - 2
      - 0
    .max_flat_workgroup_size: 256
    .name:           _ZN12_GLOBAL__N_127rocblas_gemm_batched_kernelIDF16_Li16ELi16ELi32ELi32ELi8ELi32ELi8ELi8ELi32ELc78ELc78EKDF16_S1_DF16_EEvlllT_PT11_llS4_llS2_PT12_llPT13_lli
    .private_segment_fixed_size: 0
    .sgpr_count:     24
    .sgpr_spill_count: 0
    .symbol:         _ZN12_GLOBAL__N_127rocblas_gemm_batched_kernelIDF16_Li16ELi16ELi32ELi32ELi8ELi32ELi8ELi8ELi32ELc78ELc78EKDF16_S1_DF16_EEvlllT_PT11_llS4_llS2_PT12_llPT13_lli.kd
    .uniform_work_group_size: 1
    .uses_dynamic_stack: false
    .vgpr_count:     28
    .vgpr_spill_count: 0
    .wavefront_size: 32
    .workgroup_processor_mode: 1
  - .args:
      - .offset:         0
        .size:           8
        .value_kind:     by_value
      - .offset:         8
        .size:           8
        .value_kind:     by_value
      - .offset:         16
        .size:           8
        .value_kind:     by_value
      - .offset:         24
        .size:           2
        .value_kind:     by_value
      - .address_space:  global
        .offset:         32
        .size:           8
        .value_kind:     global_buffer
      - .offset:         40
        .size:           8
        .value_kind:     by_value
      - .offset:         48
        .size:           8
        .value_kind:     by_value
      - .address_space:  global
        .offset:         56
        .size:           8
        .value_kind:     global_buffer
      - .offset:         64
        .size:           8
        .value_kind:     by_value
      - .offset:         72
        .size:           8
        .value_kind:     by_value
      - .offset:         80
        .size:           2
        .value_kind:     by_value
      - .address_space:  global
        .offset:         88
        .size:           8
        .value_kind:     global_buffer
      - .offset:         96
        .size:           8
        .value_kind:     by_value
      - .offset:         104
        .size:           8
        .value_kind:     by_value
      - .address_space:  global
        .offset:         112
        .size:           8
        .value_kind:     global_buffer
      - .offset:         120
        .size:           8
        .value_kind:     by_value
      - .offset:         128
        .size:           8
        .value_kind:     by_value
      - .offset:         136
        .size:           4
        .value_kind:     by_value
    .group_segment_fixed_size: 1024
    .kernarg_segment_align: 8
    .kernarg_segment_size: 140
    .language:       OpenCL C
    .language_version:
      - 2
      - 0
    .max_flat_workgroup_size: 256
    .name:           _ZN12_GLOBAL__N_127rocblas_gemm_batched_kernelIDF16_Li16ELi16ELi32ELi32ELi8ELi32ELi8ELi8ELi32ELc84ELc78EKDF16_S1_DF16_EEvlllT_PT11_llS4_llS2_PT12_llPT13_lli
    .private_segment_fixed_size: 0
    .sgpr_count:     24
    .sgpr_spill_count: 0
    .symbol:         _ZN12_GLOBAL__N_127rocblas_gemm_batched_kernelIDF16_Li16ELi16ELi32ELi32ELi8ELi32ELi8ELi8ELi32ELc84ELc78EKDF16_S1_DF16_EEvlllT_PT11_llS4_llS2_PT12_llPT13_lli.kd
    .uniform_work_group_size: 1
    .uses_dynamic_stack: false
    .vgpr_count:     28
    .vgpr_spill_count: 0
    .wavefront_size: 32
    .workgroup_processor_mode: 1
  - .args:
      - .offset:         0
        .size:           8
        .value_kind:     by_value
      - .offset:         8
        .size:           8
        .value_kind:     by_value
      - .offset:         16
        .size:           8
        .value_kind:     by_value
      - .offset:         24
        .size:           2
        .value_kind:     by_value
      - .address_space:  global
        .offset:         32
        .size:           8
        .value_kind:     global_buffer
      - .offset:         40
        .size:           8
        .value_kind:     by_value
      - .offset:         48
        .size:           8
        .value_kind:     by_value
      - .address_space:  global
        .offset:         56
        .size:           8
        .value_kind:     global_buffer
      - .offset:         64
        .size:           8
        .value_kind:     by_value
      - .offset:         72
        .size:           8
        .value_kind:     by_value
      - .offset:         80
        .size:           2
        .value_kind:     by_value
      - .address_space:  global
        .offset:         88
        .size:           8
        .value_kind:     global_buffer
      - .offset:         96
        .size:           8
        .value_kind:     by_value
      - .offset:         104
        .size:           8
        .value_kind:     by_value
      - .address_space:  global
        .offset:         112
        .size:           8
        .value_kind:     global_buffer
      - .offset:         120
        .size:           8
        .value_kind:     by_value
      - .offset:         128
        .size:           8
        .value_kind:     by_value
      - .offset:         136
        .size:           4
        .value_kind:     by_value
    .group_segment_fixed_size: 1024
    .kernarg_segment_align: 8
    .kernarg_segment_size: 140
    .language:       OpenCL C
    .language_version:
      - 2
      - 0
    .max_flat_workgroup_size: 256
    .name:           _ZN12_GLOBAL__N_127rocblas_gemm_batched_kernelIDF16_Li16ELi16ELi32ELi32ELi8ELi32ELi8ELi8ELi32ELc78ELc84EKDF16_S1_DF16_EEvlllT_PT11_llS4_llS2_PT12_llPT13_lli
    .private_segment_fixed_size: 0
    .sgpr_count:     24
    .sgpr_spill_count: 0
    .symbol:         _ZN12_GLOBAL__N_127rocblas_gemm_batched_kernelIDF16_Li16ELi16ELi32ELi32ELi8ELi32ELi8ELi8ELi32ELc78ELc84EKDF16_S1_DF16_EEvlllT_PT11_llS4_llS2_PT12_llPT13_lli.kd
    .uniform_work_group_size: 1
    .uses_dynamic_stack: false
    .vgpr_count:     28
    .vgpr_spill_count: 0
    .wavefront_size: 32
    .workgroup_processor_mode: 1
  - .args:
      - .offset:         0
        .size:           8
        .value_kind:     by_value
      - .offset:         8
        .size:           8
        .value_kind:     by_value
      - .offset:         16
        .size:           8
        .value_kind:     by_value
      - .offset:         24
        .size:           2
        .value_kind:     by_value
      - .address_space:  global
        .offset:         32
        .size:           8
        .value_kind:     global_buffer
      - .offset:         40
        .size:           8
        .value_kind:     by_value
      - .offset:         48
        .size:           8
        .value_kind:     by_value
      - .address_space:  global
        .offset:         56
        .size:           8
        .value_kind:     global_buffer
      - .offset:         64
        .size:           8
        .value_kind:     by_value
      - .offset:         72
        .size:           8
        .value_kind:     by_value
      - .offset:         80
        .size:           2
        .value_kind:     by_value
      - .address_space:  global
        .offset:         88
        .size:           8
        .value_kind:     global_buffer
      - .offset:         96
        .size:           8
        .value_kind:     by_value
      - .offset:         104
        .size:           8
        .value_kind:     by_value
      - .address_space:  global
        .offset:         112
        .size:           8
        .value_kind:     global_buffer
      - .offset:         120
        .size:           8
        .value_kind:     by_value
      - .offset:         128
        .size:           8
        .value_kind:     by_value
      - .offset:         136
        .size:           4
        .value_kind:     by_value
    .group_segment_fixed_size: 1024
    .kernarg_segment_align: 8
    .kernarg_segment_size: 140
    .language:       OpenCL C
    .language_version:
      - 2
      - 0
    .max_flat_workgroup_size: 256
    .name:           _ZN12_GLOBAL__N_127rocblas_gemm_batched_kernelIDF16_Li16ELi16ELi32ELi32ELi8ELi32ELi8ELi8ELi32ELc84ELc84EKDF16_S1_DF16_EEvlllT_PT11_llS4_llS2_PT12_llPT13_lli
    .private_segment_fixed_size: 0
    .sgpr_count:     24
    .sgpr_spill_count: 0
    .symbol:         _ZN12_GLOBAL__N_127rocblas_gemm_batched_kernelIDF16_Li16ELi16ELi32ELi32ELi8ELi32ELi8ELi8ELi32ELc84ELc84EKDF16_S1_DF16_EEvlllT_PT11_llS4_llS2_PT12_llPT13_lli.kd
    .uniform_work_group_size: 1
    .uses_dynamic_stack: false
    .vgpr_count:     28
    .vgpr_spill_count: 0
    .wavefront_size: 32
    .workgroup_processor_mode: 1
  - .args:
      - .offset:         0
        .size:           8
        .value_kind:     by_value
      - .offset:         8
        .size:           8
        .value_kind:     by_value
      - .offset:         16
        .size:           8
        .value_kind:     by_value
      - .offset:         24
        .size:           2
        .value_kind:     by_value
      - .address_space:  global
        .offset:         32
        .size:           8
        .value_kind:     global_buffer
      - .offset:         40
        .size:           8
        .value_kind:     by_value
      - .offset:         48
        .size:           8
        .value_kind:     by_value
      - .address_space:  global
        .offset:         56
        .size:           8
        .value_kind:     global_buffer
      - .offset:         64
        .size:           8
        .value_kind:     by_value
      - .offset:         72
        .size:           8
        .value_kind:     by_value
      - .offset:         80
        .size:           2
        .value_kind:     by_value
      - .address_space:  global
        .offset:         88
        .size:           8
        .value_kind:     global_buffer
      - .offset:         96
        .size:           8
        .value_kind:     by_value
      - .offset:         104
        .size:           8
        .value_kind:     by_value
      - .address_space:  global
        .offset:         112
        .size:           8
        .value_kind:     global_buffer
      - .offset:         120
        .size:           8
        .value_kind:     by_value
      - .offset:         128
        .size:           8
        .value_kind:     by_value
      - .offset:         136
        .size:           4
        .value_kind:     by_value
    .group_segment_fixed_size: 1024
    .kernarg_segment_align: 8
    .kernarg_segment_size: 140
    .language:       OpenCL C
    .language_version:
      - 2
      - 0
    .max_flat_workgroup_size: 256
    .name:           _ZN12_GLOBAL__N_127rocblas_gemm_batched_kernelIDF16_Li16ELi16ELi32ELi32ELi8ELi32ELi8ELi8ELi32ELc67ELc67EKDF16_S1_DF16_EEvlllT_PT11_llS4_llS2_PT12_llPT13_lli
    .private_segment_fixed_size: 0
    .sgpr_count:     24
    .sgpr_spill_count: 0
    .symbol:         _ZN12_GLOBAL__N_127rocblas_gemm_batched_kernelIDF16_Li16ELi16ELi32ELi32ELi8ELi32ELi8ELi8ELi32ELc67ELc67EKDF16_S1_DF16_EEvlllT_PT11_llS4_llS2_PT12_llPT13_lli.kd
    .uniform_work_group_size: 1
    .uses_dynamic_stack: false
    .vgpr_count:     28
    .vgpr_spill_count: 0
    .wavefront_size: 32
    .workgroup_processor_mode: 1
  - .args:
      - .offset:         0
        .size:           8
        .value_kind:     by_value
      - .offset:         8
        .size:           8
        .value_kind:     by_value
      - .offset:         16
        .size:           8
        .value_kind:     by_value
      - .offset:         24
        .size:           2
        .value_kind:     by_value
      - .address_space:  global
        .offset:         32
        .size:           8
        .value_kind:     global_buffer
      - .offset:         40
        .size:           8
        .value_kind:     by_value
      - .offset:         48
        .size:           8
        .value_kind:     by_value
      - .address_space:  global
        .offset:         56
        .size:           8
        .value_kind:     global_buffer
      - .offset:         64
        .size:           8
        .value_kind:     by_value
      - .offset:         72
        .size:           8
        .value_kind:     by_value
      - .offset:         80
        .size:           2
        .value_kind:     by_value
      - .address_space:  global
        .offset:         88
        .size:           8
        .value_kind:     global_buffer
      - .offset:         96
        .size:           8
        .value_kind:     by_value
      - .offset:         104
        .size:           8
        .value_kind:     by_value
      - .address_space:  global
        .offset:         112
        .size:           8
        .value_kind:     global_buffer
      - .offset:         120
        .size:           8
        .value_kind:     by_value
      - .offset:         128
        .size:           8
        .value_kind:     by_value
      - .offset:         136
        .size:           4
        .value_kind:     by_value
    .group_segment_fixed_size: 1024
    .kernarg_segment_align: 8
    .kernarg_segment_size: 140
    .language:       OpenCL C
    .language_version:
      - 2
      - 0
    .max_flat_workgroup_size: 256
    .name:           _ZN12_GLOBAL__N_127rocblas_gemm_batched_kernelIDF16_Li16ELi16ELi32ELi32ELi8ELi32ELi8ELi8ELi32ELc67ELc78EKDF16_S1_DF16_EEvlllT_PT11_llS4_llS2_PT12_llPT13_lli
    .private_segment_fixed_size: 0
    .sgpr_count:     24
    .sgpr_spill_count: 0
    .symbol:         _ZN12_GLOBAL__N_127rocblas_gemm_batched_kernelIDF16_Li16ELi16ELi32ELi32ELi8ELi32ELi8ELi8ELi32ELc67ELc78EKDF16_S1_DF16_EEvlllT_PT11_llS4_llS2_PT12_llPT13_lli.kd
    .uniform_work_group_size: 1
    .uses_dynamic_stack: false
    .vgpr_count:     28
    .vgpr_spill_count: 0
    .wavefront_size: 32
    .workgroup_processor_mode: 1
  - .args:
      - .offset:         0
        .size:           8
        .value_kind:     by_value
      - .offset:         8
        .size:           8
        .value_kind:     by_value
      - .offset:         16
        .size:           8
        .value_kind:     by_value
      - .offset:         24
        .size:           2
        .value_kind:     by_value
      - .address_space:  global
        .offset:         32
        .size:           8
        .value_kind:     global_buffer
      - .offset:         40
        .size:           8
        .value_kind:     by_value
      - .offset:         48
        .size:           8
        .value_kind:     by_value
      - .address_space:  global
        .offset:         56
        .size:           8
        .value_kind:     global_buffer
      - .offset:         64
        .size:           8
        .value_kind:     by_value
      - .offset:         72
        .size:           8
        .value_kind:     by_value
      - .offset:         80
        .size:           2
        .value_kind:     by_value
      - .address_space:  global
        .offset:         88
        .size:           8
        .value_kind:     global_buffer
      - .offset:         96
        .size:           8
        .value_kind:     by_value
      - .offset:         104
        .size:           8
        .value_kind:     by_value
      - .address_space:  global
        .offset:         112
        .size:           8
        .value_kind:     global_buffer
      - .offset:         120
        .size:           8
        .value_kind:     by_value
      - .offset:         128
        .size:           8
        .value_kind:     by_value
      - .offset:         136
        .size:           4
        .value_kind:     by_value
    .group_segment_fixed_size: 1024
    .kernarg_segment_align: 8
    .kernarg_segment_size: 140
    .language:       OpenCL C
    .language_version:
      - 2
      - 0
    .max_flat_workgroup_size: 256
    .name:           _ZN12_GLOBAL__N_127rocblas_gemm_batched_kernelIDF16_Li16ELi16ELi32ELi32ELi8ELi32ELi8ELi8ELi32ELc67ELc84EKDF16_S1_DF16_EEvlllT_PT11_llS4_llS2_PT12_llPT13_lli
    .private_segment_fixed_size: 0
    .sgpr_count:     24
    .sgpr_spill_count: 0
    .symbol:         _ZN12_GLOBAL__N_127rocblas_gemm_batched_kernelIDF16_Li16ELi16ELi32ELi32ELi8ELi32ELi8ELi8ELi32ELc67ELc84EKDF16_S1_DF16_EEvlllT_PT11_llS4_llS2_PT12_llPT13_lli.kd
    .uniform_work_group_size: 1
    .uses_dynamic_stack: false
    .vgpr_count:     28
    .vgpr_spill_count: 0
    .wavefront_size: 32
    .workgroup_processor_mode: 1
  - .args:
      - .offset:         0
        .size:           8
        .value_kind:     by_value
      - .offset:         8
        .size:           8
        .value_kind:     by_value
      - .offset:         16
        .size:           8
        .value_kind:     by_value
      - .offset:         24
        .size:           2
        .value_kind:     by_value
      - .address_space:  global
        .offset:         32
        .size:           8
        .value_kind:     global_buffer
      - .offset:         40
        .size:           8
        .value_kind:     by_value
      - .offset:         48
        .size:           8
        .value_kind:     by_value
      - .address_space:  global
        .offset:         56
        .size:           8
        .value_kind:     global_buffer
      - .offset:         64
        .size:           8
        .value_kind:     by_value
      - .offset:         72
        .size:           8
        .value_kind:     by_value
      - .offset:         80
        .size:           2
        .value_kind:     by_value
      - .address_space:  global
        .offset:         88
        .size:           8
        .value_kind:     global_buffer
      - .offset:         96
        .size:           8
        .value_kind:     by_value
      - .offset:         104
        .size:           8
        .value_kind:     by_value
      - .address_space:  global
        .offset:         112
        .size:           8
        .value_kind:     global_buffer
      - .offset:         120
        .size:           8
        .value_kind:     by_value
      - .offset:         128
        .size:           8
        .value_kind:     by_value
      - .offset:         136
        .size:           4
        .value_kind:     by_value
    .group_segment_fixed_size: 1024
    .kernarg_segment_align: 8
    .kernarg_segment_size: 140
    .language:       OpenCL C
    .language_version:
      - 2
      - 0
    .max_flat_workgroup_size: 256
    .name:           _ZN12_GLOBAL__N_127rocblas_gemm_batched_kernelIDF16_Li16ELi16ELi32ELi32ELi8ELi32ELi8ELi8ELi32ELc78ELc67EKDF16_S1_DF16_EEvlllT_PT11_llS4_llS2_PT12_llPT13_lli
    .private_segment_fixed_size: 0
    .sgpr_count:     24
    .sgpr_spill_count: 0
    .symbol:         _ZN12_GLOBAL__N_127rocblas_gemm_batched_kernelIDF16_Li16ELi16ELi32ELi32ELi8ELi32ELi8ELi8ELi32ELc78ELc67EKDF16_S1_DF16_EEvlllT_PT11_llS4_llS2_PT12_llPT13_lli.kd
    .uniform_work_group_size: 1
    .uses_dynamic_stack: false
    .vgpr_count:     28
    .vgpr_spill_count: 0
    .wavefront_size: 32
    .workgroup_processor_mode: 1
  - .args:
      - .offset:         0
        .size:           8
        .value_kind:     by_value
      - .offset:         8
        .size:           8
        .value_kind:     by_value
      - .offset:         16
        .size:           8
        .value_kind:     by_value
      - .offset:         24
        .size:           2
        .value_kind:     by_value
      - .address_space:  global
        .offset:         32
        .size:           8
        .value_kind:     global_buffer
      - .offset:         40
        .size:           8
        .value_kind:     by_value
      - .offset:         48
        .size:           8
        .value_kind:     by_value
      - .address_space:  global
        .offset:         56
        .size:           8
        .value_kind:     global_buffer
      - .offset:         64
        .size:           8
        .value_kind:     by_value
      - .offset:         72
        .size:           8
        .value_kind:     by_value
      - .offset:         80
        .size:           2
        .value_kind:     by_value
      - .address_space:  global
        .offset:         88
        .size:           8
        .value_kind:     global_buffer
      - .offset:         96
        .size:           8
        .value_kind:     by_value
      - .offset:         104
        .size:           8
        .value_kind:     by_value
      - .address_space:  global
        .offset:         112
        .size:           8
        .value_kind:     global_buffer
      - .offset:         120
        .size:           8
        .value_kind:     by_value
      - .offset:         128
        .size:           8
        .value_kind:     by_value
      - .offset:         136
        .size:           4
        .value_kind:     by_value
    .group_segment_fixed_size: 1024
    .kernarg_segment_align: 8
    .kernarg_segment_size: 140
    .language:       OpenCL C
    .language_version:
      - 2
      - 0
    .max_flat_workgroup_size: 256
    .name:           _ZN12_GLOBAL__N_127rocblas_gemm_batched_kernelIDF16_Li16ELi16ELi32ELi32ELi8ELi32ELi8ELi8ELi32ELc84ELc67EKDF16_S1_DF16_EEvlllT_PT11_llS4_llS2_PT12_llPT13_lli
    .private_segment_fixed_size: 0
    .sgpr_count:     24
    .sgpr_spill_count: 0
    .symbol:         _ZN12_GLOBAL__N_127rocblas_gemm_batched_kernelIDF16_Li16ELi16ELi32ELi32ELi8ELi32ELi8ELi8ELi32ELc84ELc67EKDF16_S1_DF16_EEvlllT_PT11_llS4_llS2_PT12_llPT13_lli.kd
    .uniform_work_group_size: 1
    .uses_dynamic_stack: false
    .vgpr_count:     28
    .vgpr_spill_count: 0
    .wavefront_size: 32
    .workgroup_processor_mode: 1
  - .args:
      - .offset:         0
        .size:           8
        .value_kind:     by_value
      - .offset:         8
        .size:           8
        .value_kind:     by_value
      - .offset:         16
        .size:           8
        .value_kind:     by_value
      - .offset:         24
        .size:           2
        .value_kind:     by_value
      - .address_space:  global
        .offset:         32
        .size:           8
        .value_kind:     global_buffer
      - .offset:         40
        .size:           8
        .value_kind:     by_value
      - .offset:         48
        .size:           8
        .value_kind:     by_value
      - .address_space:  global
        .offset:         56
        .size:           8
        .value_kind:     global_buffer
      - .offset:         64
        .size:           8
        .value_kind:     by_value
      - .offset:         72
        .size:           8
        .value_kind:     by_value
      - .offset:         80
        .size:           2
        .value_kind:     by_value
      - .address_space:  global
        .offset:         88
        .size:           8
        .value_kind:     global_buffer
      - .offset:         96
        .size:           8
        .value_kind:     by_value
      - .offset:         104
        .size:           8
        .value_kind:     by_value
      - .address_space:  global
        .offset:         112
        .size:           8
        .value_kind:     global_buffer
      - .offset:         120
        .size:           8
        .value_kind:     by_value
      - .offset:         128
        .size:           8
        .value_kind:     by_value
      - .offset:         136
        .size:           4
        .value_kind:     by_value
    .group_segment_fixed_size: 1024
    .kernarg_segment_align: 8
    .kernarg_segment_size: 140
    .language:       OpenCL C
    .language_version:
      - 2
      - 0
    .max_flat_workgroup_size: 256
    .name:           _ZN12_GLOBAL__N_135rocblas_gemm_batched_general_kernelIDF16_Li16ELi16ELi32ELi32ELi8ELi32ELi8ELi8ELi32ELc78ELc78EKDF16_S1_DF16_EEvlllT_PT11_llS4_llS2_PT12_llPT13_lli
    .private_segment_fixed_size: 0
    .sgpr_count:     32
    .sgpr_spill_count: 0
    .symbol:         _ZN12_GLOBAL__N_135rocblas_gemm_batched_general_kernelIDF16_Li16ELi16ELi32ELi32ELi8ELi32ELi8ELi8ELi32ELc78ELc78EKDF16_S1_DF16_EEvlllT_PT11_llS4_llS2_PT12_llPT13_lli.kd
    .uniform_work_group_size: 1
    .uses_dynamic_stack: false
    .vgpr_count:     30
    .vgpr_spill_count: 0
    .wavefront_size: 32
    .workgroup_processor_mode: 1
  - .args:
      - .offset:         0
        .size:           8
        .value_kind:     by_value
      - .offset:         8
        .size:           8
        .value_kind:     by_value
      - .offset:         16
        .size:           8
        .value_kind:     by_value
      - .offset:         24
        .size:           2
        .value_kind:     by_value
      - .address_space:  global
        .offset:         32
        .size:           8
        .value_kind:     global_buffer
      - .offset:         40
        .size:           8
        .value_kind:     by_value
      - .offset:         48
        .size:           8
        .value_kind:     by_value
      - .address_space:  global
        .offset:         56
        .size:           8
        .value_kind:     global_buffer
      - .offset:         64
        .size:           8
        .value_kind:     by_value
      - .offset:         72
        .size:           8
        .value_kind:     by_value
      - .offset:         80
        .size:           2
        .value_kind:     by_value
      - .address_space:  global
        .offset:         88
        .size:           8
        .value_kind:     global_buffer
      - .offset:         96
        .size:           8
        .value_kind:     by_value
      - .offset:         104
        .size:           8
        .value_kind:     by_value
      - .address_space:  global
        .offset:         112
        .size:           8
        .value_kind:     global_buffer
      - .offset:         120
        .size:           8
        .value_kind:     by_value
      - .offset:         128
        .size:           8
        .value_kind:     by_value
      - .offset:         136
        .size:           4
        .value_kind:     by_value
    .group_segment_fixed_size: 1024
    .kernarg_segment_align: 8
    .kernarg_segment_size: 140
    .language:       OpenCL C
    .language_version:
      - 2
      - 0
    .max_flat_workgroup_size: 256
    .name:           _ZN12_GLOBAL__N_135rocblas_gemm_batched_general_kernelIDF16_Li16ELi16ELi32ELi32ELi8ELi32ELi8ELi8ELi32ELc84ELc78EKDF16_S1_DF16_EEvlllT_PT11_llS4_llS2_PT12_llPT13_lli
    .private_segment_fixed_size: 0
    .sgpr_count:     30
    .sgpr_spill_count: 0
    .symbol:         _ZN12_GLOBAL__N_135rocblas_gemm_batched_general_kernelIDF16_Li16ELi16ELi32ELi32ELi8ELi32ELi8ELi8ELi32ELc84ELc78EKDF16_S1_DF16_EEvlllT_PT11_llS4_llS2_PT12_llPT13_lli.kd
    .uniform_work_group_size: 1
    .uses_dynamic_stack: false
    .vgpr_count:     30
    .vgpr_spill_count: 0
    .wavefront_size: 32
    .workgroup_processor_mode: 1
  - .args:
      - .offset:         0
        .size:           8
        .value_kind:     by_value
      - .offset:         8
        .size:           8
        .value_kind:     by_value
      - .offset:         16
        .size:           8
        .value_kind:     by_value
      - .offset:         24
        .size:           2
        .value_kind:     by_value
      - .address_space:  global
        .offset:         32
        .size:           8
        .value_kind:     global_buffer
      - .offset:         40
        .size:           8
        .value_kind:     by_value
      - .offset:         48
        .size:           8
        .value_kind:     by_value
      - .address_space:  global
        .offset:         56
        .size:           8
        .value_kind:     global_buffer
      - .offset:         64
        .size:           8
        .value_kind:     by_value
      - .offset:         72
        .size:           8
        .value_kind:     by_value
      - .offset:         80
        .size:           2
        .value_kind:     by_value
      - .address_space:  global
        .offset:         88
        .size:           8
        .value_kind:     global_buffer
      - .offset:         96
        .size:           8
        .value_kind:     by_value
      - .offset:         104
        .size:           8
        .value_kind:     by_value
      - .address_space:  global
        .offset:         112
        .size:           8
        .value_kind:     global_buffer
      - .offset:         120
        .size:           8
        .value_kind:     by_value
      - .offset:         128
        .size:           8
        .value_kind:     by_value
      - .offset:         136
        .size:           4
        .value_kind:     by_value
    .group_segment_fixed_size: 1024
    .kernarg_segment_align: 8
    .kernarg_segment_size: 140
    .language:       OpenCL C
    .language_version:
      - 2
      - 0
    .max_flat_workgroup_size: 256
    .name:           _ZN12_GLOBAL__N_135rocblas_gemm_batched_general_kernelIDF16_Li16ELi16ELi32ELi32ELi8ELi32ELi8ELi8ELi32ELc78ELc84EKDF16_S1_DF16_EEvlllT_PT11_llS4_llS2_PT12_llPT13_lli
    .private_segment_fixed_size: 0
    .sgpr_count:     36
    .sgpr_spill_count: 0
    .symbol:         _ZN12_GLOBAL__N_135rocblas_gemm_batched_general_kernelIDF16_Li16ELi16ELi32ELi32ELi8ELi32ELi8ELi8ELi32ELc78ELc84EKDF16_S1_DF16_EEvlllT_PT11_llS4_llS2_PT12_llPT13_lli.kd
    .uniform_work_group_size: 1
    .uses_dynamic_stack: false
    .vgpr_count:     30
    .vgpr_spill_count: 0
    .wavefront_size: 32
    .workgroup_processor_mode: 1
  - .args:
      - .offset:         0
        .size:           8
        .value_kind:     by_value
      - .offset:         8
        .size:           8
        .value_kind:     by_value
      - .offset:         16
        .size:           8
        .value_kind:     by_value
      - .offset:         24
        .size:           2
        .value_kind:     by_value
      - .address_space:  global
        .offset:         32
        .size:           8
        .value_kind:     global_buffer
      - .offset:         40
        .size:           8
        .value_kind:     by_value
      - .offset:         48
        .size:           8
        .value_kind:     by_value
      - .address_space:  global
        .offset:         56
        .size:           8
        .value_kind:     global_buffer
      - .offset:         64
        .size:           8
        .value_kind:     by_value
      - .offset:         72
        .size:           8
        .value_kind:     by_value
      - .offset:         80
        .size:           2
        .value_kind:     by_value
      - .address_space:  global
        .offset:         88
        .size:           8
        .value_kind:     global_buffer
      - .offset:         96
        .size:           8
        .value_kind:     by_value
      - .offset:         104
        .size:           8
        .value_kind:     by_value
      - .address_space:  global
        .offset:         112
        .size:           8
        .value_kind:     global_buffer
      - .offset:         120
        .size:           8
        .value_kind:     by_value
      - .offset:         128
        .size:           8
        .value_kind:     by_value
      - .offset:         136
        .size:           4
        .value_kind:     by_value
    .group_segment_fixed_size: 1024
    .kernarg_segment_align: 8
    .kernarg_segment_size: 140
    .language:       OpenCL C
    .language_version:
      - 2
      - 0
    .max_flat_workgroup_size: 256
    .name:           _ZN12_GLOBAL__N_135rocblas_gemm_batched_general_kernelIDF16_Li16ELi16ELi32ELi32ELi8ELi32ELi8ELi8ELi32ELc84ELc84EKDF16_S1_DF16_EEvlllT_PT11_llS4_llS2_PT12_llPT13_lli
    .private_segment_fixed_size: 0
    .sgpr_count:     32
    .sgpr_spill_count: 0
    .symbol:         _ZN12_GLOBAL__N_135rocblas_gemm_batched_general_kernelIDF16_Li16ELi16ELi32ELi32ELi8ELi32ELi8ELi8ELi32ELc84ELc84EKDF16_S1_DF16_EEvlllT_PT11_llS4_llS2_PT12_llPT13_lli.kd
    .uniform_work_group_size: 1
    .uses_dynamic_stack: false
    .vgpr_count:     30
    .vgpr_spill_count: 0
    .wavefront_size: 32
    .workgroup_processor_mode: 1
  - .args:
      - .offset:         0
        .size:           8
        .value_kind:     by_value
      - .offset:         8
        .size:           8
        .value_kind:     by_value
      - .offset:         16
        .size:           8
        .value_kind:     by_value
      - .offset:         24
        .size:           2
        .value_kind:     by_value
      - .address_space:  global
        .offset:         32
        .size:           8
        .value_kind:     global_buffer
      - .offset:         40
        .size:           8
        .value_kind:     by_value
      - .offset:         48
        .size:           8
        .value_kind:     by_value
      - .address_space:  global
        .offset:         56
        .size:           8
        .value_kind:     global_buffer
      - .offset:         64
        .size:           8
        .value_kind:     by_value
      - .offset:         72
        .size:           8
        .value_kind:     by_value
      - .offset:         80
        .size:           2
        .value_kind:     by_value
      - .address_space:  global
        .offset:         88
        .size:           8
        .value_kind:     global_buffer
      - .offset:         96
        .size:           8
        .value_kind:     by_value
      - .offset:         104
        .size:           8
        .value_kind:     by_value
      - .address_space:  global
        .offset:         112
        .size:           8
        .value_kind:     global_buffer
      - .offset:         120
        .size:           8
        .value_kind:     by_value
      - .offset:         128
        .size:           8
        .value_kind:     by_value
      - .offset:         136
        .size:           4
        .value_kind:     by_value
    .group_segment_fixed_size: 1024
    .kernarg_segment_align: 8
    .kernarg_segment_size: 140
    .language:       OpenCL C
    .language_version:
      - 2
      - 0
    .max_flat_workgroup_size: 256
    .name:           _ZN12_GLOBAL__N_135rocblas_gemm_batched_general_kernelIDF16_Li16ELi16ELi32ELi32ELi8ELi32ELi8ELi8ELi32ELc67ELc67EKDF16_S1_DF16_EEvlllT_PT11_llS4_llS2_PT12_llPT13_lli
    .private_segment_fixed_size: 0
    .sgpr_count:     32
    .sgpr_spill_count: 0
    .symbol:         _ZN12_GLOBAL__N_135rocblas_gemm_batched_general_kernelIDF16_Li16ELi16ELi32ELi32ELi8ELi32ELi8ELi8ELi32ELc67ELc67EKDF16_S1_DF16_EEvlllT_PT11_llS4_llS2_PT12_llPT13_lli.kd
    .uniform_work_group_size: 1
    .uses_dynamic_stack: false
    .vgpr_count:     30
    .vgpr_spill_count: 0
    .wavefront_size: 32
    .workgroup_processor_mode: 1
  - .args:
      - .offset:         0
        .size:           8
        .value_kind:     by_value
      - .offset:         8
        .size:           8
        .value_kind:     by_value
      - .offset:         16
        .size:           8
        .value_kind:     by_value
      - .offset:         24
        .size:           2
        .value_kind:     by_value
      - .address_space:  global
        .offset:         32
        .size:           8
        .value_kind:     global_buffer
      - .offset:         40
        .size:           8
        .value_kind:     by_value
      - .offset:         48
        .size:           8
        .value_kind:     by_value
      - .address_space:  global
        .offset:         56
        .size:           8
        .value_kind:     global_buffer
      - .offset:         64
        .size:           8
        .value_kind:     by_value
      - .offset:         72
        .size:           8
        .value_kind:     by_value
      - .offset:         80
        .size:           2
        .value_kind:     by_value
      - .address_space:  global
        .offset:         88
        .size:           8
        .value_kind:     global_buffer
      - .offset:         96
        .size:           8
        .value_kind:     by_value
      - .offset:         104
        .size:           8
        .value_kind:     by_value
      - .address_space:  global
        .offset:         112
        .size:           8
        .value_kind:     global_buffer
      - .offset:         120
        .size:           8
        .value_kind:     by_value
      - .offset:         128
        .size:           8
        .value_kind:     by_value
      - .offset:         136
        .size:           4
        .value_kind:     by_value
    .group_segment_fixed_size: 1024
    .kernarg_segment_align: 8
    .kernarg_segment_size: 140
    .language:       OpenCL C
    .language_version:
      - 2
      - 0
    .max_flat_workgroup_size: 256
    .name:           _ZN12_GLOBAL__N_135rocblas_gemm_batched_general_kernelIDF16_Li16ELi16ELi32ELi32ELi8ELi32ELi8ELi8ELi32ELc67ELc78EKDF16_S1_DF16_EEvlllT_PT11_llS4_llS2_PT12_llPT13_lli
    .private_segment_fixed_size: 0
    .sgpr_count:     30
    .sgpr_spill_count: 0
    .symbol:         _ZN12_GLOBAL__N_135rocblas_gemm_batched_general_kernelIDF16_Li16ELi16ELi32ELi32ELi8ELi32ELi8ELi8ELi32ELc67ELc78EKDF16_S1_DF16_EEvlllT_PT11_llS4_llS2_PT12_llPT13_lli.kd
    .uniform_work_group_size: 1
    .uses_dynamic_stack: false
    .vgpr_count:     30
    .vgpr_spill_count: 0
    .wavefront_size: 32
    .workgroup_processor_mode: 1
  - .args:
      - .offset:         0
        .size:           8
        .value_kind:     by_value
      - .offset:         8
        .size:           8
        .value_kind:     by_value
      - .offset:         16
        .size:           8
        .value_kind:     by_value
      - .offset:         24
        .size:           2
        .value_kind:     by_value
      - .address_space:  global
        .offset:         32
        .size:           8
        .value_kind:     global_buffer
      - .offset:         40
        .size:           8
        .value_kind:     by_value
      - .offset:         48
        .size:           8
        .value_kind:     by_value
      - .address_space:  global
        .offset:         56
        .size:           8
        .value_kind:     global_buffer
      - .offset:         64
        .size:           8
        .value_kind:     by_value
      - .offset:         72
        .size:           8
        .value_kind:     by_value
      - .offset:         80
        .size:           2
        .value_kind:     by_value
      - .address_space:  global
        .offset:         88
        .size:           8
        .value_kind:     global_buffer
      - .offset:         96
        .size:           8
        .value_kind:     by_value
      - .offset:         104
        .size:           8
        .value_kind:     by_value
      - .address_space:  global
        .offset:         112
        .size:           8
        .value_kind:     global_buffer
      - .offset:         120
        .size:           8
        .value_kind:     by_value
      - .offset:         128
        .size:           8
        .value_kind:     by_value
      - .offset:         136
        .size:           4
        .value_kind:     by_value
    .group_segment_fixed_size: 1024
    .kernarg_segment_align: 8
    .kernarg_segment_size: 140
    .language:       OpenCL C
    .language_version:
      - 2
      - 0
    .max_flat_workgroup_size: 256
    .name:           _ZN12_GLOBAL__N_135rocblas_gemm_batched_general_kernelIDF16_Li16ELi16ELi32ELi32ELi8ELi32ELi8ELi8ELi32ELc67ELc84EKDF16_S1_DF16_EEvlllT_PT11_llS4_llS2_PT12_llPT13_lli
    .private_segment_fixed_size: 0
    .sgpr_count:     32
    .sgpr_spill_count: 0
    .symbol:         _ZN12_GLOBAL__N_135rocblas_gemm_batched_general_kernelIDF16_Li16ELi16ELi32ELi32ELi8ELi32ELi8ELi8ELi32ELc67ELc84EKDF16_S1_DF16_EEvlllT_PT11_llS4_llS2_PT12_llPT13_lli.kd
    .uniform_work_group_size: 1
    .uses_dynamic_stack: false
    .vgpr_count:     30
    .vgpr_spill_count: 0
    .wavefront_size: 32
    .workgroup_processor_mode: 1
  - .args:
      - .offset:         0
        .size:           8
        .value_kind:     by_value
      - .offset:         8
        .size:           8
        .value_kind:     by_value
      - .offset:         16
        .size:           8
        .value_kind:     by_value
      - .offset:         24
        .size:           2
        .value_kind:     by_value
      - .address_space:  global
        .offset:         32
        .size:           8
        .value_kind:     global_buffer
      - .offset:         40
        .size:           8
        .value_kind:     by_value
      - .offset:         48
        .size:           8
        .value_kind:     by_value
      - .address_space:  global
        .offset:         56
        .size:           8
        .value_kind:     global_buffer
      - .offset:         64
        .size:           8
        .value_kind:     by_value
      - .offset:         72
        .size:           8
        .value_kind:     by_value
      - .offset:         80
        .size:           2
        .value_kind:     by_value
      - .address_space:  global
        .offset:         88
        .size:           8
        .value_kind:     global_buffer
      - .offset:         96
        .size:           8
        .value_kind:     by_value
      - .offset:         104
        .size:           8
        .value_kind:     by_value
      - .address_space:  global
        .offset:         112
        .size:           8
        .value_kind:     global_buffer
      - .offset:         120
        .size:           8
        .value_kind:     by_value
      - .offset:         128
        .size:           8
        .value_kind:     by_value
      - .offset:         136
        .size:           4
        .value_kind:     by_value
    .group_segment_fixed_size: 1024
    .kernarg_segment_align: 8
    .kernarg_segment_size: 140
    .language:       OpenCL C
    .language_version:
      - 2
      - 0
    .max_flat_workgroup_size: 256
    .name:           _ZN12_GLOBAL__N_135rocblas_gemm_batched_general_kernelIDF16_Li16ELi16ELi32ELi32ELi8ELi32ELi8ELi8ELi32ELc78ELc67EKDF16_S1_DF16_EEvlllT_PT11_llS4_llS2_PT12_llPT13_lli
    .private_segment_fixed_size: 0
    .sgpr_count:     36
    .sgpr_spill_count: 0
    .symbol:         _ZN12_GLOBAL__N_135rocblas_gemm_batched_general_kernelIDF16_Li16ELi16ELi32ELi32ELi8ELi32ELi8ELi8ELi32ELc78ELc67EKDF16_S1_DF16_EEvlllT_PT11_llS4_llS2_PT12_llPT13_lli.kd
    .uniform_work_group_size: 1
    .uses_dynamic_stack: false
    .vgpr_count:     30
    .vgpr_spill_count: 0
    .wavefront_size: 32
    .workgroup_processor_mode: 1
  - .args:
      - .offset:         0
        .size:           8
        .value_kind:     by_value
      - .offset:         8
        .size:           8
        .value_kind:     by_value
      - .offset:         16
        .size:           8
        .value_kind:     by_value
      - .offset:         24
        .size:           2
        .value_kind:     by_value
      - .address_space:  global
        .offset:         32
        .size:           8
        .value_kind:     global_buffer
      - .offset:         40
        .size:           8
        .value_kind:     by_value
      - .offset:         48
        .size:           8
        .value_kind:     by_value
      - .address_space:  global
        .offset:         56
        .size:           8
        .value_kind:     global_buffer
      - .offset:         64
        .size:           8
        .value_kind:     by_value
      - .offset:         72
        .size:           8
        .value_kind:     by_value
      - .offset:         80
        .size:           2
        .value_kind:     by_value
      - .address_space:  global
        .offset:         88
        .size:           8
        .value_kind:     global_buffer
      - .offset:         96
        .size:           8
        .value_kind:     by_value
      - .offset:         104
        .size:           8
        .value_kind:     by_value
      - .address_space:  global
        .offset:         112
        .size:           8
        .value_kind:     global_buffer
      - .offset:         120
        .size:           8
        .value_kind:     by_value
      - .offset:         128
        .size:           8
        .value_kind:     by_value
      - .offset:         136
        .size:           4
        .value_kind:     by_value
    .group_segment_fixed_size: 1024
    .kernarg_segment_align: 8
    .kernarg_segment_size: 140
    .language:       OpenCL C
    .language_version:
      - 2
      - 0
    .max_flat_workgroup_size: 256
    .name:           _ZN12_GLOBAL__N_135rocblas_gemm_batched_general_kernelIDF16_Li16ELi16ELi32ELi32ELi8ELi32ELi8ELi8ELi32ELc84ELc67EKDF16_S1_DF16_EEvlllT_PT11_llS4_llS2_PT12_llPT13_lli
    .private_segment_fixed_size: 0
    .sgpr_count:     32
    .sgpr_spill_count: 0
    .symbol:         _ZN12_GLOBAL__N_135rocblas_gemm_batched_general_kernelIDF16_Li16ELi16ELi32ELi32ELi8ELi32ELi8ELi8ELi32ELc84ELc67EKDF16_S1_DF16_EEvlllT_PT11_llS4_llS2_PT12_llPT13_lli.kd
    .uniform_work_group_size: 1
    .uses_dynamic_stack: false
    .vgpr_count:     30
    .vgpr_spill_count: 0
    .wavefront_size: 32
    .workgroup_processor_mode: 1
  - .args:
      - .offset:         0
        .size:           4
        .value_kind:     by_value
      - .offset:         4
        .size:           4
        .value_kind:     by_value
      - .offset:         8
        .size:           4
        .value_kind:     by_value
      - .address_space:  global
        .offset:         16
        .size:           8
        .value_kind:     global_buffer
      - .offset:         24
        .size:           8
        .value_kind:     by_value
      - .offset:         32
        .size:           8
        .value_kind:     by_value
      - .offset:         40
        .size:           8
        .value_kind:     by_value
      - .offset:         48
        .size:           4
        .value_kind:     by_value
    .group_segment_fixed_size: 0
    .kernarg_segment_align: 8
    .kernarg_segment_size: 52
    .language:       OpenCL C
    .language_version:
      - 2
      - 0
    .max_flat_workgroup_size: 1024
    .name:           _ZN12_GLOBAL__N_125rocblas_gemm_scale_kernelILi32ELi32EfPfEEviiT1_T2_llli
    .private_segment_fixed_size: 0
    .sgpr_count:     22
    .sgpr_spill_count: 0
    .symbol:         _ZN12_GLOBAL__N_125rocblas_gemm_scale_kernelILi32ELi32EfPfEEviiT1_T2_llli.kd
    .uniform_work_group_size: 1
    .uses_dynamic_stack: false
    .vgpr_count:     6
    .vgpr_spill_count: 0
    .wavefront_size: 32
    .workgroup_processor_mode: 1
  - .args:
      - .offset:         0
        .size:           4
        .value_kind:     by_value
      - .offset:         4
        .size:           4
        .value_kind:     by_value
      - .offset:         8
        .size:           4
        .value_kind:     by_value
      - .address_space:  global
        .offset:         16
        .size:           8
        .value_kind:     global_buffer
      - .offset:         24
        .size:           8
        .value_kind:     by_value
      - .offset:         32
        .size:           8
        .value_kind:     by_value
      - .offset:         40
        .size:           8
        .value_kind:     by_value
      - .address_space:  global
        .offset:         48
        .size:           8
        .value_kind:     global_buffer
      - .offset:         56
        .size:           8
        .value_kind:     by_value
      - .offset:         64
        .size:           8
        .value_kind:     by_value
      - .offset:         72
        .size:           8
        .value_kind:     by_value
      - .offset:         80
        .size:           4
        .value_kind:     by_value
    .group_segment_fixed_size: 0
    .kernarg_segment_align: 8
    .kernarg_segment_size: 84
    .language:       OpenCL C
    .language_version:
      - 2
      - 0
    .max_flat_workgroup_size: 1024
    .name:           _ZN12_GLOBAL__N_120gemm_ex_scale_kernelILi32ELi32EfPKfPfEEviiT1_T2_lllT3_llli
    .private_segment_fixed_size: 0
    .sgpr_count:     30
    .sgpr_spill_count: 0
    .symbol:         _ZN12_GLOBAL__N_120gemm_ex_scale_kernelILi32ELi32EfPKfPfEEviiT1_T2_lllT3_llli.kd
    .uniform_work_group_size: 1
    .uses_dynamic_stack: false
    .vgpr_count:     8
    .vgpr_spill_count: 0
    .wavefront_size: 32
    .workgroup_processor_mode: 1
  - .args:
      - .offset:         0
        .size:           8
        .value_kind:     by_value
      - .offset:         8
        .size:           8
        .value_kind:     by_value
      - .offset:         16
        .size:           8
        .value_kind:     by_value
      - .offset:         24
        .size:           4
        .value_kind:     by_value
      - .address_space:  global
        .offset:         32
        .size:           8
        .value_kind:     global_buffer
      - .offset:         40
        .size:           8
        .value_kind:     by_value
      - .offset:         48
        .size:           8
        .value_kind:     by_value
      - .address_space:  global
        .offset:         56
        .size:           8
        .value_kind:     global_buffer
      - .offset:         64
        .size:           8
        .value_kind:     by_value
      - .offset:         72
        .size:           8
        .value_kind:     by_value
      - .offset:         80
        .size:           4
        .value_kind:     by_value
      - .address_space:  global
        .offset:         88
        .size:           8
        .value_kind:     global_buffer
      - .offset:         96
        .size:           8
        .value_kind:     by_value
      - .offset:         104
        .size:           8
        .value_kind:     by_value
      - .address_space:  global
        .offset:         112
        .size:           8
        .value_kind:     global_buffer
      - .offset:         120
        .size:           8
        .value_kind:     by_value
      - .offset:         128
        .size:           8
        .value_kind:     by_value
      - .offset:         136
        .size:           4
        .value_kind:     by_value
    .group_segment_fixed_size: 2048
    .kernarg_segment_align: 8
    .kernarg_segment_size: 140
    .language:       OpenCL C
    .language_version:
      - 2
      - 0
    .max_flat_workgroup_size: 256
    .name:           _ZN12_GLOBAL__N_127rocblas_gemm_batched_kernelIfLi16ELi16ELi64ELi64ELi4ELi64ELi4ELi4ELi64ELc78ELc78EKfS1_fEEvlllT_PT11_llS4_llS2_PT12_llPT13_lli
    .private_segment_fixed_size: 0
    .sgpr_count:     24
    .sgpr_spill_count: 0
    .symbol:         _ZN12_GLOBAL__N_127rocblas_gemm_batched_kernelIfLi16ELi16ELi64ELi64ELi4ELi64ELi4ELi4ELi64ELc78ELc78EKfS1_fEEvlllT_PT11_llS4_llS2_PT12_llPT13_lli.kd
    .uniform_work_group_size: 1
    .uses_dynamic_stack: false
    .vgpr_count:     58
    .vgpr_spill_count: 0
    .wavefront_size: 32
    .workgroup_processor_mode: 1
  - .args:
      - .offset:         0
        .size:           8
        .value_kind:     by_value
      - .offset:         8
        .size:           8
        .value_kind:     by_value
      - .offset:         16
        .size:           8
        .value_kind:     by_value
      - .offset:         24
        .size:           4
        .value_kind:     by_value
      - .address_space:  global
        .offset:         32
        .size:           8
        .value_kind:     global_buffer
      - .offset:         40
        .size:           8
        .value_kind:     by_value
      - .offset:         48
        .size:           8
        .value_kind:     by_value
      - .address_space:  global
        .offset:         56
        .size:           8
        .value_kind:     global_buffer
      - .offset:         64
        .size:           8
        .value_kind:     by_value
      - .offset:         72
        .size:           8
        .value_kind:     by_value
      - .offset:         80
        .size:           4
        .value_kind:     by_value
      - .address_space:  global
        .offset:         88
        .size:           8
        .value_kind:     global_buffer
      - .offset:         96
        .size:           8
        .value_kind:     by_value
      - .offset:         104
        .size:           8
        .value_kind:     by_value
      - .address_space:  global
        .offset:         112
        .size:           8
        .value_kind:     global_buffer
      - .offset:         120
        .size:           8
        .value_kind:     by_value
      - .offset:         128
        .size:           8
        .value_kind:     by_value
      - .offset:         136
        .size:           4
        .value_kind:     by_value
    .group_segment_fixed_size: 2048
    .kernarg_segment_align: 8
    .kernarg_segment_size: 140
    .language:       OpenCL C
    .language_version:
      - 2
      - 0
    .max_flat_workgroup_size: 256
    .name:           _ZN12_GLOBAL__N_127rocblas_gemm_batched_kernelIfLi16ELi16ELi64ELi64ELi4ELi64ELi4ELi4ELi64ELc84ELc78EKfS1_fEEvlllT_PT11_llS4_llS2_PT12_llPT13_lli
    .private_segment_fixed_size: 0
    .sgpr_count:     24
    .sgpr_spill_count: 0
    .symbol:         _ZN12_GLOBAL__N_127rocblas_gemm_batched_kernelIfLi16ELi16ELi64ELi64ELi4ELi64ELi4ELi4ELi64ELc84ELc78EKfS1_fEEvlllT_PT11_llS4_llS2_PT12_llPT13_lli.kd
    .uniform_work_group_size: 1
    .uses_dynamic_stack: false
    .vgpr_count:     58
    .vgpr_spill_count: 0
    .wavefront_size: 32
    .workgroup_processor_mode: 1
  - .args:
      - .offset:         0
        .size:           8
        .value_kind:     by_value
      - .offset:         8
        .size:           8
        .value_kind:     by_value
      - .offset:         16
        .size:           8
        .value_kind:     by_value
      - .offset:         24
        .size:           4
        .value_kind:     by_value
      - .address_space:  global
        .offset:         32
        .size:           8
        .value_kind:     global_buffer
      - .offset:         40
        .size:           8
        .value_kind:     by_value
      - .offset:         48
        .size:           8
        .value_kind:     by_value
      - .address_space:  global
        .offset:         56
        .size:           8
        .value_kind:     global_buffer
      - .offset:         64
        .size:           8
        .value_kind:     by_value
      - .offset:         72
        .size:           8
        .value_kind:     by_value
      - .offset:         80
        .size:           4
        .value_kind:     by_value
      - .address_space:  global
        .offset:         88
        .size:           8
        .value_kind:     global_buffer
      - .offset:         96
        .size:           8
        .value_kind:     by_value
      - .offset:         104
        .size:           8
        .value_kind:     by_value
      - .address_space:  global
        .offset:         112
        .size:           8
        .value_kind:     global_buffer
      - .offset:         120
        .size:           8
        .value_kind:     by_value
      - .offset:         128
        .size:           8
        .value_kind:     by_value
      - .offset:         136
        .size:           4
        .value_kind:     by_value
    .group_segment_fixed_size: 2048
    .kernarg_segment_align: 8
    .kernarg_segment_size: 140
    .language:       OpenCL C
    .language_version:
      - 2
      - 0
    .max_flat_workgroup_size: 256
    .name:           _ZN12_GLOBAL__N_127rocblas_gemm_batched_kernelIfLi16ELi16ELi64ELi64ELi4ELi64ELi4ELi4ELi64ELc78ELc84EKfS1_fEEvlllT_PT11_llS4_llS2_PT12_llPT13_lli
    .private_segment_fixed_size: 0
    .sgpr_count:     25
    .sgpr_spill_count: 0
    .symbol:         _ZN12_GLOBAL__N_127rocblas_gemm_batched_kernelIfLi16ELi16ELi64ELi64ELi4ELi64ELi4ELi4ELi64ELc78ELc84EKfS1_fEEvlllT_PT11_llS4_llS2_PT12_llPT13_lli.kd
    .uniform_work_group_size: 1
    .uses_dynamic_stack: false
    .vgpr_count:     58
    .vgpr_spill_count: 0
    .wavefront_size: 32
    .workgroup_processor_mode: 1
  - .args:
      - .offset:         0
        .size:           8
        .value_kind:     by_value
      - .offset:         8
        .size:           8
        .value_kind:     by_value
      - .offset:         16
        .size:           8
        .value_kind:     by_value
      - .offset:         24
        .size:           4
        .value_kind:     by_value
      - .address_space:  global
        .offset:         32
        .size:           8
        .value_kind:     global_buffer
      - .offset:         40
        .size:           8
        .value_kind:     by_value
      - .offset:         48
        .size:           8
        .value_kind:     by_value
      - .address_space:  global
        .offset:         56
        .size:           8
        .value_kind:     global_buffer
      - .offset:         64
        .size:           8
        .value_kind:     by_value
      - .offset:         72
        .size:           8
        .value_kind:     by_value
      - .offset:         80
        .size:           4
        .value_kind:     by_value
      - .address_space:  global
        .offset:         88
        .size:           8
        .value_kind:     global_buffer
      - .offset:         96
        .size:           8
        .value_kind:     by_value
      - .offset:         104
        .size:           8
        .value_kind:     by_value
      - .address_space:  global
        .offset:         112
        .size:           8
        .value_kind:     global_buffer
      - .offset:         120
        .size:           8
        .value_kind:     by_value
      - .offset:         128
        .size:           8
        .value_kind:     by_value
      - .offset:         136
        .size:           4
        .value_kind:     by_value
    .group_segment_fixed_size: 2048
    .kernarg_segment_align: 8
    .kernarg_segment_size: 140
    .language:       OpenCL C
    .language_version:
      - 2
      - 0
    .max_flat_workgroup_size: 256
    .name:           _ZN12_GLOBAL__N_127rocblas_gemm_batched_kernelIfLi16ELi16ELi64ELi64ELi4ELi64ELi4ELi4ELi64ELc84ELc84EKfS1_fEEvlllT_PT11_llS4_llS2_PT12_llPT13_lli
    .private_segment_fixed_size: 0
    .sgpr_count:     24
    .sgpr_spill_count: 0
    .symbol:         _ZN12_GLOBAL__N_127rocblas_gemm_batched_kernelIfLi16ELi16ELi64ELi64ELi4ELi64ELi4ELi4ELi64ELc84ELc84EKfS1_fEEvlllT_PT11_llS4_llS2_PT12_llPT13_lli.kd
    .uniform_work_group_size: 1
    .uses_dynamic_stack: false
    .vgpr_count:     58
    .vgpr_spill_count: 0
    .wavefront_size: 32
    .workgroup_processor_mode: 1
  - .args:
      - .offset:         0
        .size:           8
        .value_kind:     by_value
      - .offset:         8
        .size:           8
        .value_kind:     by_value
      - .offset:         16
        .size:           8
        .value_kind:     by_value
      - .offset:         24
        .size:           4
        .value_kind:     by_value
      - .address_space:  global
        .offset:         32
        .size:           8
        .value_kind:     global_buffer
      - .offset:         40
        .size:           8
        .value_kind:     by_value
      - .offset:         48
        .size:           8
        .value_kind:     by_value
      - .address_space:  global
        .offset:         56
        .size:           8
        .value_kind:     global_buffer
      - .offset:         64
        .size:           8
        .value_kind:     by_value
      - .offset:         72
        .size:           8
        .value_kind:     by_value
      - .offset:         80
        .size:           4
        .value_kind:     by_value
      - .address_space:  global
        .offset:         88
        .size:           8
        .value_kind:     global_buffer
      - .offset:         96
        .size:           8
        .value_kind:     by_value
      - .offset:         104
        .size:           8
        .value_kind:     by_value
      - .address_space:  global
        .offset:         112
        .size:           8
        .value_kind:     global_buffer
      - .offset:         120
        .size:           8
        .value_kind:     by_value
      - .offset:         128
        .size:           8
        .value_kind:     by_value
      - .offset:         136
        .size:           4
        .value_kind:     by_value
    .group_segment_fixed_size: 2048
    .kernarg_segment_align: 8
    .kernarg_segment_size: 140
    .language:       OpenCL C
    .language_version:
      - 2
      - 0
    .max_flat_workgroup_size: 256
    .name:           _ZN12_GLOBAL__N_127rocblas_gemm_batched_kernelIfLi16ELi16ELi64ELi64ELi4ELi64ELi4ELi4ELi64ELc67ELc67EKfS1_fEEvlllT_PT11_llS4_llS2_PT12_llPT13_lli
    .private_segment_fixed_size: 0
    .sgpr_count:     24
    .sgpr_spill_count: 0
    .symbol:         _ZN12_GLOBAL__N_127rocblas_gemm_batched_kernelIfLi16ELi16ELi64ELi64ELi4ELi64ELi4ELi4ELi64ELc67ELc67EKfS1_fEEvlllT_PT11_llS4_llS2_PT12_llPT13_lli.kd
    .uniform_work_group_size: 1
    .uses_dynamic_stack: false
    .vgpr_count:     58
    .vgpr_spill_count: 0
    .wavefront_size: 32
    .workgroup_processor_mode: 1
  - .args:
      - .offset:         0
        .size:           8
        .value_kind:     by_value
      - .offset:         8
        .size:           8
        .value_kind:     by_value
      - .offset:         16
        .size:           8
        .value_kind:     by_value
      - .offset:         24
        .size:           4
        .value_kind:     by_value
      - .address_space:  global
        .offset:         32
        .size:           8
        .value_kind:     global_buffer
      - .offset:         40
        .size:           8
        .value_kind:     by_value
      - .offset:         48
        .size:           8
        .value_kind:     by_value
      - .address_space:  global
        .offset:         56
        .size:           8
        .value_kind:     global_buffer
      - .offset:         64
        .size:           8
        .value_kind:     by_value
      - .offset:         72
        .size:           8
        .value_kind:     by_value
      - .offset:         80
        .size:           4
        .value_kind:     by_value
      - .address_space:  global
        .offset:         88
        .size:           8
        .value_kind:     global_buffer
      - .offset:         96
        .size:           8
        .value_kind:     by_value
      - .offset:         104
        .size:           8
        .value_kind:     by_value
      - .address_space:  global
        .offset:         112
        .size:           8
        .value_kind:     global_buffer
      - .offset:         120
        .size:           8
        .value_kind:     by_value
      - .offset:         128
        .size:           8
        .value_kind:     by_value
      - .offset:         136
        .size:           4
        .value_kind:     by_value
    .group_segment_fixed_size: 2048
    .kernarg_segment_align: 8
    .kernarg_segment_size: 140
    .language:       OpenCL C
    .language_version:
      - 2
      - 0
    .max_flat_workgroup_size: 256
    .name:           _ZN12_GLOBAL__N_127rocblas_gemm_batched_kernelIfLi16ELi16ELi64ELi64ELi4ELi64ELi4ELi4ELi64ELc67ELc78EKfS1_fEEvlllT_PT11_llS4_llS2_PT12_llPT13_lli
    .private_segment_fixed_size: 0
    .sgpr_count:     24
    .sgpr_spill_count: 0
    .symbol:         _ZN12_GLOBAL__N_127rocblas_gemm_batched_kernelIfLi16ELi16ELi64ELi64ELi4ELi64ELi4ELi4ELi64ELc67ELc78EKfS1_fEEvlllT_PT11_llS4_llS2_PT12_llPT13_lli.kd
    .uniform_work_group_size: 1
    .uses_dynamic_stack: false
    .vgpr_count:     58
    .vgpr_spill_count: 0
    .wavefront_size: 32
    .workgroup_processor_mode: 1
  - .args:
      - .offset:         0
        .size:           8
        .value_kind:     by_value
      - .offset:         8
        .size:           8
        .value_kind:     by_value
      - .offset:         16
        .size:           8
        .value_kind:     by_value
      - .offset:         24
        .size:           4
        .value_kind:     by_value
      - .address_space:  global
        .offset:         32
        .size:           8
        .value_kind:     global_buffer
      - .offset:         40
        .size:           8
        .value_kind:     by_value
      - .offset:         48
        .size:           8
        .value_kind:     by_value
      - .address_space:  global
        .offset:         56
        .size:           8
        .value_kind:     global_buffer
      - .offset:         64
        .size:           8
        .value_kind:     by_value
      - .offset:         72
        .size:           8
        .value_kind:     by_value
      - .offset:         80
        .size:           4
        .value_kind:     by_value
      - .address_space:  global
        .offset:         88
        .size:           8
        .value_kind:     global_buffer
      - .offset:         96
        .size:           8
        .value_kind:     by_value
      - .offset:         104
        .size:           8
        .value_kind:     by_value
      - .address_space:  global
        .offset:         112
        .size:           8
        .value_kind:     global_buffer
      - .offset:         120
        .size:           8
        .value_kind:     by_value
      - .offset:         128
        .size:           8
        .value_kind:     by_value
      - .offset:         136
        .size:           4
        .value_kind:     by_value
    .group_segment_fixed_size: 2048
    .kernarg_segment_align: 8
    .kernarg_segment_size: 140
    .language:       OpenCL C
    .language_version:
      - 2
      - 0
    .max_flat_workgroup_size: 256
    .name:           _ZN12_GLOBAL__N_127rocblas_gemm_batched_kernelIfLi16ELi16ELi64ELi64ELi4ELi64ELi4ELi4ELi64ELc67ELc84EKfS1_fEEvlllT_PT11_llS4_llS2_PT12_llPT13_lli
    .private_segment_fixed_size: 0
    .sgpr_count:     24
    .sgpr_spill_count: 0
    .symbol:         _ZN12_GLOBAL__N_127rocblas_gemm_batched_kernelIfLi16ELi16ELi64ELi64ELi4ELi64ELi4ELi4ELi64ELc67ELc84EKfS1_fEEvlllT_PT11_llS4_llS2_PT12_llPT13_lli.kd
    .uniform_work_group_size: 1
    .uses_dynamic_stack: false
    .vgpr_count:     58
    .vgpr_spill_count: 0
    .wavefront_size: 32
    .workgroup_processor_mode: 1
  - .args:
      - .offset:         0
        .size:           8
        .value_kind:     by_value
      - .offset:         8
        .size:           8
        .value_kind:     by_value
      - .offset:         16
        .size:           8
        .value_kind:     by_value
      - .offset:         24
        .size:           4
        .value_kind:     by_value
      - .address_space:  global
        .offset:         32
        .size:           8
        .value_kind:     global_buffer
      - .offset:         40
        .size:           8
        .value_kind:     by_value
      - .offset:         48
        .size:           8
        .value_kind:     by_value
      - .address_space:  global
        .offset:         56
        .size:           8
        .value_kind:     global_buffer
      - .offset:         64
        .size:           8
        .value_kind:     by_value
      - .offset:         72
        .size:           8
        .value_kind:     by_value
      - .offset:         80
        .size:           4
        .value_kind:     by_value
      - .address_space:  global
        .offset:         88
        .size:           8
        .value_kind:     global_buffer
      - .offset:         96
        .size:           8
        .value_kind:     by_value
      - .offset:         104
        .size:           8
        .value_kind:     by_value
      - .address_space:  global
        .offset:         112
        .size:           8
        .value_kind:     global_buffer
      - .offset:         120
        .size:           8
        .value_kind:     by_value
      - .offset:         128
        .size:           8
        .value_kind:     by_value
      - .offset:         136
        .size:           4
        .value_kind:     by_value
    .group_segment_fixed_size: 2048
    .kernarg_segment_align: 8
    .kernarg_segment_size: 140
    .language:       OpenCL C
    .language_version:
      - 2
      - 0
    .max_flat_workgroup_size: 256
    .name:           _ZN12_GLOBAL__N_127rocblas_gemm_batched_kernelIfLi16ELi16ELi64ELi64ELi4ELi64ELi4ELi4ELi64ELc78ELc67EKfS1_fEEvlllT_PT11_llS4_llS2_PT12_llPT13_lli
    .private_segment_fixed_size: 0
    .sgpr_count:     25
    .sgpr_spill_count: 0
    .symbol:         _ZN12_GLOBAL__N_127rocblas_gemm_batched_kernelIfLi16ELi16ELi64ELi64ELi4ELi64ELi4ELi4ELi64ELc78ELc67EKfS1_fEEvlllT_PT11_llS4_llS2_PT12_llPT13_lli.kd
    .uniform_work_group_size: 1
    .uses_dynamic_stack: false
    .vgpr_count:     58
    .vgpr_spill_count: 0
    .wavefront_size: 32
    .workgroup_processor_mode: 1
  - .args:
      - .offset:         0
        .size:           8
        .value_kind:     by_value
      - .offset:         8
        .size:           8
        .value_kind:     by_value
      - .offset:         16
        .size:           8
        .value_kind:     by_value
      - .offset:         24
        .size:           4
        .value_kind:     by_value
      - .address_space:  global
        .offset:         32
        .size:           8
        .value_kind:     global_buffer
      - .offset:         40
        .size:           8
        .value_kind:     by_value
      - .offset:         48
        .size:           8
        .value_kind:     by_value
      - .address_space:  global
        .offset:         56
        .size:           8
        .value_kind:     global_buffer
      - .offset:         64
        .size:           8
        .value_kind:     by_value
      - .offset:         72
        .size:           8
        .value_kind:     by_value
      - .offset:         80
        .size:           4
        .value_kind:     by_value
      - .address_space:  global
        .offset:         88
        .size:           8
        .value_kind:     global_buffer
      - .offset:         96
        .size:           8
        .value_kind:     by_value
      - .offset:         104
        .size:           8
        .value_kind:     by_value
      - .address_space:  global
        .offset:         112
        .size:           8
        .value_kind:     global_buffer
      - .offset:         120
        .size:           8
        .value_kind:     by_value
      - .offset:         128
        .size:           8
        .value_kind:     by_value
      - .offset:         136
        .size:           4
        .value_kind:     by_value
    .group_segment_fixed_size: 2048
    .kernarg_segment_align: 8
    .kernarg_segment_size: 140
    .language:       OpenCL C
    .language_version:
      - 2
      - 0
    .max_flat_workgroup_size: 256
    .name:           _ZN12_GLOBAL__N_127rocblas_gemm_batched_kernelIfLi16ELi16ELi64ELi64ELi4ELi64ELi4ELi4ELi64ELc84ELc67EKfS1_fEEvlllT_PT11_llS4_llS2_PT12_llPT13_lli
    .private_segment_fixed_size: 0
    .sgpr_count:     24
    .sgpr_spill_count: 0
    .symbol:         _ZN12_GLOBAL__N_127rocblas_gemm_batched_kernelIfLi16ELi16ELi64ELi64ELi4ELi64ELi4ELi4ELi64ELc84ELc67EKfS1_fEEvlllT_PT11_llS4_llS2_PT12_llPT13_lli.kd
    .uniform_work_group_size: 1
    .uses_dynamic_stack: false
    .vgpr_count:     58
    .vgpr_spill_count: 0
    .wavefront_size: 32
    .workgroup_processor_mode: 1
  - .args:
      - .offset:         0
        .size:           8
        .value_kind:     by_value
      - .offset:         8
        .size:           8
        .value_kind:     by_value
      - .offset:         16
        .size:           8
        .value_kind:     by_value
      - .offset:         24
        .size:           4
        .value_kind:     by_value
      - .address_space:  global
        .offset:         32
        .size:           8
        .value_kind:     global_buffer
      - .offset:         40
        .size:           8
        .value_kind:     by_value
      - .offset:         48
        .size:           8
        .value_kind:     by_value
      - .address_space:  global
        .offset:         56
        .size:           8
        .value_kind:     global_buffer
      - .offset:         64
        .size:           8
        .value_kind:     by_value
      - .offset:         72
        .size:           8
        .value_kind:     by_value
      - .offset:         80
        .size:           4
        .value_kind:     by_value
      - .address_space:  global
        .offset:         88
        .size:           8
        .value_kind:     global_buffer
      - .offset:         96
        .size:           8
        .value_kind:     by_value
      - .offset:         104
        .size:           8
        .value_kind:     by_value
      - .address_space:  global
        .offset:         112
        .size:           8
        .value_kind:     global_buffer
      - .offset:         120
        .size:           8
        .value_kind:     by_value
      - .offset:         128
        .size:           8
        .value_kind:     by_value
      - .offset:         136
        .size:           4
        .value_kind:     by_value
    .group_segment_fixed_size: 2048
    .kernarg_segment_align: 8
    .kernarg_segment_size: 140
    .language:       OpenCL C
    .language_version:
      - 2
      - 0
    .max_flat_workgroup_size: 256
    .name:           _ZN12_GLOBAL__N_127rocblas_gemm_batched_kernelIfLi16ELi16ELi32ELi32ELi8ELi32ELi8ELi8ELi32ELc78ELc78EKfS1_fEEvlllT_PT11_llS4_llS2_PT12_llPT13_lli
    .private_segment_fixed_size: 0
    .sgpr_count:     24
    .sgpr_spill_count: 0
    .symbol:         _ZN12_GLOBAL__N_127rocblas_gemm_batched_kernelIfLi16ELi16ELi32ELi32ELi8ELi32ELi8ELi8ELi32ELc78ELc78EKfS1_fEEvlllT_PT11_llS4_llS2_PT12_llPT13_lli.kd
    .uniform_work_group_size: 1
    .uses_dynamic_stack: false
    .vgpr_count:     46
    .vgpr_spill_count: 0
    .wavefront_size: 32
    .workgroup_processor_mode: 1
  - .args:
      - .offset:         0
        .size:           8
        .value_kind:     by_value
      - .offset:         8
        .size:           8
        .value_kind:     by_value
      - .offset:         16
        .size:           8
        .value_kind:     by_value
      - .offset:         24
        .size:           4
        .value_kind:     by_value
      - .address_space:  global
        .offset:         32
        .size:           8
        .value_kind:     global_buffer
      - .offset:         40
        .size:           8
        .value_kind:     by_value
      - .offset:         48
        .size:           8
        .value_kind:     by_value
      - .address_space:  global
        .offset:         56
        .size:           8
        .value_kind:     global_buffer
      - .offset:         64
        .size:           8
        .value_kind:     by_value
      - .offset:         72
        .size:           8
        .value_kind:     by_value
      - .offset:         80
        .size:           4
        .value_kind:     by_value
      - .address_space:  global
        .offset:         88
        .size:           8
        .value_kind:     global_buffer
      - .offset:         96
        .size:           8
        .value_kind:     by_value
      - .offset:         104
        .size:           8
        .value_kind:     by_value
      - .address_space:  global
        .offset:         112
        .size:           8
        .value_kind:     global_buffer
      - .offset:         120
        .size:           8
        .value_kind:     by_value
      - .offset:         128
        .size:           8
        .value_kind:     by_value
      - .offset:         136
        .size:           4
        .value_kind:     by_value
    .group_segment_fixed_size: 2048
    .kernarg_segment_align: 8
    .kernarg_segment_size: 140
    .language:       OpenCL C
    .language_version:
      - 2
      - 0
    .max_flat_workgroup_size: 256
    .name:           _ZN12_GLOBAL__N_127rocblas_gemm_batched_kernelIfLi16ELi16ELi32ELi32ELi8ELi32ELi8ELi8ELi32ELc84ELc78EKfS1_fEEvlllT_PT11_llS4_llS2_PT12_llPT13_lli
    .private_segment_fixed_size: 0
    .sgpr_count:     24
    .sgpr_spill_count: 0
    .symbol:         _ZN12_GLOBAL__N_127rocblas_gemm_batched_kernelIfLi16ELi16ELi32ELi32ELi8ELi32ELi8ELi8ELi32ELc84ELc78EKfS1_fEEvlllT_PT11_llS4_llS2_PT12_llPT13_lli.kd
    .uniform_work_group_size: 1
    .uses_dynamic_stack: false
    .vgpr_count:     46
    .vgpr_spill_count: 0
    .wavefront_size: 32
    .workgroup_processor_mode: 1
  - .args:
      - .offset:         0
        .size:           8
        .value_kind:     by_value
      - .offset:         8
        .size:           8
        .value_kind:     by_value
      - .offset:         16
        .size:           8
        .value_kind:     by_value
      - .offset:         24
        .size:           4
        .value_kind:     by_value
      - .address_space:  global
        .offset:         32
        .size:           8
        .value_kind:     global_buffer
      - .offset:         40
        .size:           8
        .value_kind:     by_value
      - .offset:         48
        .size:           8
        .value_kind:     by_value
      - .address_space:  global
        .offset:         56
        .size:           8
        .value_kind:     global_buffer
      - .offset:         64
        .size:           8
        .value_kind:     by_value
      - .offset:         72
        .size:           8
        .value_kind:     by_value
      - .offset:         80
        .size:           4
        .value_kind:     by_value
      - .address_space:  global
        .offset:         88
        .size:           8
        .value_kind:     global_buffer
      - .offset:         96
        .size:           8
        .value_kind:     by_value
      - .offset:         104
        .size:           8
        .value_kind:     by_value
      - .address_space:  global
        .offset:         112
        .size:           8
        .value_kind:     global_buffer
      - .offset:         120
        .size:           8
        .value_kind:     by_value
      - .offset:         128
        .size:           8
        .value_kind:     by_value
      - .offset:         136
        .size:           4
        .value_kind:     by_value
    .group_segment_fixed_size: 2048
    .kernarg_segment_align: 8
    .kernarg_segment_size: 140
    .language:       OpenCL C
    .language_version:
      - 2
      - 0
    .max_flat_workgroup_size: 256
    .name:           _ZN12_GLOBAL__N_127rocblas_gemm_batched_kernelIfLi16ELi16ELi32ELi32ELi8ELi32ELi8ELi8ELi32ELc78ELc84EKfS1_fEEvlllT_PT11_llS4_llS2_PT12_llPT13_lli
    .private_segment_fixed_size: 0
    .sgpr_count:     24
    .sgpr_spill_count: 0
    .symbol:         _ZN12_GLOBAL__N_127rocblas_gemm_batched_kernelIfLi16ELi16ELi32ELi32ELi8ELi32ELi8ELi8ELi32ELc78ELc84EKfS1_fEEvlllT_PT11_llS4_llS2_PT12_llPT13_lli.kd
    .uniform_work_group_size: 1
    .uses_dynamic_stack: false
    .vgpr_count:     46
    .vgpr_spill_count: 0
    .wavefront_size: 32
    .workgroup_processor_mode: 1
  - .args:
      - .offset:         0
        .size:           8
        .value_kind:     by_value
      - .offset:         8
        .size:           8
        .value_kind:     by_value
      - .offset:         16
        .size:           8
        .value_kind:     by_value
      - .offset:         24
        .size:           4
        .value_kind:     by_value
      - .address_space:  global
        .offset:         32
        .size:           8
        .value_kind:     global_buffer
      - .offset:         40
        .size:           8
        .value_kind:     by_value
      - .offset:         48
        .size:           8
        .value_kind:     by_value
      - .address_space:  global
        .offset:         56
        .size:           8
        .value_kind:     global_buffer
      - .offset:         64
        .size:           8
        .value_kind:     by_value
      - .offset:         72
        .size:           8
        .value_kind:     by_value
      - .offset:         80
        .size:           4
        .value_kind:     by_value
      - .address_space:  global
        .offset:         88
        .size:           8
        .value_kind:     global_buffer
      - .offset:         96
        .size:           8
        .value_kind:     by_value
      - .offset:         104
        .size:           8
        .value_kind:     by_value
      - .address_space:  global
        .offset:         112
        .size:           8
        .value_kind:     global_buffer
      - .offset:         120
        .size:           8
        .value_kind:     by_value
      - .offset:         128
        .size:           8
        .value_kind:     by_value
      - .offset:         136
        .size:           4
        .value_kind:     by_value
    .group_segment_fixed_size: 2048
    .kernarg_segment_align: 8
    .kernarg_segment_size: 140
    .language:       OpenCL C
    .language_version:
      - 2
      - 0
    .max_flat_workgroup_size: 256
    .name:           _ZN12_GLOBAL__N_127rocblas_gemm_batched_kernelIfLi16ELi16ELi32ELi32ELi8ELi32ELi8ELi8ELi32ELc84ELc84EKfS1_fEEvlllT_PT11_llS4_llS2_PT12_llPT13_lli
    .private_segment_fixed_size: 0
    .sgpr_count:     24
    .sgpr_spill_count: 0
    .symbol:         _ZN12_GLOBAL__N_127rocblas_gemm_batched_kernelIfLi16ELi16ELi32ELi32ELi8ELi32ELi8ELi8ELi32ELc84ELc84EKfS1_fEEvlllT_PT11_llS4_llS2_PT12_llPT13_lli.kd
    .uniform_work_group_size: 1
    .uses_dynamic_stack: false
    .vgpr_count:     46
    .vgpr_spill_count: 0
    .wavefront_size: 32
    .workgroup_processor_mode: 1
  - .args:
      - .offset:         0
        .size:           8
        .value_kind:     by_value
      - .offset:         8
        .size:           8
        .value_kind:     by_value
      - .offset:         16
        .size:           8
        .value_kind:     by_value
      - .offset:         24
        .size:           4
        .value_kind:     by_value
      - .address_space:  global
        .offset:         32
        .size:           8
        .value_kind:     global_buffer
      - .offset:         40
        .size:           8
        .value_kind:     by_value
      - .offset:         48
        .size:           8
        .value_kind:     by_value
      - .address_space:  global
        .offset:         56
        .size:           8
        .value_kind:     global_buffer
      - .offset:         64
        .size:           8
        .value_kind:     by_value
      - .offset:         72
        .size:           8
        .value_kind:     by_value
      - .offset:         80
        .size:           4
        .value_kind:     by_value
      - .address_space:  global
        .offset:         88
        .size:           8
        .value_kind:     global_buffer
      - .offset:         96
        .size:           8
        .value_kind:     by_value
      - .offset:         104
        .size:           8
        .value_kind:     by_value
      - .address_space:  global
        .offset:         112
        .size:           8
        .value_kind:     global_buffer
      - .offset:         120
        .size:           8
        .value_kind:     by_value
      - .offset:         128
        .size:           8
        .value_kind:     by_value
      - .offset:         136
        .size:           4
        .value_kind:     by_value
    .group_segment_fixed_size: 2048
    .kernarg_segment_align: 8
    .kernarg_segment_size: 140
    .language:       OpenCL C
    .language_version:
      - 2
      - 0
    .max_flat_workgroup_size: 256
    .name:           _ZN12_GLOBAL__N_127rocblas_gemm_batched_kernelIfLi16ELi16ELi32ELi32ELi8ELi32ELi8ELi8ELi32ELc67ELc67EKfS1_fEEvlllT_PT11_llS4_llS2_PT12_llPT13_lli
    .private_segment_fixed_size: 0
    .sgpr_count:     24
    .sgpr_spill_count: 0
    .symbol:         _ZN12_GLOBAL__N_127rocblas_gemm_batched_kernelIfLi16ELi16ELi32ELi32ELi8ELi32ELi8ELi8ELi32ELc67ELc67EKfS1_fEEvlllT_PT11_llS4_llS2_PT12_llPT13_lli.kd
    .uniform_work_group_size: 1
    .uses_dynamic_stack: false
    .vgpr_count:     46
    .vgpr_spill_count: 0
    .wavefront_size: 32
    .workgroup_processor_mode: 1
  - .args:
      - .offset:         0
        .size:           8
        .value_kind:     by_value
      - .offset:         8
        .size:           8
        .value_kind:     by_value
      - .offset:         16
        .size:           8
        .value_kind:     by_value
      - .offset:         24
        .size:           4
        .value_kind:     by_value
      - .address_space:  global
        .offset:         32
        .size:           8
        .value_kind:     global_buffer
      - .offset:         40
        .size:           8
        .value_kind:     by_value
      - .offset:         48
        .size:           8
        .value_kind:     by_value
      - .address_space:  global
        .offset:         56
        .size:           8
        .value_kind:     global_buffer
      - .offset:         64
        .size:           8
        .value_kind:     by_value
      - .offset:         72
        .size:           8
        .value_kind:     by_value
      - .offset:         80
        .size:           4
        .value_kind:     by_value
      - .address_space:  global
        .offset:         88
        .size:           8
        .value_kind:     global_buffer
      - .offset:         96
        .size:           8
        .value_kind:     by_value
      - .offset:         104
        .size:           8
        .value_kind:     by_value
      - .address_space:  global
        .offset:         112
        .size:           8
        .value_kind:     global_buffer
      - .offset:         120
        .size:           8
        .value_kind:     by_value
      - .offset:         128
        .size:           8
        .value_kind:     by_value
      - .offset:         136
        .size:           4
        .value_kind:     by_value
    .group_segment_fixed_size: 2048
    .kernarg_segment_align: 8
    .kernarg_segment_size: 140
    .language:       OpenCL C
    .language_version:
      - 2
      - 0
    .max_flat_workgroup_size: 256
    .name:           _ZN12_GLOBAL__N_127rocblas_gemm_batched_kernelIfLi16ELi16ELi32ELi32ELi8ELi32ELi8ELi8ELi32ELc67ELc78EKfS1_fEEvlllT_PT11_llS4_llS2_PT12_llPT13_lli
    .private_segment_fixed_size: 0
    .sgpr_count:     24
    .sgpr_spill_count: 0
    .symbol:         _ZN12_GLOBAL__N_127rocblas_gemm_batched_kernelIfLi16ELi16ELi32ELi32ELi8ELi32ELi8ELi8ELi32ELc67ELc78EKfS1_fEEvlllT_PT11_llS4_llS2_PT12_llPT13_lli.kd
    .uniform_work_group_size: 1
    .uses_dynamic_stack: false
    .vgpr_count:     46
    .vgpr_spill_count: 0
    .wavefront_size: 32
    .workgroup_processor_mode: 1
  - .args:
      - .offset:         0
        .size:           8
        .value_kind:     by_value
      - .offset:         8
        .size:           8
        .value_kind:     by_value
      - .offset:         16
        .size:           8
        .value_kind:     by_value
      - .offset:         24
        .size:           4
        .value_kind:     by_value
      - .address_space:  global
        .offset:         32
        .size:           8
        .value_kind:     global_buffer
      - .offset:         40
        .size:           8
        .value_kind:     by_value
      - .offset:         48
        .size:           8
        .value_kind:     by_value
      - .address_space:  global
        .offset:         56
        .size:           8
        .value_kind:     global_buffer
      - .offset:         64
        .size:           8
        .value_kind:     by_value
      - .offset:         72
        .size:           8
        .value_kind:     by_value
      - .offset:         80
        .size:           4
        .value_kind:     by_value
      - .address_space:  global
        .offset:         88
        .size:           8
        .value_kind:     global_buffer
      - .offset:         96
        .size:           8
        .value_kind:     by_value
      - .offset:         104
        .size:           8
        .value_kind:     by_value
      - .address_space:  global
        .offset:         112
        .size:           8
        .value_kind:     global_buffer
      - .offset:         120
        .size:           8
        .value_kind:     by_value
      - .offset:         128
        .size:           8
        .value_kind:     by_value
      - .offset:         136
        .size:           4
        .value_kind:     by_value
    .group_segment_fixed_size: 2048
    .kernarg_segment_align: 8
    .kernarg_segment_size: 140
    .language:       OpenCL C
    .language_version:
      - 2
      - 0
    .max_flat_workgroup_size: 256
    .name:           _ZN12_GLOBAL__N_127rocblas_gemm_batched_kernelIfLi16ELi16ELi32ELi32ELi8ELi32ELi8ELi8ELi32ELc67ELc84EKfS1_fEEvlllT_PT11_llS4_llS2_PT12_llPT13_lli
    .private_segment_fixed_size: 0
    .sgpr_count:     24
    .sgpr_spill_count: 0
    .symbol:         _ZN12_GLOBAL__N_127rocblas_gemm_batched_kernelIfLi16ELi16ELi32ELi32ELi8ELi32ELi8ELi8ELi32ELc67ELc84EKfS1_fEEvlllT_PT11_llS4_llS2_PT12_llPT13_lli.kd
    .uniform_work_group_size: 1
    .uses_dynamic_stack: false
    .vgpr_count:     46
    .vgpr_spill_count: 0
    .wavefront_size: 32
    .workgroup_processor_mode: 1
  - .args:
      - .offset:         0
        .size:           8
        .value_kind:     by_value
      - .offset:         8
        .size:           8
        .value_kind:     by_value
      - .offset:         16
        .size:           8
        .value_kind:     by_value
      - .offset:         24
        .size:           4
        .value_kind:     by_value
      - .address_space:  global
        .offset:         32
        .size:           8
        .value_kind:     global_buffer
      - .offset:         40
        .size:           8
        .value_kind:     by_value
      - .offset:         48
        .size:           8
        .value_kind:     by_value
      - .address_space:  global
        .offset:         56
        .size:           8
        .value_kind:     global_buffer
      - .offset:         64
        .size:           8
        .value_kind:     by_value
      - .offset:         72
        .size:           8
        .value_kind:     by_value
      - .offset:         80
        .size:           4
        .value_kind:     by_value
      - .address_space:  global
        .offset:         88
        .size:           8
        .value_kind:     global_buffer
      - .offset:         96
        .size:           8
        .value_kind:     by_value
      - .offset:         104
        .size:           8
        .value_kind:     by_value
      - .address_space:  global
        .offset:         112
        .size:           8
        .value_kind:     global_buffer
      - .offset:         120
        .size:           8
        .value_kind:     by_value
      - .offset:         128
        .size:           8
        .value_kind:     by_value
      - .offset:         136
        .size:           4
        .value_kind:     by_value
    .group_segment_fixed_size: 2048
    .kernarg_segment_align: 8
    .kernarg_segment_size: 140
    .language:       OpenCL C
    .language_version:
      - 2
      - 0
    .max_flat_workgroup_size: 256
    .name:           _ZN12_GLOBAL__N_127rocblas_gemm_batched_kernelIfLi16ELi16ELi32ELi32ELi8ELi32ELi8ELi8ELi32ELc78ELc67EKfS1_fEEvlllT_PT11_llS4_llS2_PT12_llPT13_lli
    .private_segment_fixed_size: 0
    .sgpr_count:     24
    .sgpr_spill_count: 0
    .symbol:         _ZN12_GLOBAL__N_127rocblas_gemm_batched_kernelIfLi16ELi16ELi32ELi32ELi8ELi32ELi8ELi8ELi32ELc78ELc67EKfS1_fEEvlllT_PT11_llS4_llS2_PT12_llPT13_lli.kd
    .uniform_work_group_size: 1
    .uses_dynamic_stack: false
    .vgpr_count:     46
    .vgpr_spill_count: 0
    .wavefront_size: 32
    .workgroup_processor_mode: 1
  - .args:
      - .offset:         0
        .size:           8
        .value_kind:     by_value
      - .offset:         8
        .size:           8
        .value_kind:     by_value
      - .offset:         16
        .size:           8
        .value_kind:     by_value
      - .offset:         24
        .size:           4
        .value_kind:     by_value
      - .address_space:  global
        .offset:         32
        .size:           8
        .value_kind:     global_buffer
      - .offset:         40
        .size:           8
        .value_kind:     by_value
      - .offset:         48
        .size:           8
        .value_kind:     by_value
      - .address_space:  global
        .offset:         56
        .size:           8
        .value_kind:     global_buffer
      - .offset:         64
        .size:           8
        .value_kind:     by_value
      - .offset:         72
        .size:           8
        .value_kind:     by_value
      - .offset:         80
        .size:           4
        .value_kind:     by_value
      - .address_space:  global
        .offset:         88
        .size:           8
        .value_kind:     global_buffer
      - .offset:         96
        .size:           8
        .value_kind:     by_value
      - .offset:         104
        .size:           8
        .value_kind:     by_value
      - .address_space:  global
        .offset:         112
        .size:           8
        .value_kind:     global_buffer
      - .offset:         120
        .size:           8
        .value_kind:     by_value
      - .offset:         128
        .size:           8
        .value_kind:     by_value
      - .offset:         136
        .size:           4
        .value_kind:     by_value
    .group_segment_fixed_size: 2048
    .kernarg_segment_align: 8
    .kernarg_segment_size: 140
    .language:       OpenCL C
    .language_version:
      - 2
      - 0
    .max_flat_workgroup_size: 256
    .name:           _ZN12_GLOBAL__N_127rocblas_gemm_batched_kernelIfLi16ELi16ELi32ELi32ELi8ELi32ELi8ELi8ELi32ELc84ELc67EKfS1_fEEvlllT_PT11_llS4_llS2_PT12_llPT13_lli
    .private_segment_fixed_size: 0
    .sgpr_count:     24
    .sgpr_spill_count: 0
    .symbol:         _ZN12_GLOBAL__N_127rocblas_gemm_batched_kernelIfLi16ELi16ELi32ELi32ELi8ELi32ELi8ELi8ELi32ELc84ELc67EKfS1_fEEvlllT_PT11_llS4_llS2_PT12_llPT13_lli.kd
    .uniform_work_group_size: 1
    .uses_dynamic_stack: false
    .vgpr_count:     46
    .vgpr_spill_count: 0
    .wavefront_size: 32
    .workgroup_processor_mode: 1
  - .args:
      - .offset:         0
        .size:           8
        .value_kind:     by_value
      - .offset:         8
        .size:           8
        .value_kind:     by_value
      - .offset:         16
        .size:           8
        .value_kind:     by_value
      - .offset:         24
        .size:           4
        .value_kind:     by_value
      - .address_space:  global
        .offset:         32
        .size:           8
        .value_kind:     global_buffer
      - .offset:         40
        .size:           8
        .value_kind:     by_value
      - .offset:         48
        .size:           8
        .value_kind:     by_value
      - .address_space:  global
        .offset:         56
        .size:           8
        .value_kind:     global_buffer
      - .offset:         64
        .size:           8
        .value_kind:     by_value
      - .offset:         72
        .size:           8
        .value_kind:     by_value
      - .offset:         80
        .size:           4
        .value_kind:     by_value
      - .address_space:  global
        .offset:         88
        .size:           8
        .value_kind:     global_buffer
      - .offset:         96
        .size:           8
        .value_kind:     by_value
      - .offset:         104
        .size:           8
        .value_kind:     by_value
      - .address_space:  global
        .offset:         112
        .size:           8
        .value_kind:     global_buffer
      - .offset:         120
        .size:           8
        .value_kind:     by_value
      - .offset:         128
        .size:           8
        .value_kind:     by_value
      - .offset:         136
        .size:           4
        .value_kind:     by_value
    .group_segment_fixed_size: 2048
    .kernarg_segment_align: 8
    .kernarg_segment_size: 140
    .language:       OpenCL C
    .language_version:
      - 2
      - 0
    .max_flat_workgroup_size: 256
    .name:           _ZN12_GLOBAL__N_135rocblas_gemm_batched_general_kernelIfLi16ELi16ELi32ELi32ELi8ELi32ELi8ELi8ELi32ELc78ELc78EKfS1_fEEvlllT_PT11_llS4_llS2_PT12_llPT13_lli
    .private_segment_fixed_size: 0
    .sgpr_count:     32
    .sgpr_spill_count: 0
    .symbol:         _ZN12_GLOBAL__N_135rocblas_gemm_batched_general_kernelIfLi16ELi16ELi32ELi32ELi8ELi32ELi8ELi8ELi32ELc78ELc78EKfS1_fEEvlllT_PT11_llS4_llS2_PT12_llPT13_lli.kd
    .uniform_work_group_size: 1
    .uses_dynamic_stack: false
    .vgpr_count:     44
    .vgpr_spill_count: 0
    .wavefront_size: 32
    .workgroup_processor_mode: 1
  - .args:
      - .offset:         0
        .size:           8
        .value_kind:     by_value
      - .offset:         8
        .size:           8
        .value_kind:     by_value
      - .offset:         16
        .size:           8
        .value_kind:     by_value
      - .offset:         24
        .size:           4
        .value_kind:     by_value
      - .address_space:  global
        .offset:         32
        .size:           8
        .value_kind:     global_buffer
      - .offset:         40
        .size:           8
        .value_kind:     by_value
      - .offset:         48
        .size:           8
        .value_kind:     by_value
      - .address_space:  global
        .offset:         56
        .size:           8
        .value_kind:     global_buffer
      - .offset:         64
        .size:           8
        .value_kind:     by_value
      - .offset:         72
        .size:           8
        .value_kind:     by_value
      - .offset:         80
        .size:           4
        .value_kind:     by_value
      - .address_space:  global
        .offset:         88
        .size:           8
        .value_kind:     global_buffer
      - .offset:         96
        .size:           8
        .value_kind:     by_value
      - .offset:         104
        .size:           8
        .value_kind:     by_value
      - .address_space:  global
        .offset:         112
        .size:           8
        .value_kind:     global_buffer
      - .offset:         120
        .size:           8
        .value_kind:     by_value
      - .offset:         128
        .size:           8
        .value_kind:     by_value
      - .offset:         136
        .size:           4
        .value_kind:     by_value
    .group_segment_fixed_size: 2048
    .kernarg_segment_align: 8
    .kernarg_segment_size: 140
    .language:       OpenCL C
    .language_version:
      - 2
      - 0
    .max_flat_workgroup_size: 256
    .name:           _ZN12_GLOBAL__N_135rocblas_gemm_batched_general_kernelIfLi16ELi16ELi32ELi32ELi8ELi32ELi8ELi8ELi32ELc84ELc78EKfS1_fEEvlllT_PT11_llS4_llS2_PT12_llPT13_lli
    .private_segment_fixed_size: 0
    .sgpr_count:     30
    .sgpr_spill_count: 0
    .symbol:         _ZN12_GLOBAL__N_135rocblas_gemm_batched_general_kernelIfLi16ELi16ELi32ELi32ELi8ELi32ELi8ELi8ELi32ELc84ELc78EKfS1_fEEvlllT_PT11_llS4_llS2_PT12_llPT13_lli.kd
    .uniform_work_group_size: 1
    .uses_dynamic_stack: false
    .vgpr_count:     44
    .vgpr_spill_count: 0
    .wavefront_size: 32
    .workgroup_processor_mode: 1
  - .args:
      - .offset:         0
        .size:           8
        .value_kind:     by_value
      - .offset:         8
        .size:           8
        .value_kind:     by_value
      - .offset:         16
        .size:           8
        .value_kind:     by_value
      - .offset:         24
        .size:           4
        .value_kind:     by_value
      - .address_space:  global
        .offset:         32
        .size:           8
        .value_kind:     global_buffer
      - .offset:         40
        .size:           8
        .value_kind:     by_value
      - .offset:         48
        .size:           8
        .value_kind:     by_value
      - .address_space:  global
        .offset:         56
        .size:           8
        .value_kind:     global_buffer
      - .offset:         64
        .size:           8
        .value_kind:     by_value
      - .offset:         72
        .size:           8
        .value_kind:     by_value
      - .offset:         80
        .size:           4
        .value_kind:     by_value
      - .address_space:  global
        .offset:         88
        .size:           8
        .value_kind:     global_buffer
      - .offset:         96
        .size:           8
        .value_kind:     by_value
      - .offset:         104
        .size:           8
        .value_kind:     by_value
      - .address_space:  global
        .offset:         112
        .size:           8
        .value_kind:     global_buffer
      - .offset:         120
        .size:           8
        .value_kind:     by_value
      - .offset:         128
        .size:           8
        .value_kind:     by_value
      - .offset:         136
        .size:           4
        .value_kind:     by_value
    .group_segment_fixed_size: 2048
    .kernarg_segment_align: 8
    .kernarg_segment_size: 140
    .language:       OpenCL C
    .language_version:
      - 2
      - 0
    .max_flat_workgroup_size: 256
    .name:           _ZN12_GLOBAL__N_135rocblas_gemm_batched_general_kernelIfLi16ELi16ELi32ELi32ELi8ELi32ELi8ELi8ELi32ELc78ELc84EKfS1_fEEvlllT_PT11_llS4_llS2_PT12_llPT13_lli
    .private_segment_fixed_size: 0
    .sgpr_count:     36
    .sgpr_spill_count: 0
    .symbol:         _ZN12_GLOBAL__N_135rocblas_gemm_batched_general_kernelIfLi16ELi16ELi32ELi32ELi8ELi32ELi8ELi8ELi32ELc78ELc84EKfS1_fEEvlllT_PT11_llS4_llS2_PT12_llPT13_lli.kd
    .uniform_work_group_size: 1
    .uses_dynamic_stack: false
    .vgpr_count:     44
    .vgpr_spill_count: 0
    .wavefront_size: 32
    .workgroup_processor_mode: 1
  - .args:
      - .offset:         0
        .size:           8
        .value_kind:     by_value
      - .offset:         8
        .size:           8
        .value_kind:     by_value
      - .offset:         16
        .size:           8
        .value_kind:     by_value
      - .offset:         24
        .size:           4
        .value_kind:     by_value
      - .address_space:  global
        .offset:         32
        .size:           8
        .value_kind:     global_buffer
      - .offset:         40
        .size:           8
        .value_kind:     by_value
      - .offset:         48
        .size:           8
        .value_kind:     by_value
      - .address_space:  global
        .offset:         56
        .size:           8
        .value_kind:     global_buffer
      - .offset:         64
        .size:           8
        .value_kind:     by_value
      - .offset:         72
        .size:           8
        .value_kind:     by_value
      - .offset:         80
        .size:           4
        .value_kind:     by_value
      - .address_space:  global
        .offset:         88
        .size:           8
        .value_kind:     global_buffer
      - .offset:         96
        .size:           8
        .value_kind:     by_value
      - .offset:         104
        .size:           8
        .value_kind:     by_value
      - .address_space:  global
        .offset:         112
        .size:           8
        .value_kind:     global_buffer
      - .offset:         120
        .size:           8
        .value_kind:     by_value
      - .offset:         128
        .size:           8
        .value_kind:     by_value
      - .offset:         136
        .size:           4
        .value_kind:     by_value
    .group_segment_fixed_size: 2048
    .kernarg_segment_align: 8
    .kernarg_segment_size: 140
    .language:       OpenCL C
    .language_version:
      - 2
      - 0
    .max_flat_workgroup_size: 256
    .name:           _ZN12_GLOBAL__N_135rocblas_gemm_batched_general_kernelIfLi16ELi16ELi32ELi32ELi8ELi32ELi8ELi8ELi32ELc84ELc84EKfS1_fEEvlllT_PT11_llS4_llS2_PT12_llPT13_lli
    .private_segment_fixed_size: 0
    .sgpr_count:     32
    .sgpr_spill_count: 0
    .symbol:         _ZN12_GLOBAL__N_135rocblas_gemm_batched_general_kernelIfLi16ELi16ELi32ELi32ELi8ELi32ELi8ELi8ELi32ELc84ELc84EKfS1_fEEvlllT_PT11_llS4_llS2_PT12_llPT13_lli.kd
    .uniform_work_group_size: 1
    .uses_dynamic_stack: false
    .vgpr_count:     44
    .vgpr_spill_count: 0
    .wavefront_size: 32
    .workgroup_processor_mode: 1
  - .args:
      - .offset:         0
        .size:           8
        .value_kind:     by_value
      - .offset:         8
        .size:           8
        .value_kind:     by_value
      - .offset:         16
        .size:           8
        .value_kind:     by_value
      - .offset:         24
        .size:           4
        .value_kind:     by_value
      - .address_space:  global
        .offset:         32
        .size:           8
        .value_kind:     global_buffer
      - .offset:         40
        .size:           8
        .value_kind:     by_value
      - .offset:         48
        .size:           8
        .value_kind:     by_value
      - .address_space:  global
        .offset:         56
        .size:           8
        .value_kind:     global_buffer
      - .offset:         64
        .size:           8
        .value_kind:     by_value
      - .offset:         72
        .size:           8
        .value_kind:     by_value
      - .offset:         80
        .size:           4
        .value_kind:     by_value
      - .address_space:  global
        .offset:         88
        .size:           8
        .value_kind:     global_buffer
      - .offset:         96
        .size:           8
        .value_kind:     by_value
      - .offset:         104
        .size:           8
        .value_kind:     by_value
      - .address_space:  global
        .offset:         112
        .size:           8
        .value_kind:     global_buffer
      - .offset:         120
        .size:           8
        .value_kind:     by_value
      - .offset:         128
        .size:           8
        .value_kind:     by_value
      - .offset:         136
        .size:           4
        .value_kind:     by_value
    .group_segment_fixed_size: 2048
    .kernarg_segment_align: 8
    .kernarg_segment_size: 140
    .language:       OpenCL C
    .language_version:
      - 2
      - 0
    .max_flat_workgroup_size: 256
    .name:           _ZN12_GLOBAL__N_135rocblas_gemm_batched_general_kernelIfLi16ELi16ELi32ELi32ELi8ELi32ELi8ELi8ELi32ELc67ELc67EKfS1_fEEvlllT_PT11_llS4_llS2_PT12_llPT13_lli
    .private_segment_fixed_size: 0
    .sgpr_count:     32
    .sgpr_spill_count: 0
    .symbol:         _ZN12_GLOBAL__N_135rocblas_gemm_batched_general_kernelIfLi16ELi16ELi32ELi32ELi8ELi32ELi8ELi8ELi32ELc67ELc67EKfS1_fEEvlllT_PT11_llS4_llS2_PT12_llPT13_lli.kd
    .uniform_work_group_size: 1
    .uses_dynamic_stack: false
    .vgpr_count:     44
    .vgpr_spill_count: 0
    .wavefront_size: 32
    .workgroup_processor_mode: 1
  - .args:
      - .offset:         0
        .size:           8
        .value_kind:     by_value
      - .offset:         8
        .size:           8
        .value_kind:     by_value
      - .offset:         16
        .size:           8
        .value_kind:     by_value
      - .offset:         24
        .size:           4
        .value_kind:     by_value
      - .address_space:  global
        .offset:         32
        .size:           8
        .value_kind:     global_buffer
      - .offset:         40
        .size:           8
        .value_kind:     by_value
      - .offset:         48
        .size:           8
        .value_kind:     by_value
      - .address_space:  global
        .offset:         56
        .size:           8
        .value_kind:     global_buffer
      - .offset:         64
        .size:           8
        .value_kind:     by_value
      - .offset:         72
        .size:           8
        .value_kind:     by_value
      - .offset:         80
        .size:           4
        .value_kind:     by_value
      - .address_space:  global
        .offset:         88
        .size:           8
        .value_kind:     global_buffer
      - .offset:         96
        .size:           8
        .value_kind:     by_value
      - .offset:         104
        .size:           8
        .value_kind:     by_value
      - .address_space:  global
        .offset:         112
        .size:           8
        .value_kind:     global_buffer
      - .offset:         120
        .size:           8
        .value_kind:     by_value
      - .offset:         128
        .size:           8
        .value_kind:     by_value
      - .offset:         136
        .size:           4
        .value_kind:     by_value
    .group_segment_fixed_size: 2048
    .kernarg_segment_align: 8
    .kernarg_segment_size: 140
    .language:       OpenCL C
    .language_version:
      - 2
      - 0
    .max_flat_workgroup_size: 256
    .name:           _ZN12_GLOBAL__N_135rocblas_gemm_batched_general_kernelIfLi16ELi16ELi32ELi32ELi8ELi32ELi8ELi8ELi32ELc67ELc78EKfS1_fEEvlllT_PT11_llS4_llS2_PT12_llPT13_lli
    .private_segment_fixed_size: 0
    .sgpr_count:     30
    .sgpr_spill_count: 0
    .symbol:         _ZN12_GLOBAL__N_135rocblas_gemm_batched_general_kernelIfLi16ELi16ELi32ELi32ELi8ELi32ELi8ELi8ELi32ELc67ELc78EKfS1_fEEvlllT_PT11_llS4_llS2_PT12_llPT13_lli.kd
    .uniform_work_group_size: 1
    .uses_dynamic_stack: false
    .vgpr_count:     44
    .vgpr_spill_count: 0
    .wavefront_size: 32
    .workgroup_processor_mode: 1
  - .args:
      - .offset:         0
        .size:           8
        .value_kind:     by_value
      - .offset:         8
        .size:           8
        .value_kind:     by_value
      - .offset:         16
        .size:           8
        .value_kind:     by_value
      - .offset:         24
        .size:           4
        .value_kind:     by_value
      - .address_space:  global
        .offset:         32
        .size:           8
        .value_kind:     global_buffer
      - .offset:         40
        .size:           8
        .value_kind:     by_value
      - .offset:         48
        .size:           8
        .value_kind:     by_value
      - .address_space:  global
        .offset:         56
        .size:           8
        .value_kind:     global_buffer
      - .offset:         64
        .size:           8
        .value_kind:     by_value
      - .offset:         72
        .size:           8
        .value_kind:     by_value
      - .offset:         80
        .size:           4
        .value_kind:     by_value
      - .address_space:  global
        .offset:         88
        .size:           8
        .value_kind:     global_buffer
      - .offset:         96
        .size:           8
        .value_kind:     by_value
      - .offset:         104
        .size:           8
        .value_kind:     by_value
      - .address_space:  global
        .offset:         112
        .size:           8
        .value_kind:     global_buffer
      - .offset:         120
        .size:           8
        .value_kind:     by_value
      - .offset:         128
        .size:           8
        .value_kind:     by_value
      - .offset:         136
        .size:           4
        .value_kind:     by_value
    .group_segment_fixed_size: 2048
    .kernarg_segment_align: 8
    .kernarg_segment_size: 140
    .language:       OpenCL C
    .language_version:
      - 2
      - 0
    .max_flat_workgroup_size: 256
    .name:           _ZN12_GLOBAL__N_135rocblas_gemm_batched_general_kernelIfLi16ELi16ELi32ELi32ELi8ELi32ELi8ELi8ELi32ELc67ELc84EKfS1_fEEvlllT_PT11_llS4_llS2_PT12_llPT13_lli
    .private_segment_fixed_size: 0
    .sgpr_count:     32
    .sgpr_spill_count: 0
    .symbol:         _ZN12_GLOBAL__N_135rocblas_gemm_batched_general_kernelIfLi16ELi16ELi32ELi32ELi8ELi32ELi8ELi8ELi32ELc67ELc84EKfS1_fEEvlllT_PT11_llS4_llS2_PT12_llPT13_lli.kd
    .uniform_work_group_size: 1
    .uses_dynamic_stack: false
    .vgpr_count:     44
    .vgpr_spill_count: 0
    .wavefront_size: 32
    .workgroup_processor_mode: 1
  - .args:
      - .offset:         0
        .size:           8
        .value_kind:     by_value
      - .offset:         8
        .size:           8
        .value_kind:     by_value
      - .offset:         16
        .size:           8
        .value_kind:     by_value
      - .offset:         24
        .size:           4
        .value_kind:     by_value
      - .address_space:  global
        .offset:         32
        .size:           8
        .value_kind:     global_buffer
      - .offset:         40
        .size:           8
        .value_kind:     by_value
      - .offset:         48
        .size:           8
        .value_kind:     by_value
      - .address_space:  global
        .offset:         56
        .size:           8
        .value_kind:     global_buffer
      - .offset:         64
        .size:           8
        .value_kind:     by_value
      - .offset:         72
        .size:           8
        .value_kind:     by_value
      - .offset:         80
        .size:           4
        .value_kind:     by_value
      - .address_space:  global
        .offset:         88
        .size:           8
        .value_kind:     global_buffer
      - .offset:         96
        .size:           8
        .value_kind:     by_value
      - .offset:         104
        .size:           8
        .value_kind:     by_value
      - .address_space:  global
        .offset:         112
        .size:           8
        .value_kind:     global_buffer
      - .offset:         120
        .size:           8
        .value_kind:     by_value
      - .offset:         128
        .size:           8
        .value_kind:     by_value
      - .offset:         136
        .size:           4
        .value_kind:     by_value
    .group_segment_fixed_size: 2048
    .kernarg_segment_align: 8
    .kernarg_segment_size: 140
    .language:       OpenCL C
    .language_version:
      - 2
      - 0
    .max_flat_workgroup_size: 256
    .name:           _ZN12_GLOBAL__N_135rocblas_gemm_batched_general_kernelIfLi16ELi16ELi32ELi32ELi8ELi32ELi8ELi8ELi32ELc78ELc67EKfS1_fEEvlllT_PT11_llS4_llS2_PT12_llPT13_lli
    .private_segment_fixed_size: 0
    .sgpr_count:     36
    .sgpr_spill_count: 0
    .symbol:         _ZN12_GLOBAL__N_135rocblas_gemm_batched_general_kernelIfLi16ELi16ELi32ELi32ELi8ELi32ELi8ELi8ELi32ELc78ELc67EKfS1_fEEvlllT_PT11_llS4_llS2_PT12_llPT13_lli.kd
    .uniform_work_group_size: 1
    .uses_dynamic_stack: false
    .vgpr_count:     44
    .vgpr_spill_count: 0
    .wavefront_size: 32
    .workgroup_processor_mode: 1
  - .args:
      - .offset:         0
        .size:           8
        .value_kind:     by_value
      - .offset:         8
        .size:           8
        .value_kind:     by_value
      - .offset:         16
        .size:           8
        .value_kind:     by_value
      - .offset:         24
        .size:           4
        .value_kind:     by_value
      - .address_space:  global
        .offset:         32
        .size:           8
        .value_kind:     global_buffer
      - .offset:         40
        .size:           8
        .value_kind:     by_value
      - .offset:         48
        .size:           8
        .value_kind:     by_value
      - .address_space:  global
        .offset:         56
        .size:           8
        .value_kind:     global_buffer
      - .offset:         64
        .size:           8
        .value_kind:     by_value
      - .offset:         72
        .size:           8
        .value_kind:     by_value
      - .offset:         80
        .size:           4
        .value_kind:     by_value
      - .address_space:  global
        .offset:         88
        .size:           8
        .value_kind:     global_buffer
      - .offset:         96
        .size:           8
        .value_kind:     by_value
      - .offset:         104
        .size:           8
        .value_kind:     by_value
      - .address_space:  global
        .offset:         112
        .size:           8
        .value_kind:     global_buffer
      - .offset:         120
        .size:           8
        .value_kind:     by_value
      - .offset:         128
        .size:           8
        .value_kind:     by_value
      - .offset:         136
        .size:           4
        .value_kind:     by_value
    .group_segment_fixed_size: 2048
    .kernarg_segment_align: 8
    .kernarg_segment_size: 140
    .language:       OpenCL C
    .language_version:
      - 2
      - 0
    .max_flat_workgroup_size: 256
    .name:           _ZN12_GLOBAL__N_135rocblas_gemm_batched_general_kernelIfLi16ELi16ELi32ELi32ELi8ELi32ELi8ELi8ELi32ELc84ELc67EKfS1_fEEvlllT_PT11_llS4_llS2_PT12_llPT13_lli
    .private_segment_fixed_size: 0
    .sgpr_count:     32
    .sgpr_spill_count: 0
    .symbol:         _ZN12_GLOBAL__N_135rocblas_gemm_batched_general_kernelIfLi16ELi16ELi32ELi32ELi8ELi32ELi8ELi8ELi32ELc84ELc67EKfS1_fEEvlllT_PT11_llS4_llS2_PT12_llPT13_lli.kd
    .uniform_work_group_size: 1
    .uses_dynamic_stack: false
    .vgpr_count:     44
    .vgpr_spill_count: 0
    .wavefront_size: 32
    .workgroup_processor_mode: 1
  - .args:
      - .offset:         0
        .size:           4
        .value_kind:     by_value
      - .offset:         4
        .size:           4
        .value_kind:     by_value
      - .offset:         8
        .size:           8
        .value_kind:     by_value
      - .address_space:  global
        .offset:         16
        .size:           8
        .value_kind:     global_buffer
      - .offset:         24
        .size:           8
        .value_kind:     by_value
      - .offset:         32
        .size:           8
        .value_kind:     by_value
      - .offset:         40
        .size:           8
        .value_kind:     by_value
      - .offset:         48
        .size:           4
        .value_kind:     by_value
    .group_segment_fixed_size: 0
    .kernarg_segment_align: 8
    .kernarg_segment_size: 52
    .language:       OpenCL C
    .language_version:
      - 2
      - 0
    .max_flat_workgroup_size: 1024
    .name:           _ZN12_GLOBAL__N_125rocblas_gemm_scale_kernelILi32ELi32EdPdEEviiT1_T2_llli
    .private_segment_fixed_size: 0
    .sgpr_count:     22
    .sgpr_spill_count: 0
    .symbol:         _ZN12_GLOBAL__N_125rocblas_gemm_scale_kernelILi32ELi32EdPdEEviiT1_T2_llli.kd
    .uniform_work_group_size: 1
    .uses_dynamic_stack: false
    .vgpr_count:     6
    .vgpr_spill_count: 0
    .wavefront_size: 32
    .workgroup_processor_mode: 1
  - .args:
      - .offset:         0
        .size:           4
        .value_kind:     by_value
      - .offset:         4
        .size:           4
        .value_kind:     by_value
      - .offset:         8
        .size:           8
        .value_kind:     by_value
      - .address_space:  global
        .offset:         16
        .size:           8
        .value_kind:     global_buffer
      - .offset:         24
        .size:           8
        .value_kind:     by_value
      - .offset:         32
        .size:           8
        .value_kind:     by_value
      - .offset:         40
        .size:           8
        .value_kind:     by_value
      - .address_space:  global
        .offset:         48
        .size:           8
        .value_kind:     global_buffer
      - .offset:         56
        .size:           8
        .value_kind:     by_value
      - .offset:         64
        .size:           8
        .value_kind:     by_value
      - .offset:         72
        .size:           8
        .value_kind:     by_value
      - .offset:         80
        .size:           4
        .value_kind:     by_value
    .group_segment_fixed_size: 0
    .kernarg_segment_align: 8
    .kernarg_segment_size: 84
    .language:       OpenCL C
    .language_version:
      - 2
      - 0
    .max_flat_workgroup_size: 1024
    .name:           _ZN12_GLOBAL__N_120gemm_ex_scale_kernelILi32ELi32EdPKdPdEEviiT1_T2_lllT3_llli
    .private_segment_fixed_size: 0
    .sgpr_count:     30
    .sgpr_spill_count: 0
    .symbol:         _ZN12_GLOBAL__N_120gemm_ex_scale_kernelILi32ELi32EdPKdPdEEviiT1_T2_lllT3_llli.kd
    .uniform_work_group_size: 1
    .uses_dynamic_stack: false
    .vgpr_count:     8
    .vgpr_spill_count: 0
    .wavefront_size: 32
    .workgroup_processor_mode: 1
  - .args:
      - .offset:         0
        .size:           8
        .value_kind:     by_value
      - .offset:         8
        .size:           8
        .value_kind:     by_value
      - .offset:         16
        .size:           8
        .value_kind:     by_value
      - .offset:         24
        .size:           8
        .value_kind:     by_value
      - .address_space:  global
        .offset:         32
        .size:           8
        .value_kind:     global_buffer
      - .offset:         40
        .size:           8
        .value_kind:     by_value
      - .offset:         48
        .size:           8
        .value_kind:     by_value
      - .address_space:  global
        .offset:         56
        .size:           8
        .value_kind:     global_buffer
      - .offset:         64
        .size:           8
        .value_kind:     by_value
      - .offset:         72
        .size:           8
        .value_kind:     by_value
      - .offset:         80
        .size:           8
        .value_kind:     by_value
      - .address_space:  global
        .offset:         88
        .size:           8
        .value_kind:     global_buffer
      - .offset:         96
        .size:           8
        .value_kind:     by_value
      - .offset:         104
        .size:           8
        .value_kind:     by_value
      - .address_space:  global
        .offset:         112
        .size:           8
        .value_kind:     global_buffer
      - .offset:         120
        .size:           8
        .value_kind:     by_value
      - .offset:         128
        .size:           8
        .value_kind:     by_value
      - .offset:         136
        .size:           4
        .value_kind:     by_value
    .group_segment_fixed_size: 4096
    .kernarg_segment_align: 8
    .kernarg_segment_size: 140
    .language:       OpenCL C
    .language_version:
      - 2
      - 0
    .max_flat_workgroup_size: 256
    .name:           _ZN12_GLOBAL__N_127rocblas_gemm_batched_kernelIdLi16ELi16ELi64ELi64ELi4ELi64ELi4ELi4ELi64ELc78ELc78EKdS1_dEEvlllT_PT11_llS4_llS2_PT12_llPT13_lli
    .private_segment_fixed_size: 0
    .sgpr_count:     32
    .sgpr_spill_count: 0
    .symbol:         _ZN12_GLOBAL__N_127rocblas_gemm_batched_kernelIdLi16ELi16ELi64ELi64ELi4ELi64ELi4ELi4ELi64ELc78ELc78EKdS1_dEEvlllT_PT11_llS4_llS2_PT12_llPT13_lli.kd
    .uniform_work_group_size: 1
    .uses_dynamic_stack: false
    .vgpr_count:     78
    .vgpr_spill_count: 0
    .wavefront_size: 32
    .workgroup_processor_mode: 1
  - .args:
      - .offset:         0
        .size:           8
        .value_kind:     by_value
      - .offset:         8
        .size:           8
        .value_kind:     by_value
      - .offset:         16
        .size:           8
        .value_kind:     by_value
      - .offset:         24
        .size:           8
        .value_kind:     by_value
      - .address_space:  global
        .offset:         32
        .size:           8
        .value_kind:     global_buffer
      - .offset:         40
        .size:           8
        .value_kind:     by_value
      - .offset:         48
        .size:           8
        .value_kind:     by_value
      - .address_space:  global
        .offset:         56
        .size:           8
        .value_kind:     global_buffer
      - .offset:         64
        .size:           8
        .value_kind:     by_value
      - .offset:         72
        .size:           8
        .value_kind:     by_value
      - .offset:         80
        .size:           8
        .value_kind:     by_value
      - .address_space:  global
        .offset:         88
        .size:           8
        .value_kind:     global_buffer
      - .offset:         96
        .size:           8
        .value_kind:     by_value
      - .offset:         104
        .size:           8
        .value_kind:     by_value
      - .address_space:  global
        .offset:         112
        .size:           8
        .value_kind:     global_buffer
      - .offset:         120
        .size:           8
        .value_kind:     by_value
      - .offset:         128
        .size:           8
        .value_kind:     by_value
      - .offset:         136
        .size:           4
        .value_kind:     by_value
    .group_segment_fixed_size: 4096
    .kernarg_segment_align: 8
    .kernarg_segment_size: 140
    .language:       OpenCL C
    .language_version:
      - 2
      - 0
    .max_flat_workgroup_size: 256
    .name:           _ZN12_GLOBAL__N_127rocblas_gemm_batched_kernelIdLi16ELi16ELi64ELi64ELi4ELi64ELi4ELi4ELi64ELc84ELc78EKdS1_dEEvlllT_PT11_llS4_llS2_PT12_llPT13_lli
    .private_segment_fixed_size: 0
    .sgpr_count:     32
    .sgpr_spill_count: 0
    .symbol:         _ZN12_GLOBAL__N_127rocblas_gemm_batched_kernelIdLi16ELi16ELi64ELi64ELi4ELi64ELi4ELi4ELi64ELc84ELc78EKdS1_dEEvlllT_PT11_llS4_llS2_PT12_llPT13_lli.kd
    .uniform_work_group_size: 1
    .uses_dynamic_stack: false
    .vgpr_count:     78
    .vgpr_spill_count: 0
    .wavefront_size: 32
    .workgroup_processor_mode: 1
  - .args:
      - .offset:         0
        .size:           8
        .value_kind:     by_value
      - .offset:         8
        .size:           8
        .value_kind:     by_value
      - .offset:         16
        .size:           8
        .value_kind:     by_value
      - .offset:         24
        .size:           8
        .value_kind:     by_value
      - .address_space:  global
        .offset:         32
        .size:           8
        .value_kind:     global_buffer
      - .offset:         40
        .size:           8
        .value_kind:     by_value
      - .offset:         48
        .size:           8
        .value_kind:     by_value
      - .address_space:  global
        .offset:         56
        .size:           8
        .value_kind:     global_buffer
      - .offset:         64
        .size:           8
        .value_kind:     by_value
      - .offset:         72
        .size:           8
        .value_kind:     by_value
      - .offset:         80
        .size:           8
        .value_kind:     by_value
      - .address_space:  global
        .offset:         88
        .size:           8
        .value_kind:     global_buffer
      - .offset:         96
        .size:           8
        .value_kind:     by_value
      - .offset:         104
        .size:           8
        .value_kind:     by_value
      - .address_space:  global
        .offset:         112
        .size:           8
        .value_kind:     global_buffer
      - .offset:         120
        .size:           8
        .value_kind:     by_value
      - .offset:         128
        .size:           8
        .value_kind:     by_value
      - .offset:         136
        .size:           4
        .value_kind:     by_value
    .group_segment_fixed_size: 4096
    .kernarg_segment_align: 8
    .kernarg_segment_size: 140
    .language:       OpenCL C
    .language_version:
      - 2
      - 0
    .max_flat_workgroup_size: 256
    .name:           _ZN12_GLOBAL__N_127rocblas_gemm_batched_kernelIdLi16ELi16ELi64ELi64ELi4ELi64ELi4ELi4ELi64ELc78ELc84EKdS1_dEEvlllT_PT11_llS4_llS2_PT12_llPT13_lli
    .private_segment_fixed_size: 0
    .sgpr_count:     32
    .sgpr_spill_count: 0
    .symbol:         _ZN12_GLOBAL__N_127rocblas_gemm_batched_kernelIdLi16ELi16ELi64ELi64ELi4ELi64ELi4ELi4ELi64ELc78ELc84EKdS1_dEEvlllT_PT11_llS4_llS2_PT12_llPT13_lli.kd
    .uniform_work_group_size: 1
    .uses_dynamic_stack: false
    .vgpr_count:     78
    .vgpr_spill_count: 0
    .wavefront_size: 32
    .workgroup_processor_mode: 1
  - .args:
      - .offset:         0
        .size:           8
        .value_kind:     by_value
      - .offset:         8
        .size:           8
        .value_kind:     by_value
      - .offset:         16
        .size:           8
        .value_kind:     by_value
      - .offset:         24
        .size:           8
        .value_kind:     by_value
      - .address_space:  global
        .offset:         32
        .size:           8
        .value_kind:     global_buffer
      - .offset:         40
        .size:           8
        .value_kind:     by_value
      - .offset:         48
        .size:           8
        .value_kind:     by_value
      - .address_space:  global
        .offset:         56
        .size:           8
        .value_kind:     global_buffer
      - .offset:         64
        .size:           8
        .value_kind:     by_value
      - .offset:         72
        .size:           8
        .value_kind:     by_value
      - .offset:         80
        .size:           8
        .value_kind:     by_value
      - .address_space:  global
        .offset:         88
        .size:           8
        .value_kind:     global_buffer
      - .offset:         96
        .size:           8
        .value_kind:     by_value
      - .offset:         104
        .size:           8
        .value_kind:     by_value
      - .address_space:  global
        .offset:         112
        .size:           8
        .value_kind:     global_buffer
      - .offset:         120
        .size:           8
        .value_kind:     by_value
      - .offset:         128
        .size:           8
        .value_kind:     by_value
      - .offset:         136
        .size:           4
        .value_kind:     by_value
    .group_segment_fixed_size: 4096
    .kernarg_segment_align: 8
    .kernarg_segment_size: 140
    .language:       OpenCL C
    .language_version:
      - 2
      - 0
    .max_flat_workgroup_size: 256
    .name:           _ZN12_GLOBAL__N_127rocblas_gemm_batched_kernelIdLi16ELi16ELi64ELi64ELi4ELi64ELi4ELi4ELi64ELc84ELc84EKdS1_dEEvlllT_PT11_llS4_llS2_PT12_llPT13_lli
    .private_segment_fixed_size: 0
    .sgpr_count:     32
    .sgpr_spill_count: 0
    .symbol:         _ZN12_GLOBAL__N_127rocblas_gemm_batched_kernelIdLi16ELi16ELi64ELi64ELi4ELi64ELi4ELi4ELi64ELc84ELc84EKdS1_dEEvlllT_PT11_llS4_llS2_PT12_llPT13_lli.kd
    .uniform_work_group_size: 1
    .uses_dynamic_stack: false
    .vgpr_count:     78
    .vgpr_spill_count: 0
    .wavefront_size: 32
    .workgroup_processor_mode: 1
  - .args:
      - .offset:         0
        .size:           8
        .value_kind:     by_value
      - .offset:         8
        .size:           8
        .value_kind:     by_value
      - .offset:         16
        .size:           8
        .value_kind:     by_value
      - .offset:         24
        .size:           8
        .value_kind:     by_value
      - .address_space:  global
        .offset:         32
        .size:           8
        .value_kind:     global_buffer
      - .offset:         40
        .size:           8
        .value_kind:     by_value
      - .offset:         48
        .size:           8
        .value_kind:     by_value
      - .address_space:  global
        .offset:         56
        .size:           8
        .value_kind:     global_buffer
      - .offset:         64
        .size:           8
        .value_kind:     by_value
      - .offset:         72
        .size:           8
        .value_kind:     by_value
      - .offset:         80
        .size:           8
        .value_kind:     by_value
      - .address_space:  global
        .offset:         88
        .size:           8
        .value_kind:     global_buffer
      - .offset:         96
        .size:           8
        .value_kind:     by_value
      - .offset:         104
        .size:           8
        .value_kind:     by_value
      - .address_space:  global
        .offset:         112
        .size:           8
        .value_kind:     global_buffer
      - .offset:         120
        .size:           8
        .value_kind:     by_value
      - .offset:         128
        .size:           8
        .value_kind:     by_value
      - .offset:         136
        .size:           4
        .value_kind:     by_value
    .group_segment_fixed_size: 4096
    .kernarg_segment_align: 8
    .kernarg_segment_size: 140
    .language:       OpenCL C
    .language_version:
      - 2
      - 0
    .max_flat_workgroup_size: 256
    .name:           _ZN12_GLOBAL__N_127rocblas_gemm_batched_kernelIdLi16ELi16ELi64ELi64ELi4ELi64ELi4ELi4ELi64ELc67ELc67EKdS1_dEEvlllT_PT11_llS4_llS2_PT12_llPT13_lli
    .private_segment_fixed_size: 0
    .sgpr_count:     32
    .sgpr_spill_count: 0
    .symbol:         _ZN12_GLOBAL__N_127rocblas_gemm_batched_kernelIdLi16ELi16ELi64ELi64ELi4ELi64ELi4ELi4ELi64ELc67ELc67EKdS1_dEEvlllT_PT11_llS4_llS2_PT12_llPT13_lli.kd
    .uniform_work_group_size: 1
    .uses_dynamic_stack: false
    .vgpr_count:     78
    .vgpr_spill_count: 0
    .wavefront_size: 32
    .workgroup_processor_mode: 1
  - .args:
      - .offset:         0
        .size:           8
        .value_kind:     by_value
      - .offset:         8
        .size:           8
        .value_kind:     by_value
      - .offset:         16
        .size:           8
        .value_kind:     by_value
      - .offset:         24
        .size:           8
        .value_kind:     by_value
      - .address_space:  global
        .offset:         32
        .size:           8
        .value_kind:     global_buffer
      - .offset:         40
        .size:           8
        .value_kind:     by_value
      - .offset:         48
        .size:           8
        .value_kind:     by_value
      - .address_space:  global
        .offset:         56
        .size:           8
        .value_kind:     global_buffer
      - .offset:         64
        .size:           8
        .value_kind:     by_value
      - .offset:         72
        .size:           8
        .value_kind:     by_value
      - .offset:         80
        .size:           8
        .value_kind:     by_value
      - .address_space:  global
        .offset:         88
        .size:           8
        .value_kind:     global_buffer
      - .offset:         96
        .size:           8
        .value_kind:     by_value
      - .offset:         104
        .size:           8
        .value_kind:     by_value
      - .address_space:  global
        .offset:         112
        .size:           8
        .value_kind:     global_buffer
      - .offset:         120
        .size:           8
        .value_kind:     by_value
      - .offset:         128
        .size:           8
        .value_kind:     by_value
      - .offset:         136
        .size:           4
        .value_kind:     by_value
    .group_segment_fixed_size: 4096
    .kernarg_segment_align: 8
    .kernarg_segment_size: 140
    .language:       OpenCL C
    .language_version:
      - 2
      - 0
    .max_flat_workgroup_size: 256
    .name:           _ZN12_GLOBAL__N_127rocblas_gemm_batched_kernelIdLi16ELi16ELi64ELi64ELi4ELi64ELi4ELi4ELi64ELc67ELc78EKdS1_dEEvlllT_PT11_llS4_llS2_PT12_llPT13_lli
    .private_segment_fixed_size: 0
    .sgpr_count:     32
    .sgpr_spill_count: 0
    .symbol:         _ZN12_GLOBAL__N_127rocblas_gemm_batched_kernelIdLi16ELi16ELi64ELi64ELi4ELi64ELi4ELi4ELi64ELc67ELc78EKdS1_dEEvlllT_PT11_llS4_llS2_PT12_llPT13_lli.kd
    .uniform_work_group_size: 1
    .uses_dynamic_stack: false
    .vgpr_count:     78
    .vgpr_spill_count: 0
    .wavefront_size: 32
    .workgroup_processor_mode: 1
  - .args:
      - .offset:         0
        .size:           8
        .value_kind:     by_value
      - .offset:         8
        .size:           8
        .value_kind:     by_value
      - .offset:         16
        .size:           8
        .value_kind:     by_value
      - .offset:         24
        .size:           8
        .value_kind:     by_value
      - .address_space:  global
        .offset:         32
        .size:           8
        .value_kind:     global_buffer
      - .offset:         40
        .size:           8
        .value_kind:     by_value
      - .offset:         48
        .size:           8
        .value_kind:     by_value
      - .address_space:  global
        .offset:         56
        .size:           8
        .value_kind:     global_buffer
      - .offset:         64
        .size:           8
        .value_kind:     by_value
      - .offset:         72
        .size:           8
        .value_kind:     by_value
      - .offset:         80
        .size:           8
        .value_kind:     by_value
      - .address_space:  global
        .offset:         88
        .size:           8
        .value_kind:     global_buffer
      - .offset:         96
        .size:           8
        .value_kind:     by_value
      - .offset:         104
        .size:           8
        .value_kind:     by_value
      - .address_space:  global
        .offset:         112
        .size:           8
        .value_kind:     global_buffer
      - .offset:         120
        .size:           8
        .value_kind:     by_value
      - .offset:         128
        .size:           8
        .value_kind:     by_value
      - .offset:         136
        .size:           4
        .value_kind:     by_value
    .group_segment_fixed_size: 4096
    .kernarg_segment_align: 8
    .kernarg_segment_size: 140
    .language:       OpenCL C
    .language_version:
      - 2
      - 0
    .max_flat_workgroup_size: 256
    .name:           _ZN12_GLOBAL__N_127rocblas_gemm_batched_kernelIdLi16ELi16ELi64ELi64ELi4ELi64ELi4ELi4ELi64ELc67ELc84EKdS1_dEEvlllT_PT11_llS4_llS2_PT12_llPT13_lli
    .private_segment_fixed_size: 0
    .sgpr_count:     32
    .sgpr_spill_count: 0
    .symbol:         _ZN12_GLOBAL__N_127rocblas_gemm_batched_kernelIdLi16ELi16ELi64ELi64ELi4ELi64ELi4ELi4ELi64ELc67ELc84EKdS1_dEEvlllT_PT11_llS4_llS2_PT12_llPT13_lli.kd
    .uniform_work_group_size: 1
    .uses_dynamic_stack: false
    .vgpr_count:     78
    .vgpr_spill_count: 0
    .wavefront_size: 32
    .workgroup_processor_mode: 1
  - .args:
      - .offset:         0
        .size:           8
        .value_kind:     by_value
      - .offset:         8
        .size:           8
        .value_kind:     by_value
      - .offset:         16
        .size:           8
        .value_kind:     by_value
      - .offset:         24
        .size:           8
        .value_kind:     by_value
      - .address_space:  global
        .offset:         32
        .size:           8
        .value_kind:     global_buffer
      - .offset:         40
        .size:           8
        .value_kind:     by_value
      - .offset:         48
        .size:           8
        .value_kind:     by_value
      - .address_space:  global
        .offset:         56
        .size:           8
        .value_kind:     global_buffer
      - .offset:         64
        .size:           8
        .value_kind:     by_value
      - .offset:         72
        .size:           8
        .value_kind:     by_value
      - .offset:         80
        .size:           8
        .value_kind:     by_value
      - .address_space:  global
        .offset:         88
        .size:           8
        .value_kind:     global_buffer
      - .offset:         96
        .size:           8
        .value_kind:     by_value
      - .offset:         104
        .size:           8
        .value_kind:     by_value
      - .address_space:  global
        .offset:         112
        .size:           8
        .value_kind:     global_buffer
      - .offset:         120
        .size:           8
        .value_kind:     by_value
      - .offset:         128
        .size:           8
        .value_kind:     by_value
      - .offset:         136
        .size:           4
        .value_kind:     by_value
    .group_segment_fixed_size: 4096
    .kernarg_segment_align: 8
    .kernarg_segment_size: 140
    .language:       OpenCL C
    .language_version:
      - 2
      - 0
    .max_flat_workgroup_size: 256
    .name:           _ZN12_GLOBAL__N_127rocblas_gemm_batched_kernelIdLi16ELi16ELi64ELi64ELi4ELi64ELi4ELi4ELi64ELc78ELc67EKdS1_dEEvlllT_PT11_llS4_llS2_PT12_llPT13_lli
    .private_segment_fixed_size: 0
    .sgpr_count:     32
    .sgpr_spill_count: 0
    .symbol:         _ZN12_GLOBAL__N_127rocblas_gemm_batched_kernelIdLi16ELi16ELi64ELi64ELi4ELi64ELi4ELi4ELi64ELc78ELc67EKdS1_dEEvlllT_PT11_llS4_llS2_PT12_llPT13_lli.kd
    .uniform_work_group_size: 1
    .uses_dynamic_stack: false
    .vgpr_count:     78
    .vgpr_spill_count: 0
    .wavefront_size: 32
    .workgroup_processor_mode: 1
  - .args:
      - .offset:         0
        .size:           8
        .value_kind:     by_value
      - .offset:         8
        .size:           8
        .value_kind:     by_value
      - .offset:         16
        .size:           8
        .value_kind:     by_value
      - .offset:         24
        .size:           8
        .value_kind:     by_value
      - .address_space:  global
        .offset:         32
        .size:           8
        .value_kind:     global_buffer
      - .offset:         40
        .size:           8
        .value_kind:     by_value
      - .offset:         48
        .size:           8
        .value_kind:     by_value
      - .address_space:  global
        .offset:         56
        .size:           8
        .value_kind:     global_buffer
      - .offset:         64
        .size:           8
        .value_kind:     by_value
      - .offset:         72
        .size:           8
        .value_kind:     by_value
      - .offset:         80
        .size:           8
        .value_kind:     by_value
      - .address_space:  global
        .offset:         88
        .size:           8
        .value_kind:     global_buffer
      - .offset:         96
        .size:           8
        .value_kind:     by_value
      - .offset:         104
        .size:           8
        .value_kind:     by_value
      - .address_space:  global
        .offset:         112
        .size:           8
        .value_kind:     global_buffer
      - .offset:         120
        .size:           8
        .value_kind:     by_value
      - .offset:         128
        .size:           8
        .value_kind:     by_value
      - .offset:         136
        .size:           4
        .value_kind:     by_value
    .group_segment_fixed_size: 4096
    .kernarg_segment_align: 8
    .kernarg_segment_size: 140
    .language:       OpenCL C
    .language_version:
      - 2
      - 0
    .max_flat_workgroup_size: 256
    .name:           _ZN12_GLOBAL__N_127rocblas_gemm_batched_kernelIdLi16ELi16ELi64ELi64ELi4ELi64ELi4ELi4ELi64ELc84ELc67EKdS1_dEEvlllT_PT11_llS4_llS2_PT12_llPT13_lli
    .private_segment_fixed_size: 0
    .sgpr_count:     32
    .sgpr_spill_count: 0
    .symbol:         _ZN12_GLOBAL__N_127rocblas_gemm_batched_kernelIdLi16ELi16ELi64ELi64ELi4ELi64ELi4ELi4ELi64ELc84ELc67EKdS1_dEEvlllT_PT11_llS4_llS2_PT12_llPT13_lli.kd
    .uniform_work_group_size: 1
    .uses_dynamic_stack: false
    .vgpr_count:     78
    .vgpr_spill_count: 0
    .wavefront_size: 32
    .workgroup_processor_mode: 1
  - .args:
      - .offset:         0
        .size:           8
        .value_kind:     by_value
      - .offset:         8
        .size:           8
        .value_kind:     by_value
      - .offset:         16
        .size:           8
        .value_kind:     by_value
      - .offset:         24
        .size:           8
        .value_kind:     by_value
      - .address_space:  global
        .offset:         32
        .size:           8
        .value_kind:     global_buffer
      - .offset:         40
        .size:           8
        .value_kind:     by_value
      - .offset:         48
        .size:           8
        .value_kind:     by_value
      - .address_space:  global
        .offset:         56
        .size:           8
        .value_kind:     global_buffer
      - .offset:         64
        .size:           8
        .value_kind:     by_value
      - .offset:         72
        .size:           8
        .value_kind:     by_value
      - .offset:         80
        .size:           8
        .value_kind:     by_value
      - .address_space:  global
        .offset:         88
        .size:           8
        .value_kind:     global_buffer
      - .offset:         96
        .size:           8
        .value_kind:     by_value
      - .offset:         104
        .size:           8
        .value_kind:     by_value
      - .address_space:  global
        .offset:         112
        .size:           8
        .value_kind:     global_buffer
      - .offset:         120
        .size:           8
        .value_kind:     by_value
      - .offset:         128
        .size:           8
        .value_kind:     by_value
      - .offset:         136
        .size:           4
        .value_kind:     by_value
    .group_segment_fixed_size: 4096
    .kernarg_segment_align: 8
    .kernarg_segment_size: 140
    .language:       OpenCL C
    .language_version:
      - 2
      - 0
    .max_flat_workgroup_size: 256
    .name:           _ZN12_GLOBAL__N_127rocblas_gemm_batched_kernelIdLi16ELi16ELi32ELi32ELi8ELi32ELi8ELi8ELi32ELc78ELc78EKdS1_dEEvlllT_PT11_llS4_llS2_PT12_llPT13_lli
    .private_segment_fixed_size: 0
    .sgpr_count:     32
    .sgpr_spill_count: 0
    .symbol:         _ZN12_GLOBAL__N_127rocblas_gemm_batched_kernelIdLi16ELi16ELi32ELi32ELi8ELi32ELi8ELi8ELi32ELc78ELc78EKdS1_dEEvlllT_PT11_llS4_llS2_PT12_llPT13_lli.kd
    .uniform_work_group_size: 1
    .uses_dynamic_stack: false
    .vgpr_count:     38
    .vgpr_spill_count: 0
    .wavefront_size: 32
    .workgroup_processor_mode: 1
  - .args:
      - .offset:         0
        .size:           8
        .value_kind:     by_value
      - .offset:         8
        .size:           8
        .value_kind:     by_value
      - .offset:         16
        .size:           8
        .value_kind:     by_value
      - .offset:         24
        .size:           8
        .value_kind:     by_value
      - .address_space:  global
        .offset:         32
        .size:           8
        .value_kind:     global_buffer
      - .offset:         40
        .size:           8
        .value_kind:     by_value
      - .offset:         48
        .size:           8
        .value_kind:     by_value
      - .address_space:  global
        .offset:         56
        .size:           8
        .value_kind:     global_buffer
      - .offset:         64
        .size:           8
        .value_kind:     by_value
      - .offset:         72
        .size:           8
        .value_kind:     by_value
      - .offset:         80
        .size:           8
        .value_kind:     by_value
      - .address_space:  global
        .offset:         88
        .size:           8
        .value_kind:     global_buffer
      - .offset:         96
        .size:           8
        .value_kind:     by_value
      - .offset:         104
        .size:           8
        .value_kind:     by_value
      - .address_space:  global
        .offset:         112
        .size:           8
        .value_kind:     global_buffer
      - .offset:         120
        .size:           8
        .value_kind:     by_value
      - .offset:         128
        .size:           8
        .value_kind:     by_value
      - .offset:         136
        .size:           4
        .value_kind:     by_value
    .group_segment_fixed_size: 4096
    .kernarg_segment_align: 8
    .kernarg_segment_size: 140
    .language:       OpenCL C
    .language_version:
      - 2
      - 0
    .max_flat_workgroup_size: 256
    .name:           _ZN12_GLOBAL__N_127rocblas_gemm_batched_kernelIdLi16ELi16ELi32ELi32ELi8ELi32ELi8ELi8ELi32ELc84ELc78EKdS1_dEEvlllT_PT11_llS4_llS2_PT12_llPT13_lli
    .private_segment_fixed_size: 0
    .sgpr_count:     32
    .sgpr_spill_count: 0
    .symbol:         _ZN12_GLOBAL__N_127rocblas_gemm_batched_kernelIdLi16ELi16ELi32ELi32ELi8ELi32ELi8ELi8ELi32ELc84ELc78EKdS1_dEEvlllT_PT11_llS4_llS2_PT12_llPT13_lli.kd
    .uniform_work_group_size: 1
    .uses_dynamic_stack: false
    .vgpr_count:     38
    .vgpr_spill_count: 0
    .wavefront_size: 32
    .workgroup_processor_mode: 1
  - .args:
      - .offset:         0
        .size:           8
        .value_kind:     by_value
      - .offset:         8
        .size:           8
        .value_kind:     by_value
      - .offset:         16
        .size:           8
        .value_kind:     by_value
      - .offset:         24
        .size:           8
        .value_kind:     by_value
      - .address_space:  global
        .offset:         32
        .size:           8
        .value_kind:     global_buffer
      - .offset:         40
        .size:           8
        .value_kind:     by_value
      - .offset:         48
        .size:           8
        .value_kind:     by_value
      - .address_space:  global
        .offset:         56
        .size:           8
        .value_kind:     global_buffer
      - .offset:         64
        .size:           8
        .value_kind:     by_value
      - .offset:         72
        .size:           8
        .value_kind:     by_value
      - .offset:         80
        .size:           8
        .value_kind:     by_value
      - .address_space:  global
        .offset:         88
        .size:           8
        .value_kind:     global_buffer
      - .offset:         96
        .size:           8
        .value_kind:     by_value
      - .offset:         104
        .size:           8
        .value_kind:     by_value
      - .address_space:  global
        .offset:         112
        .size:           8
        .value_kind:     global_buffer
      - .offset:         120
        .size:           8
        .value_kind:     by_value
      - .offset:         128
        .size:           8
        .value_kind:     by_value
      - .offset:         136
        .size:           4
        .value_kind:     by_value
    .group_segment_fixed_size: 4096
    .kernarg_segment_align: 8
    .kernarg_segment_size: 140
    .language:       OpenCL C
    .language_version:
      - 2
      - 0
    .max_flat_workgroup_size: 256
    .name:           _ZN12_GLOBAL__N_127rocblas_gemm_batched_kernelIdLi16ELi16ELi32ELi32ELi8ELi32ELi8ELi8ELi32ELc78ELc84EKdS1_dEEvlllT_PT11_llS4_llS2_PT12_llPT13_lli
    .private_segment_fixed_size: 0
    .sgpr_count:     32
    .sgpr_spill_count: 0
    .symbol:         _ZN12_GLOBAL__N_127rocblas_gemm_batched_kernelIdLi16ELi16ELi32ELi32ELi8ELi32ELi8ELi8ELi32ELc78ELc84EKdS1_dEEvlllT_PT11_llS4_llS2_PT12_llPT13_lli.kd
    .uniform_work_group_size: 1
    .uses_dynamic_stack: false
    .vgpr_count:     38
    .vgpr_spill_count: 0
    .wavefront_size: 32
    .workgroup_processor_mode: 1
  - .args:
      - .offset:         0
        .size:           8
        .value_kind:     by_value
      - .offset:         8
        .size:           8
        .value_kind:     by_value
      - .offset:         16
        .size:           8
        .value_kind:     by_value
      - .offset:         24
        .size:           8
        .value_kind:     by_value
      - .address_space:  global
        .offset:         32
        .size:           8
        .value_kind:     global_buffer
      - .offset:         40
        .size:           8
        .value_kind:     by_value
      - .offset:         48
        .size:           8
        .value_kind:     by_value
      - .address_space:  global
        .offset:         56
        .size:           8
        .value_kind:     global_buffer
      - .offset:         64
        .size:           8
        .value_kind:     by_value
      - .offset:         72
        .size:           8
        .value_kind:     by_value
      - .offset:         80
        .size:           8
        .value_kind:     by_value
      - .address_space:  global
        .offset:         88
        .size:           8
        .value_kind:     global_buffer
      - .offset:         96
        .size:           8
        .value_kind:     by_value
      - .offset:         104
        .size:           8
        .value_kind:     by_value
      - .address_space:  global
        .offset:         112
        .size:           8
        .value_kind:     global_buffer
      - .offset:         120
        .size:           8
        .value_kind:     by_value
      - .offset:         128
        .size:           8
        .value_kind:     by_value
      - .offset:         136
        .size:           4
        .value_kind:     by_value
    .group_segment_fixed_size: 4096
    .kernarg_segment_align: 8
    .kernarg_segment_size: 140
    .language:       OpenCL C
    .language_version:
      - 2
      - 0
    .max_flat_workgroup_size: 256
    .name:           _ZN12_GLOBAL__N_127rocblas_gemm_batched_kernelIdLi16ELi16ELi32ELi32ELi8ELi32ELi8ELi8ELi32ELc84ELc84EKdS1_dEEvlllT_PT11_llS4_llS2_PT12_llPT13_lli
    .private_segment_fixed_size: 0
    .sgpr_count:     32
    .sgpr_spill_count: 0
    .symbol:         _ZN12_GLOBAL__N_127rocblas_gemm_batched_kernelIdLi16ELi16ELi32ELi32ELi8ELi32ELi8ELi8ELi32ELc84ELc84EKdS1_dEEvlllT_PT11_llS4_llS2_PT12_llPT13_lli.kd
    .uniform_work_group_size: 1
    .uses_dynamic_stack: false
    .vgpr_count:     38
    .vgpr_spill_count: 0
    .wavefront_size: 32
    .workgroup_processor_mode: 1
  - .args:
      - .offset:         0
        .size:           8
        .value_kind:     by_value
      - .offset:         8
        .size:           8
        .value_kind:     by_value
      - .offset:         16
        .size:           8
        .value_kind:     by_value
      - .offset:         24
        .size:           8
        .value_kind:     by_value
      - .address_space:  global
        .offset:         32
        .size:           8
        .value_kind:     global_buffer
      - .offset:         40
        .size:           8
        .value_kind:     by_value
      - .offset:         48
        .size:           8
        .value_kind:     by_value
      - .address_space:  global
        .offset:         56
        .size:           8
        .value_kind:     global_buffer
      - .offset:         64
        .size:           8
        .value_kind:     by_value
      - .offset:         72
        .size:           8
        .value_kind:     by_value
      - .offset:         80
        .size:           8
        .value_kind:     by_value
      - .address_space:  global
        .offset:         88
        .size:           8
        .value_kind:     global_buffer
      - .offset:         96
        .size:           8
        .value_kind:     by_value
      - .offset:         104
        .size:           8
        .value_kind:     by_value
      - .address_space:  global
        .offset:         112
        .size:           8
        .value_kind:     global_buffer
      - .offset:         120
        .size:           8
        .value_kind:     by_value
      - .offset:         128
        .size:           8
        .value_kind:     by_value
      - .offset:         136
        .size:           4
        .value_kind:     by_value
    .group_segment_fixed_size: 4096
    .kernarg_segment_align: 8
    .kernarg_segment_size: 140
    .language:       OpenCL C
    .language_version:
      - 2
      - 0
    .max_flat_workgroup_size: 256
    .name:           _ZN12_GLOBAL__N_127rocblas_gemm_batched_kernelIdLi16ELi16ELi32ELi32ELi8ELi32ELi8ELi8ELi32ELc67ELc67EKdS1_dEEvlllT_PT11_llS4_llS2_PT12_llPT13_lli
    .private_segment_fixed_size: 0
    .sgpr_count:     32
    .sgpr_spill_count: 0
    .symbol:         _ZN12_GLOBAL__N_127rocblas_gemm_batched_kernelIdLi16ELi16ELi32ELi32ELi8ELi32ELi8ELi8ELi32ELc67ELc67EKdS1_dEEvlllT_PT11_llS4_llS2_PT12_llPT13_lli.kd
    .uniform_work_group_size: 1
    .uses_dynamic_stack: false
    .vgpr_count:     38
    .vgpr_spill_count: 0
    .wavefront_size: 32
    .workgroup_processor_mode: 1
  - .args:
      - .offset:         0
        .size:           8
        .value_kind:     by_value
      - .offset:         8
        .size:           8
        .value_kind:     by_value
      - .offset:         16
        .size:           8
        .value_kind:     by_value
      - .offset:         24
        .size:           8
        .value_kind:     by_value
      - .address_space:  global
        .offset:         32
        .size:           8
        .value_kind:     global_buffer
      - .offset:         40
        .size:           8
        .value_kind:     by_value
      - .offset:         48
        .size:           8
        .value_kind:     by_value
      - .address_space:  global
        .offset:         56
        .size:           8
        .value_kind:     global_buffer
      - .offset:         64
        .size:           8
        .value_kind:     by_value
      - .offset:         72
        .size:           8
        .value_kind:     by_value
      - .offset:         80
        .size:           8
        .value_kind:     by_value
      - .address_space:  global
        .offset:         88
        .size:           8
        .value_kind:     global_buffer
      - .offset:         96
        .size:           8
        .value_kind:     by_value
      - .offset:         104
        .size:           8
        .value_kind:     by_value
      - .address_space:  global
        .offset:         112
        .size:           8
        .value_kind:     global_buffer
      - .offset:         120
        .size:           8
        .value_kind:     by_value
      - .offset:         128
        .size:           8
        .value_kind:     by_value
      - .offset:         136
        .size:           4
        .value_kind:     by_value
    .group_segment_fixed_size: 4096
    .kernarg_segment_align: 8
    .kernarg_segment_size: 140
    .language:       OpenCL C
    .language_version:
      - 2
      - 0
    .max_flat_workgroup_size: 256
    .name:           _ZN12_GLOBAL__N_127rocblas_gemm_batched_kernelIdLi16ELi16ELi32ELi32ELi8ELi32ELi8ELi8ELi32ELc67ELc78EKdS1_dEEvlllT_PT11_llS4_llS2_PT12_llPT13_lli
    .private_segment_fixed_size: 0
    .sgpr_count:     32
    .sgpr_spill_count: 0
    .symbol:         _ZN12_GLOBAL__N_127rocblas_gemm_batched_kernelIdLi16ELi16ELi32ELi32ELi8ELi32ELi8ELi8ELi32ELc67ELc78EKdS1_dEEvlllT_PT11_llS4_llS2_PT12_llPT13_lli.kd
    .uniform_work_group_size: 1
    .uses_dynamic_stack: false
    .vgpr_count:     38
    .vgpr_spill_count: 0
    .wavefront_size: 32
    .workgroup_processor_mode: 1
  - .args:
      - .offset:         0
        .size:           8
        .value_kind:     by_value
      - .offset:         8
        .size:           8
        .value_kind:     by_value
      - .offset:         16
        .size:           8
        .value_kind:     by_value
      - .offset:         24
        .size:           8
        .value_kind:     by_value
      - .address_space:  global
        .offset:         32
        .size:           8
        .value_kind:     global_buffer
      - .offset:         40
        .size:           8
        .value_kind:     by_value
      - .offset:         48
        .size:           8
        .value_kind:     by_value
      - .address_space:  global
        .offset:         56
        .size:           8
        .value_kind:     global_buffer
      - .offset:         64
        .size:           8
        .value_kind:     by_value
      - .offset:         72
        .size:           8
        .value_kind:     by_value
      - .offset:         80
        .size:           8
        .value_kind:     by_value
      - .address_space:  global
        .offset:         88
        .size:           8
        .value_kind:     global_buffer
      - .offset:         96
        .size:           8
        .value_kind:     by_value
      - .offset:         104
        .size:           8
        .value_kind:     by_value
      - .address_space:  global
        .offset:         112
        .size:           8
        .value_kind:     global_buffer
      - .offset:         120
        .size:           8
        .value_kind:     by_value
      - .offset:         128
        .size:           8
        .value_kind:     by_value
      - .offset:         136
        .size:           4
        .value_kind:     by_value
    .group_segment_fixed_size: 4096
    .kernarg_segment_align: 8
    .kernarg_segment_size: 140
    .language:       OpenCL C
    .language_version:
      - 2
      - 0
    .max_flat_workgroup_size: 256
    .name:           _ZN12_GLOBAL__N_127rocblas_gemm_batched_kernelIdLi16ELi16ELi32ELi32ELi8ELi32ELi8ELi8ELi32ELc67ELc84EKdS1_dEEvlllT_PT11_llS4_llS2_PT12_llPT13_lli
    .private_segment_fixed_size: 0
    .sgpr_count:     32
    .sgpr_spill_count: 0
    .symbol:         _ZN12_GLOBAL__N_127rocblas_gemm_batched_kernelIdLi16ELi16ELi32ELi32ELi8ELi32ELi8ELi8ELi32ELc67ELc84EKdS1_dEEvlllT_PT11_llS4_llS2_PT12_llPT13_lli.kd
    .uniform_work_group_size: 1
    .uses_dynamic_stack: false
    .vgpr_count:     38
    .vgpr_spill_count: 0
    .wavefront_size: 32
    .workgroup_processor_mode: 1
  - .args:
      - .offset:         0
        .size:           8
        .value_kind:     by_value
      - .offset:         8
        .size:           8
        .value_kind:     by_value
      - .offset:         16
        .size:           8
        .value_kind:     by_value
      - .offset:         24
        .size:           8
        .value_kind:     by_value
      - .address_space:  global
        .offset:         32
        .size:           8
        .value_kind:     global_buffer
      - .offset:         40
        .size:           8
        .value_kind:     by_value
      - .offset:         48
        .size:           8
        .value_kind:     by_value
      - .address_space:  global
        .offset:         56
        .size:           8
        .value_kind:     global_buffer
      - .offset:         64
        .size:           8
        .value_kind:     by_value
      - .offset:         72
        .size:           8
        .value_kind:     by_value
      - .offset:         80
        .size:           8
        .value_kind:     by_value
      - .address_space:  global
        .offset:         88
        .size:           8
        .value_kind:     global_buffer
      - .offset:         96
        .size:           8
        .value_kind:     by_value
      - .offset:         104
        .size:           8
        .value_kind:     by_value
      - .address_space:  global
        .offset:         112
        .size:           8
        .value_kind:     global_buffer
      - .offset:         120
        .size:           8
        .value_kind:     by_value
      - .offset:         128
        .size:           8
        .value_kind:     by_value
      - .offset:         136
        .size:           4
        .value_kind:     by_value
    .group_segment_fixed_size: 4096
    .kernarg_segment_align: 8
    .kernarg_segment_size: 140
    .language:       OpenCL C
    .language_version:
      - 2
      - 0
    .max_flat_workgroup_size: 256
    .name:           _ZN12_GLOBAL__N_127rocblas_gemm_batched_kernelIdLi16ELi16ELi32ELi32ELi8ELi32ELi8ELi8ELi32ELc78ELc67EKdS1_dEEvlllT_PT11_llS4_llS2_PT12_llPT13_lli
    .private_segment_fixed_size: 0
    .sgpr_count:     32
    .sgpr_spill_count: 0
    .symbol:         _ZN12_GLOBAL__N_127rocblas_gemm_batched_kernelIdLi16ELi16ELi32ELi32ELi8ELi32ELi8ELi8ELi32ELc78ELc67EKdS1_dEEvlllT_PT11_llS4_llS2_PT12_llPT13_lli.kd
    .uniform_work_group_size: 1
    .uses_dynamic_stack: false
    .vgpr_count:     38
    .vgpr_spill_count: 0
    .wavefront_size: 32
    .workgroup_processor_mode: 1
  - .args:
      - .offset:         0
        .size:           8
        .value_kind:     by_value
      - .offset:         8
        .size:           8
        .value_kind:     by_value
      - .offset:         16
        .size:           8
        .value_kind:     by_value
      - .offset:         24
        .size:           8
        .value_kind:     by_value
      - .address_space:  global
        .offset:         32
        .size:           8
        .value_kind:     global_buffer
      - .offset:         40
        .size:           8
        .value_kind:     by_value
      - .offset:         48
        .size:           8
        .value_kind:     by_value
      - .address_space:  global
        .offset:         56
        .size:           8
        .value_kind:     global_buffer
      - .offset:         64
        .size:           8
        .value_kind:     by_value
      - .offset:         72
        .size:           8
        .value_kind:     by_value
      - .offset:         80
        .size:           8
        .value_kind:     by_value
      - .address_space:  global
        .offset:         88
        .size:           8
        .value_kind:     global_buffer
      - .offset:         96
        .size:           8
        .value_kind:     by_value
      - .offset:         104
        .size:           8
        .value_kind:     by_value
      - .address_space:  global
        .offset:         112
        .size:           8
        .value_kind:     global_buffer
      - .offset:         120
        .size:           8
        .value_kind:     by_value
      - .offset:         128
        .size:           8
        .value_kind:     by_value
      - .offset:         136
        .size:           4
        .value_kind:     by_value
    .group_segment_fixed_size: 4096
    .kernarg_segment_align: 8
    .kernarg_segment_size: 140
    .language:       OpenCL C
    .language_version:
      - 2
      - 0
    .max_flat_workgroup_size: 256
    .name:           _ZN12_GLOBAL__N_127rocblas_gemm_batched_kernelIdLi16ELi16ELi32ELi32ELi8ELi32ELi8ELi8ELi32ELc84ELc67EKdS1_dEEvlllT_PT11_llS4_llS2_PT12_llPT13_lli
    .private_segment_fixed_size: 0
    .sgpr_count:     32
    .sgpr_spill_count: 0
    .symbol:         _ZN12_GLOBAL__N_127rocblas_gemm_batched_kernelIdLi16ELi16ELi32ELi32ELi8ELi32ELi8ELi8ELi32ELc84ELc67EKdS1_dEEvlllT_PT11_llS4_llS2_PT12_llPT13_lli.kd
    .uniform_work_group_size: 1
    .uses_dynamic_stack: false
    .vgpr_count:     38
    .vgpr_spill_count: 0
    .wavefront_size: 32
    .workgroup_processor_mode: 1
  - .args:
      - .offset:         0
        .size:           8
        .value_kind:     by_value
      - .offset:         8
        .size:           8
        .value_kind:     by_value
      - .offset:         16
        .size:           8
        .value_kind:     by_value
      - .offset:         24
        .size:           8
        .value_kind:     by_value
      - .address_space:  global
        .offset:         32
        .size:           8
        .value_kind:     global_buffer
      - .offset:         40
        .size:           8
        .value_kind:     by_value
      - .offset:         48
        .size:           8
        .value_kind:     by_value
      - .address_space:  global
        .offset:         56
        .size:           8
        .value_kind:     global_buffer
      - .offset:         64
        .size:           8
        .value_kind:     by_value
      - .offset:         72
        .size:           8
        .value_kind:     by_value
      - .offset:         80
        .size:           8
        .value_kind:     by_value
      - .address_space:  global
        .offset:         88
        .size:           8
        .value_kind:     global_buffer
      - .offset:         96
        .size:           8
        .value_kind:     by_value
      - .offset:         104
        .size:           8
        .value_kind:     by_value
      - .address_space:  global
        .offset:         112
        .size:           8
        .value_kind:     global_buffer
      - .offset:         120
        .size:           8
        .value_kind:     by_value
      - .offset:         128
        .size:           8
        .value_kind:     by_value
      - .offset:         136
        .size:           4
        .value_kind:     by_value
    .group_segment_fixed_size: 4096
    .kernarg_segment_align: 8
    .kernarg_segment_size: 140
    .language:       OpenCL C
    .language_version:
      - 2
      - 0
    .max_flat_workgroup_size: 256
    .name:           _ZN12_GLOBAL__N_135rocblas_gemm_batched_general_kernelIdLi16ELi16ELi32ELi32ELi8ELi32ELi8ELi8ELi32ELc78ELc78EKdS1_dEEvlllT_PT11_llS4_llS2_PT12_llPT13_lli
    .private_segment_fixed_size: 0
    .sgpr_count:     54
    .sgpr_spill_count: 0
    .symbol:         _ZN12_GLOBAL__N_135rocblas_gemm_batched_general_kernelIdLi16ELi16ELi32ELi32ELi8ELi32ELi8ELi8ELi32ELc78ELc78EKdS1_dEEvlllT_PT11_llS4_llS2_PT12_llPT13_lli.kd
    .uniform_work_group_size: 1
    .uses_dynamic_stack: false
    .vgpr_count:     44
    .vgpr_spill_count: 0
    .wavefront_size: 32
    .workgroup_processor_mode: 1
  - .args:
      - .offset:         0
        .size:           8
        .value_kind:     by_value
      - .offset:         8
        .size:           8
        .value_kind:     by_value
      - .offset:         16
        .size:           8
        .value_kind:     by_value
      - .offset:         24
        .size:           8
        .value_kind:     by_value
      - .address_space:  global
        .offset:         32
        .size:           8
        .value_kind:     global_buffer
      - .offset:         40
        .size:           8
        .value_kind:     by_value
      - .offset:         48
        .size:           8
        .value_kind:     by_value
      - .address_space:  global
        .offset:         56
        .size:           8
        .value_kind:     global_buffer
      - .offset:         64
        .size:           8
        .value_kind:     by_value
      - .offset:         72
        .size:           8
        .value_kind:     by_value
      - .offset:         80
        .size:           8
        .value_kind:     by_value
      - .address_space:  global
        .offset:         88
        .size:           8
        .value_kind:     global_buffer
      - .offset:         96
        .size:           8
        .value_kind:     by_value
      - .offset:         104
        .size:           8
        .value_kind:     by_value
      - .address_space:  global
        .offset:         112
        .size:           8
        .value_kind:     global_buffer
      - .offset:         120
        .size:           8
        .value_kind:     by_value
      - .offset:         128
        .size:           8
        .value_kind:     by_value
      - .offset:         136
        .size:           4
        .value_kind:     by_value
    .group_segment_fixed_size: 4096
    .kernarg_segment_align: 8
    .kernarg_segment_size: 140
    .language:       OpenCL C
    .language_version:
      - 2
      - 0
    .max_flat_workgroup_size: 256
    .name:           _ZN12_GLOBAL__N_135rocblas_gemm_batched_general_kernelIdLi16ELi16ELi32ELi32ELi8ELi32ELi8ELi8ELi32ELc84ELc78EKdS1_dEEvlllT_PT11_llS4_llS2_PT12_llPT13_lli
    .private_segment_fixed_size: 0
    .sgpr_count:     54
    .sgpr_spill_count: 0
    .symbol:         _ZN12_GLOBAL__N_135rocblas_gemm_batched_general_kernelIdLi16ELi16ELi32ELi32ELi8ELi32ELi8ELi8ELi32ELc84ELc78EKdS1_dEEvlllT_PT11_llS4_llS2_PT12_llPT13_lli.kd
    .uniform_work_group_size: 1
    .uses_dynamic_stack: false
    .vgpr_count:     44
    .vgpr_spill_count: 0
    .wavefront_size: 32
    .workgroup_processor_mode: 1
  - .args:
      - .offset:         0
        .size:           8
        .value_kind:     by_value
      - .offset:         8
        .size:           8
        .value_kind:     by_value
      - .offset:         16
        .size:           8
        .value_kind:     by_value
      - .offset:         24
        .size:           8
        .value_kind:     by_value
      - .address_space:  global
        .offset:         32
        .size:           8
        .value_kind:     global_buffer
      - .offset:         40
        .size:           8
        .value_kind:     by_value
      - .offset:         48
        .size:           8
        .value_kind:     by_value
      - .address_space:  global
        .offset:         56
        .size:           8
        .value_kind:     global_buffer
      - .offset:         64
        .size:           8
        .value_kind:     by_value
      - .offset:         72
        .size:           8
        .value_kind:     by_value
      - .offset:         80
        .size:           8
        .value_kind:     by_value
      - .address_space:  global
        .offset:         88
        .size:           8
        .value_kind:     global_buffer
      - .offset:         96
        .size:           8
        .value_kind:     by_value
      - .offset:         104
        .size:           8
        .value_kind:     by_value
      - .address_space:  global
        .offset:         112
        .size:           8
        .value_kind:     global_buffer
      - .offset:         120
        .size:           8
        .value_kind:     by_value
      - .offset:         128
        .size:           8
        .value_kind:     by_value
      - .offset:         136
        .size:           4
        .value_kind:     by_value
    .group_segment_fixed_size: 4096
    .kernarg_segment_align: 8
    .kernarg_segment_size: 140
    .language:       OpenCL C
    .language_version:
      - 2
      - 0
    .max_flat_workgroup_size: 256
    .name:           _ZN12_GLOBAL__N_135rocblas_gemm_batched_general_kernelIdLi16ELi16ELi32ELi32ELi8ELi32ELi8ELi8ELi32ELc78ELc84EKdS1_dEEvlllT_PT11_llS4_llS2_PT12_llPT13_lli
    .private_segment_fixed_size: 0
    .sgpr_count:     54
    .sgpr_spill_count: 0
    .symbol:         _ZN12_GLOBAL__N_135rocblas_gemm_batched_general_kernelIdLi16ELi16ELi32ELi32ELi8ELi32ELi8ELi8ELi32ELc78ELc84EKdS1_dEEvlllT_PT11_llS4_llS2_PT12_llPT13_lli.kd
    .uniform_work_group_size: 1
    .uses_dynamic_stack: false
    .vgpr_count:     44
    .vgpr_spill_count: 0
    .wavefront_size: 32
    .workgroup_processor_mode: 1
  - .args:
      - .offset:         0
        .size:           8
        .value_kind:     by_value
      - .offset:         8
        .size:           8
        .value_kind:     by_value
      - .offset:         16
        .size:           8
        .value_kind:     by_value
      - .offset:         24
        .size:           8
        .value_kind:     by_value
      - .address_space:  global
        .offset:         32
        .size:           8
        .value_kind:     global_buffer
      - .offset:         40
        .size:           8
        .value_kind:     by_value
      - .offset:         48
        .size:           8
        .value_kind:     by_value
      - .address_space:  global
        .offset:         56
        .size:           8
        .value_kind:     global_buffer
      - .offset:         64
        .size:           8
        .value_kind:     by_value
      - .offset:         72
        .size:           8
        .value_kind:     by_value
      - .offset:         80
        .size:           8
        .value_kind:     by_value
      - .address_space:  global
        .offset:         88
        .size:           8
        .value_kind:     global_buffer
      - .offset:         96
        .size:           8
        .value_kind:     by_value
      - .offset:         104
        .size:           8
        .value_kind:     by_value
      - .address_space:  global
        .offset:         112
        .size:           8
        .value_kind:     global_buffer
      - .offset:         120
        .size:           8
        .value_kind:     by_value
      - .offset:         128
        .size:           8
        .value_kind:     by_value
      - .offset:         136
        .size:           4
        .value_kind:     by_value
    .group_segment_fixed_size: 4096
    .kernarg_segment_align: 8
    .kernarg_segment_size: 140
    .language:       OpenCL C
    .language_version:
      - 2
      - 0
    .max_flat_workgroup_size: 256
    .name:           _ZN12_GLOBAL__N_135rocblas_gemm_batched_general_kernelIdLi16ELi16ELi32ELi32ELi8ELi32ELi8ELi8ELi32ELc84ELc84EKdS1_dEEvlllT_PT11_llS4_llS2_PT12_llPT13_lli
    .private_segment_fixed_size: 0
    .sgpr_count:     54
    .sgpr_spill_count: 0
    .symbol:         _ZN12_GLOBAL__N_135rocblas_gemm_batched_general_kernelIdLi16ELi16ELi32ELi32ELi8ELi32ELi8ELi8ELi32ELc84ELc84EKdS1_dEEvlllT_PT11_llS4_llS2_PT12_llPT13_lli.kd
    .uniform_work_group_size: 1
    .uses_dynamic_stack: false
    .vgpr_count:     44
    .vgpr_spill_count: 0
    .wavefront_size: 32
    .workgroup_processor_mode: 1
  - .args:
      - .offset:         0
        .size:           8
        .value_kind:     by_value
      - .offset:         8
        .size:           8
        .value_kind:     by_value
      - .offset:         16
        .size:           8
        .value_kind:     by_value
      - .offset:         24
        .size:           8
        .value_kind:     by_value
      - .address_space:  global
        .offset:         32
        .size:           8
        .value_kind:     global_buffer
      - .offset:         40
        .size:           8
        .value_kind:     by_value
      - .offset:         48
        .size:           8
        .value_kind:     by_value
      - .address_space:  global
        .offset:         56
        .size:           8
        .value_kind:     global_buffer
      - .offset:         64
        .size:           8
        .value_kind:     by_value
      - .offset:         72
        .size:           8
        .value_kind:     by_value
      - .offset:         80
        .size:           8
        .value_kind:     by_value
      - .address_space:  global
        .offset:         88
        .size:           8
        .value_kind:     global_buffer
      - .offset:         96
        .size:           8
        .value_kind:     by_value
      - .offset:         104
        .size:           8
        .value_kind:     by_value
      - .address_space:  global
        .offset:         112
        .size:           8
        .value_kind:     global_buffer
      - .offset:         120
        .size:           8
        .value_kind:     by_value
      - .offset:         128
        .size:           8
        .value_kind:     by_value
      - .offset:         136
        .size:           4
        .value_kind:     by_value
    .group_segment_fixed_size: 4096
    .kernarg_segment_align: 8
    .kernarg_segment_size: 140
    .language:       OpenCL C
    .language_version:
      - 2
      - 0
    .max_flat_workgroup_size: 256
    .name:           _ZN12_GLOBAL__N_135rocblas_gemm_batched_general_kernelIdLi16ELi16ELi32ELi32ELi8ELi32ELi8ELi8ELi32ELc67ELc67EKdS1_dEEvlllT_PT11_llS4_llS2_PT12_llPT13_lli
    .private_segment_fixed_size: 0
    .sgpr_count:     54
    .sgpr_spill_count: 0
    .symbol:         _ZN12_GLOBAL__N_135rocblas_gemm_batched_general_kernelIdLi16ELi16ELi32ELi32ELi8ELi32ELi8ELi8ELi32ELc67ELc67EKdS1_dEEvlllT_PT11_llS4_llS2_PT12_llPT13_lli.kd
    .uniform_work_group_size: 1
    .uses_dynamic_stack: false
    .vgpr_count:     44
    .vgpr_spill_count: 0
    .wavefront_size: 32
    .workgroup_processor_mode: 1
  - .args:
      - .offset:         0
        .size:           8
        .value_kind:     by_value
      - .offset:         8
        .size:           8
        .value_kind:     by_value
      - .offset:         16
        .size:           8
        .value_kind:     by_value
      - .offset:         24
        .size:           8
        .value_kind:     by_value
      - .address_space:  global
        .offset:         32
        .size:           8
        .value_kind:     global_buffer
      - .offset:         40
        .size:           8
        .value_kind:     by_value
      - .offset:         48
        .size:           8
        .value_kind:     by_value
      - .address_space:  global
        .offset:         56
        .size:           8
        .value_kind:     global_buffer
      - .offset:         64
        .size:           8
        .value_kind:     by_value
      - .offset:         72
        .size:           8
        .value_kind:     by_value
      - .offset:         80
        .size:           8
        .value_kind:     by_value
      - .address_space:  global
        .offset:         88
        .size:           8
        .value_kind:     global_buffer
      - .offset:         96
        .size:           8
        .value_kind:     by_value
      - .offset:         104
        .size:           8
        .value_kind:     by_value
      - .address_space:  global
        .offset:         112
        .size:           8
        .value_kind:     global_buffer
      - .offset:         120
        .size:           8
        .value_kind:     by_value
      - .offset:         128
        .size:           8
        .value_kind:     by_value
      - .offset:         136
        .size:           4
        .value_kind:     by_value
    .group_segment_fixed_size: 4096
    .kernarg_segment_align: 8
    .kernarg_segment_size: 140
    .language:       OpenCL C
    .language_version:
      - 2
      - 0
    .max_flat_workgroup_size: 256
    .name:           _ZN12_GLOBAL__N_135rocblas_gemm_batched_general_kernelIdLi16ELi16ELi32ELi32ELi8ELi32ELi8ELi8ELi32ELc67ELc78EKdS1_dEEvlllT_PT11_llS4_llS2_PT12_llPT13_lli
    .private_segment_fixed_size: 0
    .sgpr_count:     54
    .sgpr_spill_count: 0
    .symbol:         _ZN12_GLOBAL__N_135rocblas_gemm_batched_general_kernelIdLi16ELi16ELi32ELi32ELi8ELi32ELi8ELi8ELi32ELc67ELc78EKdS1_dEEvlllT_PT11_llS4_llS2_PT12_llPT13_lli.kd
    .uniform_work_group_size: 1
    .uses_dynamic_stack: false
    .vgpr_count:     44
    .vgpr_spill_count: 0
    .wavefront_size: 32
    .workgroup_processor_mode: 1
  - .args:
      - .offset:         0
        .size:           8
        .value_kind:     by_value
      - .offset:         8
        .size:           8
        .value_kind:     by_value
      - .offset:         16
        .size:           8
        .value_kind:     by_value
      - .offset:         24
        .size:           8
        .value_kind:     by_value
      - .address_space:  global
        .offset:         32
        .size:           8
        .value_kind:     global_buffer
      - .offset:         40
        .size:           8
        .value_kind:     by_value
      - .offset:         48
        .size:           8
        .value_kind:     by_value
      - .address_space:  global
        .offset:         56
        .size:           8
        .value_kind:     global_buffer
      - .offset:         64
        .size:           8
        .value_kind:     by_value
      - .offset:         72
        .size:           8
        .value_kind:     by_value
      - .offset:         80
        .size:           8
        .value_kind:     by_value
      - .address_space:  global
        .offset:         88
        .size:           8
        .value_kind:     global_buffer
      - .offset:         96
        .size:           8
        .value_kind:     by_value
      - .offset:         104
        .size:           8
        .value_kind:     by_value
      - .address_space:  global
        .offset:         112
        .size:           8
        .value_kind:     global_buffer
      - .offset:         120
        .size:           8
        .value_kind:     by_value
      - .offset:         128
        .size:           8
        .value_kind:     by_value
      - .offset:         136
        .size:           4
        .value_kind:     by_value
    .group_segment_fixed_size: 4096
    .kernarg_segment_align: 8
    .kernarg_segment_size: 140
    .language:       OpenCL C
    .language_version:
      - 2
      - 0
    .max_flat_workgroup_size: 256
    .name:           _ZN12_GLOBAL__N_135rocblas_gemm_batched_general_kernelIdLi16ELi16ELi32ELi32ELi8ELi32ELi8ELi8ELi32ELc67ELc84EKdS1_dEEvlllT_PT11_llS4_llS2_PT12_llPT13_lli
    .private_segment_fixed_size: 0
    .sgpr_count:     54
    .sgpr_spill_count: 0
    .symbol:         _ZN12_GLOBAL__N_135rocblas_gemm_batched_general_kernelIdLi16ELi16ELi32ELi32ELi8ELi32ELi8ELi8ELi32ELc67ELc84EKdS1_dEEvlllT_PT11_llS4_llS2_PT12_llPT13_lli.kd
    .uniform_work_group_size: 1
    .uses_dynamic_stack: false
    .vgpr_count:     44
    .vgpr_spill_count: 0
    .wavefront_size: 32
    .workgroup_processor_mode: 1
  - .args:
      - .offset:         0
        .size:           8
        .value_kind:     by_value
      - .offset:         8
        .size:           8
        .value_kind:     by_value
      - .offset:         16
        .size:           8
        .value_kind:     by_value
      - .offset:         24
        .size:           8
        .value_kind:     by_value
      - .address_space:  global
        .offset:         32
        .size:           8
        .value_kind:     global_buffer
      - .offset:         40
        .size:           8
        .value_kind:     by_value
      - .offset:         48
        .size:           8
        .value_kind:     by_value
      - .address_space:  global
        .offset:         56
        .size:           8
        .value_kind:     global_buffer
      - .offset:         64
        .size:           8
        .value_kind:     by_value
      - .offset:         72
        .size:           8
        .value_kind:     by_value
      - .offset:         80
        .size:           8
        .value_kind:     by_value
      - .address_space:  global
        .offset:         88
        .size:           8
        .value_kind:     global_buffer
      - .offset:         96
        .size:           8
        .value_kind:     by_value
      - .offset:         104
        .size:           8
        .value_kind:     by_value
      - .address_space:  global
        .offset:         112
        .size:           8
        .value_kind:     global_buffer
      - .offset:         120
        .size:           8
        .value_kind:     by_value
      - .offset:         128
        .size:           8
        .value_kind:     by_value
      - .offset:         136
        .size:           4
        .value_kind:     by_value
    .group_segment_fixed_size: 4096
    .kernarg_segment_align: 8
    .kernarg_segment_size: 140
    .language:       OpenCL C
    .language_version:
      - 2
      - 0
    .max_flat_workgroup_size: 256
    .name:           _ZN12_GLOBAL__N_135rocblas_gemm_batched_general_kernelIdLi16ELi16ELi32ELi32ELi8ELi32ELi8ELi8ELi32ELc78ELc67EKdS1_dEEvlllT_PT11_llS4_llS2_PT12_llPT13_lli
    .private_segment_fixed_size: 0
    .sgpr_count:     54
    .sgpr_spill_count: 0
    .symbol:         _ZN12_GLOBAL__N_135rocblas_gemm_batched_general_kernelIdLi16ELi16ELi32ELi32ELi8ELi32ELi8ELi8ELi32ELc78ELc67EKdS1_dEEvlllT_PT11_llS4_llS2_PT12_llPT13_lli.kd
    .uniform_work_group_size: 1
    .uses_dynamic_stack: false
    .vgpr_count:     44
    .vgpr_spill_count: 0
    .wavefront_size: 32
    .workgroup_processor_mode: 1
  - .args:
      - .offset:         0
        .size:           8
        .value_kind:     by_value
      - .offset:         8
        .size:           8
        .value_kind:     by_value
      - .offset:         16
        .size:           8
        .value_kind:     by_value
      - .offset:         24
        .size:           8
        .value_kind:     by_value
      - .address_space:  global
        .offset:         32
        .size:           8
        .value_kind:     global_buffer
      - .offset:         40
        .size:           8
        .value_kind:     by_value
      - .offset:         48
        .size:           8
        .value_kind:     by_value
      - .address_space:  global
        .offset:         56
        .size:           8
        .value_kind:     global_buffer
      - .offset:         64
        .size:           8
        .value_kind:     by_value
      - .offset:         72
        .size:           8
        .value_kind:     by_value
      - .offset:         80
        .size:           8
        .value_kind:     by_value
      - .address_space:  global
        .offset:         88
        .size:           8
        .value_kind:     global_buffer
      - .offset:         96
        .size:           8
        .value_kind:     by_value
      - .offset:         104
        .size:           8
        .value_kind:     by_value
      - .address_space:  global
        .offset:         112
        .size:           8
        .value_kind:     global_buffer
      - .offset:         120
        .size:           8
        .value_kind:     by_value
      - .offset:         128
        .size:           8
        .value_kind:     by_value
      - .offset:         136
        .size:           4
        .value_kind:     by_value
    .group_segment_fixed_size: 4096
    .kernarg_segment_align: 8
    .kernarg_segment_size: 140
    .language:       OpenCL C
    .language_version:
      - 2
      - 0
    .max_flat_workgroup_size: 256
    .name:           _ZN12_GLOBAL__N_135rocblas_gemm_batched_general_kernelIdLi16ELi16ELi32ELi32ELi8ELi32ELi8ELi8ELi32ELc84ELc67EKdS1_dEEvlllT_PT11_llS4_llS2_PT12_llPT13_lli
    .private_segment_fixed_size: 0
    .sgpr_count:     54
    .sgpr_spill_count: 0
    .symbol:         _ZN12_GLOBAL__N_135rocblas_gemm_batched_general_kernelIdLi16ELi16ELi32ELi32ELi8ELi32ELi8ELi8ELi32ELc84ELc67EKdS1_dEEvlllT_PT11_llS4_llS2_PT12_llPT13_lli.kd
    .uniform_work_group_size: 1
    .uses_dynamic_stack: false
    .vgpr_count:     44
    .vgpr_spill_count: 0
    .wavefront_size: 32
    .workgroup_processor_mode: 1
  - .args:
      - .offset:         0
        .size:           4
        .value_kind:     by_value
      - .offset:         4
        .size:           4
        .value_kind:     by_value
      - .offset:         8
        .size:           8
        .value_kind:     by_value
      - .address_space:  global
        .offset:         16
        .size:           8
        .value_kind:     global_buffer
      - .offset:         24
        .size:           8
        .value_kind:     by_value
      - .offset:         32
        .size:           8
        .value_kind:     by_value
      - .offset:         40
        .size:           8
        .value_kind:     by_value
      - .offset:         48
        .size:           4
        .value_kind:     by_value
    .group_segment_fixed_size: 0
    .kernarg_segment_align: 8
    .kernarg_segment_size: 52
    .language:       OpenCL C
    .language_version:
      - 2
      - 0
    .max_flat_workgroup_size: 1024
    .name:           _ZN12_GLOBAL__N_125rocblas_gemm_scale_kernelILi32ELi32E19rocblas_complex_numIfEPS2_EEviiT1_T2_llli
    .private_segment_fixed_size: 0
    .sgpr_count:     22
    .sgpr_spill_count: 0
    .symbol:         _ZN12_GLOBAL__N_125rocblas_gemm_scale_kernelILi32ELi32E19rocblas_complex_numIfEPS2_EEviiT1_T2_llli.kd
    .uniform_work_group_size: 1
    .uses_dynamic_stack: false
    .vgpr_count:     8
    .vgpr_spill_count: 0
    .wavefront_size: 32
    .workgroup_processor_mode: 1
  - .args:
      - .offset:         0
        .size:           4
        .value_kind:     by_value
      - .offset:         4
        .size:           4
        .value_kind:     by_value
      - .offset:         8
        .size:           8
        .value_kind:     by_value
      - .address_space:  global
        .offset:         16
        .size:           8
        .value_kind:     global_buffer
      - .offset:         24
        .size:           8
        .value_kind:     by_value
      - .offset:         32
        .size:           8
        .value_kind:     by_value
      - .offset:         40
        .size:           8
        .value_kind:     by_value
      - .address_space:  global
        .offset:         48
        .size:           8
        .value_kind:     global_buffer
      - .offset:         56
        .size:           8
        .value_kind:     by_value
      - .offset:         64
        .size:           8
        .value_kind:     by_value
      - .offset:         72
        .size:           8
        .value_kind:     by_value
      - .offset:         80
        .size:           4
        .value_kind:     by_value
    .group_segment_fixed_size: 0
    .kernarg_segment_align: 8
    .kernarg_segment_size: 84
    .language:       OpenCL C
    .language_version:
      - 2
      - 0
    .max_flat_workgroup_size: 1024
    .name:           _ZN12_GLOBAL__N_120gemm_ex_scale_kernelILi32ELi32E19rocblas_complex_numIfEPKS2_PS2_EEviiT1_T2_lllT3_llli
    .private_segment_fixed_size: 0
    .sgpr_count:     30
    .sgpr_spill_count: 0
    .symbol:         _ZN12_GLOBAL__N_120gemm_ex_scale_kernelILi32ELi32E19rocblas_complex_numIfEPKS2_PS2_EEviiT1_T2_lllT3_llli.kd
    .uniform_work_group_size: 1
    .uses_dynamic_stack: false
    .vgpr_count:     9
    .vgpr_spill_count: 0
    .wavefront_size: 32
    .workgroup_processor_mode: 1
  - .args:
      - .offset:         0
        .size:           8
        .value_kind:     by_value
      - .offset:         8
        .size:           8
        .value_kind:     by_value
      - .offset:         16
        .size:           8
        .value_kind:     by_value
      - .offset:         24
        .size:           8
        .value_kind:     by_value
      - .address_space:  global
        .offset:         32
        .size:           8
        .value_kind:     global_buffer
      - .offset:         40
        .size:           8
        .value_kind:     by_value
      - .offset:         48
        .size:           8
        .value_kind:     by_value
      - .address_space:  global
        .offset:         56
        .size:           8
        .value_kind:     global_buffer
      - .offset:         64
        .size:           8
        .value_kind:     by_value
      - .offset:         72
        .size:           8
        .value_kind:     by_value
      - .offset:         80
        .size:           8
        .value_kind:     by_value
      - .address_space:  global
        .offset:         88
        .size:           8
        .value_kind:     global_buffer
      - .offset:         96
        .size:           8
        .value_kind:     by_value
      - .offset:         104
        .size:           8
        .value_kind:     by_value
      - .address_space:  global
        .offset:         112
        .size:           8
        .value_kind:     global_buffer
      - .offset:         120
        .size:           8
        .value_kind:     by_value
      - .offset:         128
        .size:           8
        .value_kind:     by_value
      - .offset:         136
        .size:           4
        .value_kind:     by_value
    .group_segment_fixed_size: 4096
    .kernarg_segment_align: 8
    .kernarg_segment_size: 140
    .language:       OpenCL C
    .language_version:
      - 2
      - 0
    .max_flat_workgroup_size: 256
    .name:           _ZN12_GLOBAL__N_127rocblas_gemm_batched_kernelI19rocblas_complex_numIfELi16ELi16ELi64ELi64ELi4ELi64ELi4ELi4ELi64ELc78ELc78EKS2_S3_S2_EEvlllT_PT11_llS6_llS4_PT12_llPT13_lli
    .private_segment_fixed_size: 0
    .sgpr_count:     34
    .sgpr_spill_count: 0
    .symbol:         _ZN12_GLOBAL__N_127rocblas_gemm_batched_kernelI19rocblas_complex_numIfELi16ELi16ELi64ELi64ELi4ELi64ELi4ELi4ELi64ELc78ELc78EKS2_S3_S2_EEvlllT_PT11_llS6_llS4_PT12_llPT13_lli.kd
    .uniform_work_group_size: 1
    .uses_dynamic_stack: false
    .vgpr_count:     188
    .vgpr_spill_count: 0
    .wavefront_size: 32
    .workgroup_processor_mode: 1
  - .args:
      - .offset:         0
        .size:           8
        .value_kind:     by_value
      - .offset:         8
        .size:           8
        .value_kind:     by_value
      - .offset:         16
        .size:           8
        .value_kind:     by_value
      - .offset:         24
        .size:           8
        .value_kind:     by_value
      - .address_space:  global
        .offset:         32
        .size:           8
        .value_kind:     global_buffer
      - .offset:         40
        .size:           8
        .value_kind:     by_value
      - .offset:         48
        .size:           8
        .value_kind:     by_value
      - .address_space:  global
        .offset:         56
        .size:           8
        .value_kind:     global_buffer
      - .offset:         64
        .size:           8
        .value_kind:     by_value
      - .offset:         72
        .size:           8
        .value_kind:     by_value
      - .offset:         80
        .size:           8
        .value_kind:     by_value
      - .address_space:  global
        .offset:         88
        .size:           8
        .value_kind:     global_buffer
      - .offset:         96
        .size:           8
        .value_kind:     by_value
      - .offset:         104
        .size:           8
        .value_kind:     by_value
      - .address_space:  global
        .offset:         112
        .size:           8
        .value_kind:     global_buffer
      - .offset:         120
        .size:           8
        .value_kind:     by_value
      - .offset:         128
        .size:           8
        .value_kind:     by_value
      - .offset:         136
        .size:           4
        .value_kind:     by_value
    .group_segment_fixed_size: 4096
    .kernarg_segment_align: 8
    .kernarg_segment_size: 140
    .language:       OpenCL C
    .language_version:
      - 2
      - 0
    .max_flat_workgroup_size: 256
    .name:           _ZN12_GLOBAL__N_127rocblas_gemm_batched_kernelI19rocblas_complex_numIfELi16ELi16ELi64ELi64ELi4ELi64ELi4ELi4ELi64ELc84ELc78EKS2_S3_S2_EEvlllT_PT11_llS6_llS4_PT12_llPT13_lli
    .private_segment_fixed_size: 0
    .sgpr_count:     34
    .sgpr_spill_count: 0
    .symbol:         _ZN12_GLOBAL__N_127rocblas_gemm_batched_kernelI19rocblas_complex_numIfELi16ELi16ELi64ELi64ELi4ELi64ELi4ELi4ELi64ELc84ELc78EKS2_S3_S2_EEvlllT_PT11_llS6_llS4_PT12_llPT13_lli.kd
    .uniform_work_group_size: 1
    .uses_dynamic_stack: false
    .vgpr_count:     188
    .vgpr_spill_count: 0
    .wavefront_size: 32
    .workgroup_processor_mode: 1
  - .args:
      - .offset:         0
        .size:           8
        .value_kind:     by_value
      - .offset:         8
        .size:           8
        .value_kind:     by_value
      - .offset:         16
        .size:           8
        .value_kind:     by_value
      - .offset:         24
        .size:           8
        .value_kind:     by_value
      - .address_space:  global
        .offset:         32
        .size:           8
        .value_kind:     global_buffer
      - .offset:         40
        .size:           8
        .value_kind:     by_value
      - .offset:         48
        .size:           8
        .value_kind:     by_value
      - .address_space:  global
        .offset:         56
        .size:           8
        .value_kind:     global_buffer
      - .offset:         64
        .size:           8
        .value_kind:     by_value
      - .offset:         72
        .size:           8
        .value_kind:     by_value
      - .offset:         80
        .size:           8
        .value_kind:     by_value
      - .address_space:  global
        .offset:         88
        .size:           8
        .value_kind:     global_buffer
      - .offset:         96
        .size:           8
        .value_kind:     by_value
      - .offset:         104
        .size:           8
        .value_kind:     by_value
      - .address_space:  global
        .offset:         112
        .size:           8
        .value_kind:     global_buffer
      - .offset:         120
        .size:           8
        .value_kind:     by_value
      - .offset:         128
        .size:           8
        .value_kind:     by_value
      - .offset:         136
        .size:           4
        .value_kind:     by_value
    .group_segment_fixed_size: 4096
    .kernarg_segment_align: 8
    .kernarg_segment_size: 140
    .language:       OpenCL C
    .language_version:
      - 2
      - 0
    .max_flat_workgroup_size: 256
    .name:           _ZN12_GLOBAL__N_127rocblas_gemm_batched_kernelI19rocblas_complex_numIfELi16ELi16ELi64ELi64ELi4ELi64ELi4ELi4ELi64ELc78ELc84EKS2_S3_S2_EEvlllT_PT11_llS6_llS4_PT12_llPT13_lli
    .private_segment_fixed_size: 0
    .sgpr_count:     34
    .sgpr_spill_count: 0
    .symbol:         _ZN12_GLOBAL__N_127rocblas_gemm_batched_kernelI19rocblas_complex_numIfELi16ELi16ELi64ELi64ELi4ELi64ELi4ELi4ELi64ELc78ELc84EKS2_S3_S2_EEvlllT_PT11_llS6_llS4_PT12_llPT13_lli.kd
    .uniform_work_group_size: 1
    .uses_dynamic_stack: false
    .vgpr_count:     188
    .vgpr_spill_count: 0
    .wavefront_size: 32
    .workgroup_processor_mode: 1
  - .args:
      - .offset:         0
        .size:           8
        .value_kind:     by_value
      - .offset:         8
        .size:           8
        .value_kind:     by_value
      - .offset:         16
        .size:           8
        .value_kind:     by_value
      - .offset:         24
        .size:           8
        .value_kind:     by_value
      - .address_space:  global
        .offset:         32
        .size:           8
        .value_kind:     global_buffer
      - .offset:         40
        .size:           8
        .value_kind:     by_value
      - .offset:         48
        .size:           8
        .value_kind:     by_value
      - .address_space:  global
        .offset:         56
        .size:           8
        .value_kind:     global_buffer
      - .offset:         64
        .size:           8
        .value_kind:     by_value
      - .offset:         72
        .size:           8
        .value_kind:     by_value
      - .offset:         80
        .size:           8
        .value_kind:     by_value
      - .address_space:  global
        .offset:         88
        .size:           8
        .value_kind:     global_buffer
      - .offset:         96
        .size:           8
        .value_kind:     by_value
      - .offset:         104
        .size:           8
        .value_kind:     by_value
      - .address_space:  global
        .offset:         112
        .size:           8
        .value_kind:     global_buffer
      - .offset:         120
        .size:           8
        .value_kind:     by_value
      - .offset:         128
        .size:           8
        .value_kind:     by_value
      - .offset:         136
        .size:           4
        .value_kind:     by_value
    .group_segment_fixed_size: 4096
    .kernarg_segment_align: 8
    .kernarg_segment_size: 140
    .language:       OpenCL C
    .language_version:
      - 2
      - 0
    .max_flat_workgroup_size: 256
    .name:           _ZN12_GLOBAL__N_127rocblas_gemm_batched_kernelI19rocblas_complex_numIfELi16ELi16ELi64ELi64ELi4ELi64ELi4ELi4ELi64ELc84ELc84EKS2_S3_S2_EEvlllT_PT11_llS6_llS4_PT12_llPT13_lli
    .private_segment_fixed_size: 0
    .sgpr_count:     34
    .sgpr_spill_count: 0
    .symbol:         _ZN12_GLOBAL__N_127rocblas_gemm_batched_kernelI19rocblas_complex_numIfELi16ELi16ELi64ELi64ELi4ELi64ELi4ELi4ELi64ELc84ELc84EKS2_S3_S2_EEvlllT_PT11_llS6_llS4_PT12_llPT13_lli.kd
    .uniform_work_group_size: 1
    .uses_dynamic_stack: false
    .vgpr_count:     188
    .vgpr_spill_count: 0
    .wavefront_size: 32
    .workgroup_processor_mode: 1
  - .args:
      - .offset:         0
        .size:           8
        .value_kind:     by_value
      - .offset:         8
        .size:           8
        .value_kind:     by_value
      - .offset:         16
        .size:           8
        .value_kind:     by_value
      - .offset:         24
        .size:           8
        .value_kind:     by_value
      - .address_space:  global
        .offset:         32
        .size:           8
        .value_kind:     global_buffer
      - .offset:         40
        .size:           8
        .value_kind:     by_value
      - .offset:         48
        .size:           8
        .value_kind:     by_value
      - .address_space:  global
        .offset:         56
        .size:           8
        .value_kind:     global_buffer
      - .offset:         64
        .size:           8
        .value_kind:     by_value
      - .offset:         72
        .size:           8
        .value_kind:     by_value
      - .offset:         80
        .size:           8
        .value_kind:     by_value
      - .address_space:  global
        .offset:         88
        .size:           8
        .value_kind:     global_buffer
      - .offset:         96
        .size:           8
        .value_kind:     by_value
      - .offset:         104
        .size:           8
        .value_kind:     by_value
      - .address_space:  global
        .offset:         112
        .size:           8
        .value_kind:     global_buffer
      - .offset:         120
        .size:           8
        .value_kind:     by_value
      - .offset:         128
        .size:           8
        .value_kind:     by_value
      - .offset:         136
        .size:           4
        .value_kind:     by_value
    .group_segment_fixed_size: 4096
    .kernarg_segment_align: 8
    .kernarg_segment_size: 140
    .language:       OpenCL C
    .language_version:
      - 2
      - 0
    .max_flat_workgroup_size: 256
    .name:           _ZN12_GLOBAL__N_127rocblas_gemm_batched_kernelI19rocblas_complex_numIfELi16ELi16ELi64ELi64ELi4ELi64ELi4ELi4ELi64ELc67ELc67EKS2_S3_S2_EEvlllT_PT11_llS6_llS4_PT12_llPT13_lli
    .private_segment_fixed_size: 0
    .sgpr_count:     34
    .sgpr_spill_count: 0
    .symbol:         _ZN12_GLOBAL__N_127rocblas_gemm_batched_kernelI19rocblas_complex_numIfELi16ELi16ELi64ELi64ELi4ELi64ELi4ELi4ELi64ELc67ELc67EKS2_S3_S2_EEvlllT_PT11_llS6_llS4_PT12_llPT13_lli.kd
    .uniform_work_group_size: 1
    .uses_dynamic_stack: false
    .vgpr_count:     188
    .vgpr_spill_count: 0
    .wavefront_size: 32
    .workgroup_processor_mode: 1
  - .args:
      - .offset:         0
        .size:           8
        .value_kind:     by_value
      - .offset:         8
        .size:           8
        .value_kind:     by_value
      - .offset:         16
        .size:           8
        .value_kind:     by_value
      - .offset:         24
        .size:           8
        .value_kind:     by_value
      - .address_space:  global
        .offset:         32
        .size:           8
        .value_kind:     global_buffer
      - .offset:         40
        .size:           8
        .value_kind:     by_value
      - .offset:         48
        .size:           8
        .value_kind:     by_value
      - .address_space:  global
        .offset:         56
        .size:           8
        .value_kind:     global_buffer
      - .offset:         64
        .size:           8
        .value_kind:     by_value
      - .offset:         72
        .size:           8
        .value_kind:     by_value
      - .offset:         80
        .size:           8
        .value_kind:     by_value
      - .address_space:  global
        .offset:         88
        .size:           8
        .value_kind:     global_buffer
      - .offset:         96
        .size:           8
        .value_kind:     by_value
      - .offset:         104
        .size:           8
        .value_kind:     by_value
      - .address_space:  global
        .offset:         112
        .size:           8
        .value_kind:     global_buffer
      - .offset:         120
        .size:           8
        .value_kind:     by_value
      - .offset:         128
        .size:           8
        .value_kind:     by_value
      - .offset:         136
        .size:           4
        .value_kind:     by_value
    .group_segment_fixed_size: 4096
    .kernarg_segment_align: 8
    .kernarg_segment_size: 140
    .language:       OpenCL C
    .language_version:
      - 2
      - 0
    .max_flat_workgroup_size: 256
    .name:           _ZN12_GLOBAL__N_127rocblas_gemm_batched_kernelI19rocblas_complex_numIfELi16ELi16ELi64ELi64ELi4ELi64ELi4ELi4ELi64ELc67ELc78EKS2_S3_S2_EEvlllT_PT11_llS6_llS4_PT12_llPT13_lli
    .private_segment_fixed_size: 0
    .sgpr_count:     34
    .sgpr_spill_count: 0
    .symbol:         _ZN12_GLOBAL__N_127rocblas_gemm_batched_kernelI19rocblas_complex_numIfELi16ELi16ELi64ELi64ELi4ELi64ELi4ELi4ELi64ELc67ELc78EKS2_S3_S2_EEvlllT_PT11_llS6_llS4_PT12_llPT13_lli.kd
    .uniform_work_group_size: 1
    .uses_dynamic_stack: false
    .vgpr_count:     188
    .vgpr_spill_count: 0
    .wavefront_size: 32
    .workgroup_processor_mode: 1
  - .args:
      - .offset:         0
        .size:           8
        .value_kind:     by_value
      - .offset:         8
        .size:           8
        .value_kind:     by_value
      - .offset:         16
        .size:           8
        .value_kind:     by_value
      - .offset:         24
        .size:           8
        .value_kind:     by_value
      - .address_space:  global
        .offset:         32
        .size:           8
        .value_kind:     global_buffer
      - .offset:         40
        .size:           8
        .value_kind:     by_value
      - .offset:         48
        .size:           8
        .value_kind:     by_value
      - .address_space:  global
        .offset:         56
        .size:           8
        .value_kind:     global_buffer
      - .offset:         64
        .size:           8
        .value_kind:     by_value
      - .offset:         72
        .size:           8
        .value_kind:     by_value
      - .offset:         80
        .size:           8
        .value_kind:     by_value
      - .address_space:  global
        .offset:         88
        .size:           8
        .value_kind:     global_buffer
      - .offset:         96
        .size:           8
        .value_kind:     by_value
      - .offset:         104
        .size:           8
        .value_kind:     by_value
      - .address_space:  global
        .offset:         112
        .size:           8
        .value_kind:     global_buffer
      - .offset:         120
        .size:           8
        .value_kind:     by_value
      - .offset:         128
        .size:           8
        .value_kind:     by_value
      - .offset:         136
        .size:           4
        .value_kind:     by_value
    .group_segment_fixed_size: 4096
    .kernarg_segment_align: 8
    .kernarg_segment_size: 140
    .language:       OpenCL C
    .language_version:
      - 2
      - 0
    .max_flat_workgroup_size: 256
    .name:           _ZN12_GLOBAL__N_127rocblas_gemm_batched_kernelI19rocblas_complex_numIfELi16ELi16ELi64ELi64ELi4ELi64ELi4ELi4ELi64ELc67ELc84EKS2_S3_S2_EEvlllT_PT11_llS6_llS4_PT12_llPT13_lli
    .private_segment_fixed_size: 0
    .sgpr_count:     34
    .sgpr_spill_count: 0
    .symbol:         _ZN12_GLOBAL__N_127rocblas_gemm_batched_kernelI19rocblas_complex_numIfELi16ELi16ELi64ELi64ELi4ELi64ELi4ELi4ELi64ELc67ELc84EKS2_S3_S2_EEvlllT_PT11_llS6_llS4_PT12_llPT13_lli.kd
    .uniform_work_group_size: 1
    .uses_dynamic_stack: false
    .vgpr_count:     188
    .vgpr_spill_count: 0
    .wavefront_size: 32
    .workgroup_processor_mode: 1
  - .args:
      - .offset:         0
        .size:           8
        .value_kind:     by_value
      - .offset:         8
        .size:           8
        .value_kind:     by_value
      - .offset:         16
        .size:           8
        .value_kind:     by_value
      - .offset:         24
        .size:           8
        .value_kind:     by_value
      - .address_space:  global
        .offset:         32
        .size:           8
        .value_kind:     global_buffer
      - .offset:         40
        .size:           8
        .value_kind:     by_value
      - .offset:         48
        .size:           8
        .value_kind:     by_value
      - .address_space:  global
        .offset:         56
        .size:           8
        .value_kind:     global_buffer
      - .offset:         64
        .size:           8
        .value_kind:     by_value
      - .offset:         72
        .size:           8
        .value_kind:     by_value
      - .offset:         80
        .size:           8
        .value_kind:     by_value
      - .address_space:  global
        .offset:         88
        .size:           8
        .value_kind:     global_buffer
      - .offset:         96
        .size:           8
        .value_kind:     by_value
      - .offset:         104
        .size:           8
        .value_kind:     by_value
      - .address_space:  global
        .offset:         112
        .size:           8
        .value_kind:     global_buffer
      - .offset:         120
        .size:           8
        .value_kind:     by_value
      - .offset:         128
        .size:           8
        .value_kind:     by_value
      - .offset:         136
        .size:           4
        .value_kind:     by_value
    .group_segment_fixed_size: 4096
    .kernarg_segment_align: 8
    .kernarg_segment_size: 140
    .language:       OpenCL C
    .language_version:
      - 2
      - 0
    .max_flat_workgroup_size: 256
    .name:           _ZN12_GLOBAL__N_127rocblas_gemm_batched_kernelI19rocblas_complex_numIfELi16ELi16ELi64ELi64ELi4ELi64ELi4ELi4ELi64ELc78ELc67EKS2_S3_S2_EEvlllT_PT11_llS6_llS4_PT12_llPT13_lli
    .private_segment_fixed_size: 0
    .sgpr_count:     34
    .sgpr_spill_count: 0
    .symbol:         _ZN12_GLOBAL__N_127rocblas_gemm_batched_kernelI19rocblas_complex_numIfELi16ELi16ELi64ELi64ELi4ELi64ELi4ELi4ELi64ELc78ELc67EKS2_S3_S2_EEvlllT_PT11_llS6_llS4_PT12_llPT13_lli.kd
    .uniform_work_group_size: 1
    .uses_dynamic_stack: false
    .vgpr_count:     188
    .vgpr_spill_count: 0
    .wavefront_size: 32
    .workgroup_processor_mode: 1
  - .args:
      - .offset:         0
        .size:           8
        .value_kind:     by_value
      - .offset:         8
        .size:           8
        .value_kind:     by_value
      - .offset:         16
        .size:           8
        .value_kind:     by_value
      - .offset:         24
        .size:           8
        .value_kind:     by_value
      - .address_space:  global
        .offset:         32
        .size:           8
        .value_kind:     global_buffer
      - .offset:         40
        .size:           8
        .value_kind:     by_value
      - .offset:         48
        .size:           8
        .value_kind:     by_value
      - .address_space:  global
        .offset:         56
        .size:           8
        .value_kind:     global_buffer
      - .offset:         64
        .size:           8
        .value_kind:     by_value
      - .offset:         72
        .size:           8
        .value_kind:     by_value
      - .offset:         80
        .size:           8
        .value_kind:     by_value
      - .address_space:  global
        .offset:         88
        .size:           8
        .value_kind:     global_buffer
      - .offset:         96
        .size:           8
        .value_kind:     by_value
      - .offset:         104
        .size:           8
        .value_kind:     by_value
      - .address_space:  global
        .offset:         112
        .size:           8
        .value_kind:     global_buffer
      - .offset:         120
        .size:           8
        .value_kind:     by_value
      - .offset:         128
        .size:           8
        .value_kind:     by_value
      - .offset:         136
        .size:           4
        .value_kind:     by_value
    .group_segment_fixed_size: 4096
    .kernarg_segment_align: 8
    .kernarg_segment_size: 140
    .language:       OpenCL C
    .language_version:
      - 2
      - 0
    .max_flat_workgroup_size: 256
    .name:           _ZN12_GLOBAL__N_127rocblas_gemm_batched_kernelI19rocblas_complex_numIfELi16ELi16ELi64ELi64ELi4ELi64ELi4ELi4ELi64ELc84ELc67EKS2_S3_S2_EEvlllT_PT11_llS6_llS4_PT12_llPT13_lli
    .private_segment_fixed_size: 0
    .sgpr_count:     34
    .sgpr_spill_count: 0
    .symbol:         _ZN12_GLOBAL__N_127rocblas_gemm_batched_kernelI19rocblas_complex_numIfELi16ELi16ELi64ELi64ELi4ELi64ELi4ELi4ELi64ELc84ELc67EKS2_S3_S2_EEvlllT_PT11_llS6_llS4_PT12_llPT13_lli.kd
    .uniform_work_group_size: 1
    .uses_dynamic_stack: false
    .vgpr_count:     188
    .vgpr_spill_count: 0
    .wavefront_size: 32
    .workgroup_processor_mode: 1
  - .args:
      - .offset:         0
        .size:           8
        .value_kind:     by_value
      - .offset:         8
        .size:           8
        .value_kind:     by_value
      - .offset:         16
        .size:           8
        .value_kind:     by_value
      - .offset:         24
        .size:           8
        .value_kind:     by_value
      - .address_space:  global
        .offset:         32
        .size:           8
        .value_kind:     global_buffer
      - .offset:         40
        .size:           8
        .value_kind:     by_value
      - .offset:         48
        .size:           8
        .value_kind:     by_value
      - .address_space:  global
        .offset:         56
        .size:           8
        .value_kind:     global_buffer
      - .offset:         64
        .size:           8
        .value_kind:     by_value
      - .offset:         72
        .size:           8
        .value_kind:     by_value
      - .offset:         80
        .size:           8
        .value_kind:     by_value
      - .address_space:  global
        .offset:         88
        .size:           8
        .value_kind:     global_buffer
      - .offset:         96
        .size:           8
        .value_kind:     by_value
      - .offset:         104
        .size:           8
        .value_kind:     by_value
      - .address_space:  global
        .offset:         112
        .size:           8
        .value_kind:     global_buffer
      - .offset:         120
        .size:           8
        .value_kind:     by_value
      - .offset:         128
        .size:           8
        .value_kind:     by_value
      - .offset:         136
        .size:           4
        .value_kind:     by_value
    .group_segment_fixed_size: 4096
    .kernarg_segment_align: 8
    .kernarg_segment_size: 140
    .language:       OpenCL C
    .language_version:
      - 2
      - 0
    .max_flat_workgroup_size: 256
    .name:           _ZN12_GLOBAL__N_127rocblas_gemm_batched_kernelI19rocblas_complex_numIfELi16ELi16ELi32ELi32ELi8ELi32ELi8ELi8ELi32ELc78ELc78EKS2_S3_S2_EEvlllT_PT11_llS6_llS4_PT12_llPT13_lli
    .private_segment_fixed_size: 0
    .sgpr_count:     34
    .sgpr_spill_count: 0
    .symbol:         _ZN12_GLOBAL__N_127rocblas_gemm_batched_kernelI19rocblas_complex_numIfELi16ELi16ELi32ELi32ELi8ELi32ELi8ELi8ELi32ELc78ELc78EKS2_S3_S2_EEvlllT_PT11_llS6_llS4_PT12_llPT13_lli.kd
    .uniform_work_group_size: 1
    .uses_dynamic_stack: false
    .vgpr_count:     92
    .vgpr_spill_count: 0
    .wavefront_size: 32
    .workgroup_processor_mode: 1
  - .args:
      - .offset:         0
        .size:           8
        .value_kind:     by_value
      - .offset:         8
        .size:           8
        .value_kind:     by_value
      - .offset:         16
        .size:           8
        .value_kind:     by_value
      - .offset:         24
        .size:           8
        .value_kind:     by_value
      - .address_space:  global
        .offset:         32
        .size:           8
        .value_kind:     global_buffer
      - .offset:         40
        .size:           8
        .value_kind:     by_value
      - .offset:         48
        .size:           8
        .value_kind:     by_value
      - .address_space:  global
        .offset:         56
        .size:           8
        .value_kind:     global_buffer
      - .offset:         64
        .size:           8
        .value_kind:     by_value
      - .offset:         72
        .size:           8
        .value_kind:     by_value
      - .offset:         80
        .size:           8
        .value_kind:     by_value
      - .address_space:  global
        .offset:         88
        .size:           8
        .value_kind:     global_buffer
      - .offset:         96
        .size:           8
        .value_kind:     by_value
      - .offset:         104
        .size:           8
        .value_kind:     by_value
      - .address_space:  global
        .offset:         112
        .size:           8
        .value_kind:     global_buffer
      - .offset:         120
        .size:           8
        .value_kind:     by_value
      - .offset:         128
        .size:           8
        .value_kind:     by_value
      - .offset:         136
        .size:           4
        .value_kind:     by_value
    .group_segment_fixed_size: 4096
    .kernarg_segment_align: 8
    .kernarg_segment_size: 140
    .language:       OpenCL C
    .language_version:
      - 2
      - 0
    .max_flat_workgroup_size: 256
    .name:           _ZN12_GLOBAL__N_127rocblas_gemm_batched_kernelI19rocblas_complex_numIfELi16ELi16ELi32ELi32ELi8ELi32ELi8ELi8ELi32ELc84ELc78EKS2_S3_S2_EEvlllT_PT11_llS6_llS4_PT12_llPT13_lli
    .private_segment_fixed_size: 0
    .sgpr_count:     34
    .sgpr_spill_count: 0
    .symbol:         _ZN12_GLOBAL__N_127rocblas_gemm_batched_kernelI19rocblas_complex_numIfELi16ELi16ELi32ELi32ELi8ELi32ELi8ELi8ELi32ELc84ELc78EKS2_S3_S2_EEvlllT_PT11_llS6_llS4_PT12_llPT13_lli.kd
    .uniform_work_group_size: 1
    .uses_dynamic_stack: false
    .vgpr_count:     92
    .vgpr_spill_count: 0
    .wavefront_size: 32
    .workgroup_processor_mode: 1
  - .args:
      - .offset:         0
        .size:           8
        .value_kind:     by_value
      - .offset:         8
        .size:           8
        .value_kind:     by_value
      - .offset:         16
        .size:           8
        .value_kind:     by_value
      - .offset:         24
        .size:           8
        .value_kind:     by_value
      - .address_space:  global
        .offset:         32
        .size:           8
        .value_kind:     global_buffer
      - .offset:         40
        .size:           8
        .value_kind:     by_value
      - .offset:         48
        .size:           8
        .value_kind:     by_value
      - .address_space:  global
        .offset:         56
        .size:           8
        .value_kind:     global_buffer
      - .offset:         64
        .size:           8
        .value_kind:     by_value
      - .offset:         72
        .size:           8
        .value_kind:     by_value
      - .offset:         80
        .size:           8
        .value_kind:     by_value
      - .address_space:  global
        .offset:         88
        .size:           8
        .value_kind:     global_buffer
      - .offset:         96
        .size:           8
        .value_kind:     by_value
      - .offset:         104
        .size:           8
        .value_kind:     by_value
      - .address_space:  global
        .offset:         112
        .size:           8
        .value_kind:     global_buffer
      - .offset:         120
        .size:           8
        .value_kind:     by_value
      - .offset:         128
        .size:           8
        .value_kind:     by_value
      - .offset:         136
        .size:           4
        .value_kind:     by_value
    .group_segment_fixed_size: 4096
    .kernarg_segment_align: 8
    .kernarg_segment_size: 140
    .language:       OpenCL C
    .language_version:
      - 2
      - 0
    .max_flat_workgroup_size: 256
    .name:           _ZN12_GLOBAL__N_127rocblas_gemm_batched_kernelI19rocblas_complex_numIfELi16ELi16ELi32ELi32ELi8ELi32ELi8ELi8ELi32ELc78ELc84EKS2_S3_S2_EEvlllT_PT11_llS6_llS4_PT12_llPT13_lli
    .private_segment_fixed_size: 0
    .sgpr_count:     34
    .sgpr_spill_count: 0
    .symbol:         _ZN12_GLOBAL__N_127rocblas_gemm_batched_kernelI19rocblas_complex_numIfELi16ELi16ELi32ELi32ELi8ELi32ELi8ELi8ELi32ELc78ELc84EKS2_S3_S2_EEvlllT_PT11_llS6_llS4_PT12_llPT13_lli.kd
    .uniform_work_group_size: 1
    .uses_dynamic_stack: false
    .vgpr_count:     92
    .vgpr_spill_count: 0
    .wavefront_size: 32
    .workgroup_processor_mode: 1
  - .args:
      - .offset:         0
        .size:           8
        .value_kind:     by_value
      - .offset:         8
        .size:           8
        .value_kind:     by_value
      - .offset:         16
        .size:           8
        .value_kind:     by_value
      - .offset:         24
        .size:           8
        .value_kind:     by_value
      - .address_space:  global
        .offset:         32
        .size:           8
        .value_kind:     global_buffer
      - .offset:         40
        .size:           8
        .value_kind:     by_value
      - .offset:         48
        .size:           8
        .value_kind:     by_value
      - .address_space:  global
        .offset:         56
        .size:           8
        .value_kind:     global_buffer
      - .offset:         64
        .size:           8
        .value_kind:     by_value
      - .offset:         72
        .size:           8
        .value_kind:     by_value
      - .offset:         80
        .size:           8
        .value_kind:     by_value
      - .address_space:  global
        .offset:         88
        .size:           8
        .value_kind:     global_buffer
      - .offset:         96
        .size:           8
        .value_kind:     by_value
      - .offset:         104
        .size:           8
        .value_kind:     by_value
      - .address_space:  global
        .offset:         112
        .size:           8
        .value_kind:     global_buffer
      - .offset:         120
        .size:           8
        .value_kind:     by_value
      - .offset:         128
        .size:           8
        .value_kind:     by_value
      - .offset:         136
        .size:           4
        .value_kind:     by_value
    .group_segment_fixed_size: 4096
    .kernarg_segment_align: 8
    .kernarg_segment_size: 140
    .language:       OpenCL C
    .language_version:
      - 2
      - 0
    .max_flat_workgroup_size: 256
    .name:           _ZN12_GLOBAL__N_127rocblas_gemm_batched_kernelI19rocblas_complex_numIfELi16ELi16ELi32ELi32ELi8ELi32ELi8ELi8ELi32ELc84ELc84EKS2_S3_S2_EEvlllT_PT11_llS6_llS4_PT12_llPT13_lli
    .private_segment_fixed_size: 0
    .sgpr_count:     34
    .sgpr_spill_count: 0
    .symbol:         _ZN12_GLOBAL__N_127rocblas_gemm_batched_kernelI19rocblas_complex_numIfELi16ELi16ELi32ELi32ELi8ELi32ELi8ELi8ELi32ELc84ELc84EKS2_S3_S2_EEvlllT_PT11_llS6_llS4_PT12_llPT13_lli.kd
    .uniform_work_group_size: 1
    .uses_dynamic_stack: false
    .vgpr_count:     92
    .vgpr_spill_count: 0
    .wavefront_size: 32
    .workgroup_processor_mode: 1
  - .args:
      - .offset:         0
        .size:           8
        .value_kind:     by_value
      - .offset:         8
        .size:           8
        .value_kind:     by_value
      - .offset:         16
        .size:           8
        .value_kind:     by_value
      - .offset:         24
        .size:           8
        .value_kind:     by_value
      - .address_space:  global
        .offset:         32
        .size:           8
        .value_kind:     global_buffer
      - .offset:         40
        .size:           8
        .value_kind:     by_value
      - .offset:         48
        .size:           8
        .value_kind:     by_value
      - .address_space:  global
        .offset:         56
        .size:           8
        .value_kind:     global_buffer
      - .offset:         64
        .size:           8
        .value_kind:     by_value
      - .offset:         72
        .size:           8
        .value_kind:     by_value
      - .offset:         80
        .size:           8
        .value_kind:     by_value
      - .address_space:  global
        .offset:         88
        .size:           8
        .value_kind:     global_buffer
      - .offset:         96
        .size:           8
        .value_kind:     by_value
      - .offset:         104
        .size:           8
        .value_kind:     by_value
      - .address_space:  global
        .offset:         112
        .size:           8
        .value_kind:     global_buffer
      - .offset:         120
        .size:           8
        .value_kind:     by_value
      - .offset:         128
        .size:           8
        .value_kind:     by_value
      - .offset:         136
        .size:           4
        .value_kind:     by_value
    .group_segment_fixed_size: 4096
    .kernarg_segment_align: 8
    .kernarg_segment_size: 140
    .language:       OpenCL C
    .language_version:
      - 2
      - 0
    .max_flat_workgroup_size: 256
    .name:           _ZN12_GLOBAL__N_127rocblas_gemm_batched_kernelI19rocblas_complex_numIfELi16ELi16ELi32ELi32ELi8ELi32ELi8ELi8ELi32ELc67ELc67EKS2_S3_S2_EEvlllT_PT11_llS6_llS4_PT12_llPT13_lli
    .private_segment_fixed_size: 0
    .sgpr_count:     34
    .sgpr_spill_count: 0
    .symbol:         _ZN12_GLOBAL__N_127rocblas_gemm_batched_kernelI19rocblas_complex_numIfELi16ELi16ELi32ELi32ELi8ELi32ELi8ELi8ELi32ELc67ELc67EKS2_S3_S2_EEvlllT_PT11_llS6_llS4_PT12_llPT13_lli.kd
    .uniform_work_group_size: 1
    .uses_dynamic_stack: false
    .vgpr_count:     92
    .vgpr_spill_count: 0
    .wavefront_size: 32
    .workgroup_processor_mode: 1
  - .args:
      - .offset:         0
        .size:           8
        .value_kind:     by_value
      - .offset:         8
        .size:           8
        .value_kind:     by_value
      - .offset:         16
        .size:           8
        .value_kind:     by_value
      - .offset:         24
        .size:           8
        .value_kind:     by_value
      - .address_space:  global
        .offset:         32
        .size:           8
        .value_kind:     global_buffer
      - .offset:         40
        .size:           8
        .value_kind:     by_value
      - .offset:         48
        .size:           8
        .value_kind:     by_value
      - .address_space:  global
        .offset:         56
        .size:           8
        .value_kind:     global_buffer
      - .offset:         64
        .size:           8
        .value_kind:     by_value
      - .offset:         72
        .size:           8
        .value_kind:     by_value
      - .offset:         80
        .size:           8
        .value_kind:     by_value
      - .address_space:  global
        .offset:         88
        .size:           8
        .value_kind:     global_buffer
      - .offset:         96
        .size:           8
        .value_kind:     by_value
      - .offset:         104
        .size:           8
        .value_kind:     by_value
      - .address_space:  global
        .offset:         112
        .size:           8
        .value_kind:     global_buffer
      - .offset:         120
        .size:           8
        .value_kind:     by_value
      - .offset:         128
        .size:           8
        .value_kind:     by_value
      - .offset:         136
        .size:           4
        .value_kind:     by_value
    .group_segment_fixed_size: 4096
    .kernarg_segment_align: 8
    .kernarg_segment_size: 140
    .language:       OpenCL C
    .language_version:
      - 2
      - 0
    .max_flat_workgroup_size: 256
    .name:           _ZN12_GLOBAL__N_127rocblas_gemm_batched_kernelI19rocblas_complex_numIfELi16ELi16ELi32ELi32ELi8ELi32ELi8ELi8ELi32ELc67ELc78EKS2_S3_S2_EEvlllT_PT11_llS6_llS4_PT12_llPT13_lli
    .private_segment_fixed_size: 0
    .sgpr_count:     34
    .sgpr_spill_count: 0
    .symbol:         _ZN12_GLOBAL__N_127rocblas_gemm_batched_kernelI19rocblas_complex_numIfELi16ELi16ELi32ELi32ELi8ELi32ELi8ELi8ELi32ELc67ELc78EKS2_S3_S2_EEvlllT_PT11_llS6_llS4_PT12_llPT13_lli.kd
    .uniform_work_group_size: 1
    .uses_dynamic_stack: false
    .vgpr_count:     92
    .vgpr_spill_count: 0
    .wavefront_size: 32
    .workgroup_processor_mode: 1
  - .args:
      - .offset:         0
        .size:           8
        .value_kind:     by_value
      - .offset:         8
        .size:           8
        .value_kind:     by_value
      - .offset:         16
        .size:           8
        .value_kind:     by_value
      - .offset:         24
        .size:           8
        .value_kind:     by_value
      - .address_space:  global
        .offset:         32
        .size:           8
        .value_kind:     global_buffer
      - .offset:         40
        .size:           8
        .value_kind:     by_value
      - .offset:         48
        .size:           8
        .value_kind:     by_value
      - .address_space:  global
        .offset:         56
        .size:           8
        .value_kind:     global_buffer
      - .offset:         64
        .size:           8
        .value_kind:     by_value
      - .offset:         72
        .size:           8
        .value_kind:     by_value
      - .offset:         80
        .size:           8
        .value_kind:     by_value
      - .address_space:  global
        .offset:         88
        .size:           8
        .value_kind:     global_buffer
      - .offset:         96
        .size:           8
        .value_kind:     by_value
      - .offset:         104
        .size:           8
        .value_kind:     by_value
      - .address_space:  global
        .offset:         112
        .size:           8
        .value_kind:     global_buffer
      - .offset:         120
        .size:           8
        .value_kind:     by_value
      - .offset:         128
        .size:           8
        .value_kind:     by_value
      - .offset:         136
        .size:           4
        .value_kind:     by_value
    .group_segment_fixed_size: 4096
    .kernarg_segment_align: 8
    .kernarg_segment_size: 140
    .language:       OpenCL C
    .language_version:
      - 2
      - 0
    .max_flat_workgroup_size: 256
    .name:           _ZN12_GLOBAL__N_127rocblas_gemm_batched_kernelI19rocblas_complex_numIfELi16ELi16ELi32ELi32ELi8ELi32ELi8ELi8ELi32ELc67ELc84EKS2_S3_S2_EEvlllT_PT11_llS6_llS4_PT12_llPT13_lli
    .private_segment_fixed_size: 0
    .sgpr_count:     34
    .sgpr_spill_count: 0
    .symbol:         _ZN12_GLOBAL__N_127rocblas_gemm_batched_kernelI19rocblas_complex_numIfELi16ELi16ELi32ELi32ELi8ELi32ELi8ELi8ELi32ELc67ELc84EKS2_S3_S2_EEvlllT_PT11_llS6_llS4_PT12_llPT13_lli.kd
    .uniform_work_group_size: 1
    .uses_dynamic_stack: false
    .vgpr_count:     92
    .vgpr_spill_count: 0
    .wavefront_size: 32
    .workgroup_processor_mode: 1
  - .args:
      - .offset:         0
        .size:           8
        .value_kind:     by_value
      - .offset:         8
        .size:           8
        .value_kind:     by_value
      - .offset:         16
        .size:           8
        .value_kind:     by_value
      - .offset:         24
        .size:           8
        .value_kind:     by_value
      - .address_space:  global
        .offset:         32
        .size:           8
        .value_kind:     global_buffer
      - .offset:         40
        .size:           8
        .value_kind:     by_value
      - .offset:         48
        .size:           8
        .value_kind:     by_value
      - .address_space:  global
        .offset:         56
        .size:           8
        .value_kind:     global_buffer
      - .offset:         64
        .size:           8
        .value_kind:     by_value
      - .offset:         72
        .size:           8
        .value_kind:     by_value
      - .offset:         80
        .size:           8
        .value_kind:     by_value
      - .address_space:  global
        .offset:         88
        .size:           8
        .value_kind:     global_buffer
      - .offset:         96
        .size:           8
        .value_kind:     by_value
      - .offset:         104
        .size:           8
        .value_kind:     by_value
      - .address_space:  global
        .offset:         112
        .size:           8
        .value_kind:     global_buffer
      - .offset:         120
        .size:           8
        .value_kind:     by_value
      - .offset:         128
        .size:           8
        .value_kind:     by_value
      - .offset:         136
        .size:           4
        .value_kind:     by_value
    .group_segment_fixed_size: 4096
    .kernarg_segment_align: 8
    .kernarg_segment_size: 140
    .language:       OpenCL C
    .language_version:
      - 2
      - 0
    .max_flat_workgroup_size: 256
    .name:           _ZN12_GLOBAL__N_127rocblas_gemm_batched_kernelI19rocblas_complex_numIfELi16ELi16ELi32ELi32ELi8ELi32ELi8ELi8ELi32ELc78ELc67EKS2_S3_S2_EEvlllT_PT11_llS6_llS4_PT12_llPT13_lli
    .private_segment_fixed_size: 0
    .sgpr_count:     34
    .sgpr_spill_count: 0
    .symbol:         _ZN12_GLOBAL__N_127rocblas_gemm_batched_kernelI19rocblas_complex_numIfELi16ELi16ELi32ELi32ELi8ELi32ELi8ELi8ELi32ELc78ELc67EKS2_S3_S2_EEvlllT_PT11_llS6_llS4_PT12_llPT13_lli.kd
    .uniform_work_group_size: 1
    .uses_dynamic_stack: false
    .vgpr_count:     92
    .vgpr_spill_count: 0
    .wavefront_size: 32
    .workgroup_processor_mode: 1
  - .args:
      - .offset:         0
        .size:           8
        .value_kind:     by_value
      - .offset:         8
        .size:           8
        .value_kind:     by_value
      - .offset:         16
        .size:           8
        .value_kind:     by_value
      - .offset:         24
        .size:           8
        .value_kind:     by_value
      - .address_space:  global
        .offset:         32
        .size:           8
        .value_kind:     global_buffer
      - .offset:         40
        .size:           8
        .value_kind:     by_value
      - .offset:         48
        .size:           8
        .value_kind:     by_value
      - .address_space:  global
        .offset:         56
        .size:           8
        .value_kind:     global_buffer
      - .offset:         64
        .size:           8
        .value_kind:     by_value
      - .offset:         72
        .size:           8
        .value_kind:     by_value
      - .offset:         80
        .size:           8
        .value_kind:     by_value
      - .address_space:  global
        .offset:         88
        .size:           8
        .value_kind:     global_buffer
      - .offset:         96
        .size:           8
        .value_kind:     by_value
      - .offset:         104
        .size:           8
        .value_kind:     by_value
      - .address_space:  global
        .offset:         112
        .size:           8
        .value_kind:     global_buffer
      - .offset:         120
        .size:           8
        .value_kind:     by_value
      - .offset:         128
        .size:           8
        .value_kind:     by_value
      - .offset:         136
        .size:           4
        .value_kind:     by_value
    .group_segment_fixed_size: 4096
    .kernarg_segment_align: 8
    .kernarg_segment_size: 140
    .language:       OpenCL C
    .language_version:
      - 2
      - 0
    .max_flat_workgroup_size: 256
    .name:           _ZN12_GLOBAL__N_127rocblas_gemm_batched_kernelI19rocblas_complex_numIfELi16ELi16ELi32ELi32ELi8ELi32ELi8ELi8ELi32ELc84ELc67EKS2_S3_S2_EEvlllT_PT11_llS6_llS4_PT12_llPT13_lli
    .private_segment_fixed_size: 0
    .sgpr_count:     34
    .sgpr_spill_count: 0
    .symbol:         _ZN12_GLOBAL__N_127rocblas_gemm_batched_kernelI19rocblas_complex_numIfELi16ELi16ELi32ELi32ELi8ELi32ELi8ELi8ELi32ELc84ELc67EKS2_S3_S2_EEvlllT_PT11_llS6_llS4_PT12_llPT13_lli.kd
    .uniform_work_group_size: 1
    .uses_dynamic_stack: false
    .vgpr_count:     92
    .vgpr_spill_count: 0
    .wavefront_size: 32
    .workgroup_processor_mode: 1
  - .args:
      - .offset:         0
        .size:           8
        .value_kind:     by_value
      - .offset:         8
        .size:           8
        .value_kind:     by_value
      - .offset:         16
        .size:           8
        .value_kind:     by_value
      - .offset:         24
        .size:           8
        .value_kind:     by_value
      - .address_space:  global
        .offset:         32
        .size:           8
        .value_kind:     global_buffer
      - .offset:         40
        .size:           8
        .value_kind:     by_value
      - .offset:         48
        .size:           8
        .value_kind:     by_value
      - .address_space:  global
        .offset:         56
        .size:           8
        .value_kind:     global_buffer
      - .offset:         64
        .size:           8
        .value_kind:     by_value
      - .offset:         72
        .size:           8
        .value_kind:     by_value
      - .offset:         80
        .size:           8
        .value_kind:     by_value
      - .address_space:  global
        .offset:         88
        .size:           8
        .value_kind:     global_buffer
      - .offset:         96
        .size:           8
        .value_kind:     by_value
      - .offset:         104
        .size:           8
        .value_kind:     by_value
      - .address_space:  global
        .offset:         112
        .size:           8
        .value_kind:     global_buffer
      - .offset:         120
        .size:           8
        .value_kind:     by_value
      - .offset:         128
        .size:           8
        .value_kind:     by_value
      - .offset:         136
        .size:           4
        .value_kind:     by_value
    .group_segment_fixed_size: 4096
    .kernarg_segment_align: 8
    .kernarg_segment_size: 140
    .language:       OpenCL C
    .language_version:
      - 2
      - 0
    .max_flat_workgroup_size: 256
    .name:           _ZN12_GLOBAL__N_135rocblas_gemm_batched_general_kernelI19rocblas_complex_numIfELi16ELi16ELi32ELi32ELi8ELi32ELi8ELi8ELi32ELc78ELc78EKS2_S3_S2_EEvlllT_PT11_llS6_llS4_PT12_llPT13_lli
    .private_segment_fixed_size: 0
    .sgpr_count:     40
    .sgpr_spill_count: 0
    .symbol:         _ZN12_GLOBAL__N_135rocblas_gemm_batched_general_kernelI19rocblas_complex_numIfELi16ELi16ELi32ELi32ELi8ELi32ELi8ELi8ELi32ELc78ELc78EKS2_S3_S2_EEvlllT_PT11_llS6_llS4_PT12_llPT13_lli.kd
    .uniform_work_group_size: 1
    .uses_dynamic_stack: false
    .vgpr_count:     59
    .vgpr_spill_count: 0
    .wavefront_size: 32
    .workgroup_processor_mode: 1
  - .args:
      - .offset:         0
        .size:           8
        .value_kind:     by_value
      - .offset:         8
        .size:           8
        .value_kind:     by_value
      - .offset:         16
        .size:           8
        .value_kind:     by_value
      - .offset:         24
        .size:           8
        .value_kind:     by_value
      - .address_space:  global
        .offset:         32
        .size:           8
        .value_kind:     global_buffer
      - .offset:         40
        .size:           8
        .value_kind:     by_value
      - .offset:         48
        .size:           8
        .value_kind:     by_value
      - .address_space:  global
        .offset:         56
        .size:           8
        .value_kind:     global_buffer
      - .offset:         64
        .size:           8
        .value_kind:     by_value
      - .offset:         72
        .size:           8
        .value_kind:     by_value
      - .offset:         80
        .size:           8
        .value_kind:     by_value
      - .address_space:  global
        .offset:         88
        .size:           8
        .value_kind:     global_buffer
      - .offset:         96
        .size:           8
        .value_kind:     by_value
      - .offset:         104
        .size:           8
        .value_kind:     by_value
      - .address_space:  global
        .offset:         112
        .size:           8
        .value_kind:     global_buffer
      - .offset:         120
        .size:           8
        .value_kind:     by_value
      - .offset:         128
        .size:           8
        .value_kind:     by_value
      - .offset:         136
        .size:           4
        .value_kind:     by_value
    .group_segment_fixed_size: 4096
    .kernarg_segment_align: 8
    .kernarg_segment_size: 140
    .language:       OpenCL C
    .language_version:
      - 2
      - 0
    .max_flat_workgroup_size: 256
    .name:           _ZN12_GLOBAL__N_135rocblas_gemm_batched_general_kernelI19rocblas_complex_numIfELi16ELi16ELi32ELi32ELi8ELi32ELi8ELi8ELi32ELc84ELc78EKS2_S3_S2_EEvlllT_PT11_llS6_llS4_PT12_llPT13_lli
    .private_segment_fixed_size: 0
    .sgpr_count:     38
    .sgpr_spill_count: 0
    .symbol:         _ZN12_GLOBAL__N_135rocblas_gemm_batched_general_kernelI19rocblas_complex_numIfELi16ELi16ELi32ELi32ELi8ELi32ELi8ELi8ELi32ELc84ELc78EKS2_S3_S2_EEvlllT_PT11_llS6_llS4_PT12_llPT13_lli.kd
    .uniform_work_group_size: 1
    .uses_dynamic_stack: false
    .vgpr_count:     59
    .vgpr_spill_count: 0
    .wavefront_size: 32
    .workgroup_processor_mode: 1
  - .args:
      - .offset:         0
        .size:           8
        .value_kind:     by_value
      - .offset:         8
        .size:           8
        .value_kind:     by_value
      - .offset:         16
        .size:           8
        .value_kind:     by_value
      - .offset:         24
        .size:           8
        .value_kind:     by_value
      - .address_space:  global
        .offset:         32
        .size:           8
        .value_kind:     global_buffer
      - .offset:         40
        .size:           8
        .value_kind:     by_value
      - .offset:         48
        .size:           8
        .value_kind:     by_value
      - .address_space:  global
        .offset:         56
        .size:           8
        .value_kind:     global_buffer
      - .offset:         64
        .size:           8
        .value_kind:     by_value
      - .offset:         72
        .size:           8
        .value_kind:     by_value
      - .offset:         80
        .size:           8
        .value_kind:     by_value
      - .address_space:  global
        .offset:         88
        .size:           8
        .value_kind:     global_buffer
      - .offset:         96
        .size:           8
        .value_kind:     by_value
      - .offset:         104
        .size:           8
        .value_kind:     by_value
      - .address_space:  global
        .offset:         112
        .size:           8
        .value_kind:     global_buffer
      - .offset:         120
        .size:           8
        .value_kind:     by_value
      - .offset:         128
        .size:           8
        .value_kind:     by_value
      - .offset:         136
        .size:           4
        .value_kind:     by_value
    .group_segment_fixed_size: 4096
    .kernarg_segment_align: 8
    .kernarg_segment_size: 140
    .language:       OpenCL C
    .language_version:
      - 2
      - 0
    .max_flat_workgroup_size: 256
    .name:           _ZN12_GLOBAL__N_135rocblas_gemm_batched_general_kernelI19rocblas_complex_numIfELi16ELi16ELi32ELi32ELi8ELi32ELi8ELi8ELi32ELc78ELc84EKS2_S3_S2_EEvlllT_PT11_llS6_llS4_PT12_llPT13_lli
    .private_segment_fixed_size: 0
    .sgpr_count:     40
    .sgpr_spill_count: 0
    .symbol:         _ZN12_GLOBAL__N_135rocblas_gemm_batched_general_kernelI19rocblas_complex_numIfELi16ELi16ELi32ELi32ELi8ELi32ELi8ELi8ELi32ELc78ELc84EKS2_S3_S2_EEvlllT_PT11_llS6_llS4_PT12_llPT13_lli.kd
    .uniform_work_group_size: 1
    .uses_dynamic_stack: false
    .vgpr_count:     59
    .vgpr_spill_count: 0
    .wavefront_size: 32
    .workgroup_processor_mode: 1
  - .args:
      - .offset:         0
        .size:           8
        .value_kind:     by_value
      - .offset:         8
        .size:           8
        .value_kind:     by_value
      - .offset:         16
        .size:           8
        .value_kind:     by_value
      - .offset:         24
        .size:           8
        .value_kind:     by_value
      - .address_space:  global
        .offset:         32
        .size:           8
        .value_kind:     global_buffer
      - .offset:         40
        .size:           8
        .value_kind:     by_value
      - .offset:         48
        .size:           8
        .value_kind:     by_value
      - .address_space:  global
        .offset:         56
        .size:           8
        .value_kind:     global_buffer
      - .offset:         64
        .size:           8
        .value_kind:     by_value
      - .offset:         72
        .size:           8
        .value_kind:     by_value
      - .offset:         80
        .size:           8
        .value_kind:     by_value
      - .address_space:  global
        .offset:         88
        .size:           8
        .value_kind:     global_buffer
      - .offset:         96
        .size:           8
        .value_kind:     by_value
      - .offset:         104
        .size:           8
        .value_kind:     by_value
      - .address_space:  global
        .offset:         112
        .size:           8
        .value_kind:     global_buffer
      - .offset:         120
        .size:           8
        .value_kind:     by_value
      - .offset:         128
        .size:           8
        .value_kind:     by_value
      - .offset:         136
        .size:           4
        .value_kind:     by_value
    .group_segment_fixed_size: 4096
    .kernarg_segment_align: 8
    .kernarg_segment_size: 140
    .language:       OpenCL C
    .language_version:
      - 2
      - 0
    .max_flat_workgroup_size: 256
    .name:           _ZN12_GLOBAL__N_135rocblas_gemm_batched_general_kernelI19rocblas_complex_numIfELi16ELi16ELi32ELi32ELi8ELi32ELi8ELi8ELi32ELc84ELc84EKS2_S3_S2_EEvlllT_PT11_llS6_llS4_PT12_llPT13_lli
    .private_segment_fixed_size: 0
    .sgpr_count:     38
    .sgpr_spill_count: 0
    .symbol:         _ZN12_GLOBAL__N_135rocblas_gemm_batched_general_kernelI19rocblas_complex_numIfELi16ELi16ELi32ELi32ELi8ELi32ELi8ELi8ELi32ELc84ELc84EKS2_S3_S2_EEvlllT_PT11_llS6_llS4_PT12_llPT13_lli.kd
    .uniform_work_group_size: 1
    .uses_dynamic_stack: false
    .vgpr_count:     59
    .vgpr_spill_count: 0
    .wavefront_size: 32
    .workgroup_processor_mode: 1
  - .args:
      - .offset:         0
        .size:           8
        .value_kind:     by_value
      - .offset:         8
        .size:           8
        .value_kind:     by_value
      - .offset:         16
        .size:           8
        .value_kind:     by_value
      - .offset:         24
        .size:           8
        .value_kind:     by_value
      - .address_space:  global
        .offset:         32
        .size:           8
        .value_kind:     global_buffer
      - .offset:         40
        .size:           8
        .value_kind:     by_value
      - .offset:         48
        .size:           8
        .value_kind:     by_value
      - .address_space:  global
        .offset:         56
        .size:           8
        .value_kind:     global_buffer
      - .offset:         64
        .size:           8
        .value_kind:     by_value
      - .offset:         72
        .size:           8
        .value_kind:     by_value
      - .offset:         80
        .size:           8
        .value_kind:     by_value
      - .address_space:  global
        .offset:         88
        .size:           8
        .value_kind:     global_buffer
      - .offset:         96
        .size:           8
        .value_kind:     by_value
      - .offset:         104
        .size:           8
        .value_kind:     by_value
      - .address_space:  global
        .offset:         112
        .size:           8
        .value_kind:     global_buffer
      - .offset:         120
        .size:           8
        .value_kind:     by_value
      - .offset:         128
        .size:           8
        .value_kind:     by_value
      - .offset:         136
        .size:           4
        .value_kind:     by_value
    .group_segment_fixed_size: 4096
    .kernarg_segment_align: 8
    .kernarg_segment_size: 140
    .language:       OpenCL C
    .language_version:
      - 2
      - 0
    .max_flat_workgroup_size: 256
    .name:           _ZN12_GLOBAL__N_135rocblas_gemm_batched_general_kernelI19rocblas_complex_numIfELi16ELi16ELi32ELi32ELi8ELi32ELi8ELi8ELi32ELc67ELc67EKS2_S3_S2_EEvlllT_PT11_llS6_llS4_PT12_llPT13_lli
    .private_segment_fixed_size: 0
    .sgpr_count:     38
    .sgpr_spill_count: 0
    .symbol:         _ZN12_GLOBAL__N_135rocblas_gemm_batched_general_kernelI19rocblas_complex_numIfELi16ELi16ELi32ELi32ELi8ELi32ELi8ELi8ELi32ELc67ELc67EKS2_S3_S2_EEvlllT_PT11_llS6_llS4_PT12_llPT13_lli.kd
    .uniform_work_group_size: 1
    .uses_dynamic_stack: false
    .vgpr_count:     59
    .vgpr_spill_count: 0
    .wavefront_size: 32
    .workgroup_processor_mode: 1
  - .args:
      - .offset:         0
        .size:           8
        .value_kind:     by_value
      - .offset:         8
        .size:           8
        .value_kind:     by_value
      - .offset:         16
        .size:           8
        .value_kind:     by_value
      - .offset:         24
        .size:           8
        .value_kind:     by_value
      - .address_space:  global
        .offset:         32
        .size:           8
        .value_kind:     global_buffer
      - .offset:         40
        .size:           8
        .value_kind:     by_value
      - .offset:         48
        .size:           8
        .value_kind:     by_value
      - .address_space:  global
        .offset:         56
        .size:           8
        .value_kind:     global_buffer
      - .offset:         64
        .size:           8
        .value_kind:     by_value
      - .offset:         72
        .size:           8
        .value_kind:     by_value
      - .offset:         80
        .size:           8
        .value_kind:     by_value
      - .address_space:  global
        .offset:         88
        .size:           8
        .value_kind:     global_buffer
      - .offset:         96
        .size:           8
        .value_kind:     by_value
      - .offset:         104
        .size:           8
        .value_kind:     by_value
      - .address_space:  global
        .offset:         112
        .size:           8
        .value_kind:     global_buffer
      - .offset:         120
        .size:           8
        .value_kind:     by_value
      - .offset:         128
        .size:           8
        .value_kind:     by_value
      - .offset:         136
        .size:           4
        .value_kind:     by_value
    .group_segment_fixed_size: 4096
    .kernarg_segment_align: 8
    .kernarg_segment_size: 140
    .language:       OpenCL C
    .language_version:
      - 2
      - 0
    .max_flat_workgroup_size: 256
    .name:           _ZN12_GLOBAL__N_135rocblas_gemm_batched_general_kernelI19rocblas_complex_numIfELi16ELi16ELi32ELi32ELi8ELi32ELi8ELi8ELi32ELc67ELc78EKS2_S3_S2_EEvlllT_PT11_llS6_llS4_PT12_llPT13_lli
    .private_segment_fixed_size: 0
    .sgpr_count:     38
    .sgpr_spill_count: 0
    .symbol:         _ZN12_GLOBAL__N_135rocblas_gemm_batched_general_kernelI19rocblas_complex_numIfELi16ELi16ELi32ELi32ELi8ELi32ELi8ELi8ELi32ELc67ELc78EKS2_S3_S2_EEvlllT_PT11_llS6_llS4_PT12_llPT13_lli.kd
    .uniform_work_group_size: 1
    .uses_dynamic_stack: false
    .vgpr_count:     59
    .vgpr_spill_count: 0
    .wavefront_size: 32
    .workgroup_processor_mode: 1
  - .args:
      - .offset:         0
        .size:           8
        .value_kind:     by_value
      - .offset:         8
        .size:           8
        .value_kind:     by_value
      - .offset:         16
        .size:           8
        .value_kind:     by_value
      - .offset:         24
        .size:           8
        .value_kind:     by_value
      - .address_space:  global
        .offset:         32
        .size:           8
        .value_kind:     global_buffer
      - .offset:         40
        .size:           8
        .value_kind:     by_value
      - .offset:         48
        .size:           8
        .value_kind:     by_value
      - .address_space:  global
        .offset:         56
        .size:           8
        .value_kind:     global_buffer
      - .offset:         64
        .size:           8
        .value_kind:     by_value
      - .offset:         72
        .size:           8
        .value_kind:     by_value
      - .offset:         80
        .size:           8
        .value_kind:     by_value
      - .address_space:  global
        .offset:         88
        .size:           8
        .value_kind:     global_buffer
      - .offset:         96
        .size:           8
        .value_kind:     by_value
      - .offset:         104
        .size:           8
        .value_kind:     by_value
      - .address_space:  global
        .offset:         112
        .size:           8
        .value_kind:     global_buffer
      - .offset:         120
        .size:           8
        .value_kind:     by_value
      - .offset:         128
        .size:           8
        .value_kind:     by_value
      - .offset:         136
        .size:           4
        .value_kind:     by_value
    .group_segment_fixed_size: 4096
    .kernarg_segment_align: 8
    .kernarg_segment_size: 140
    .language:       OpenCL C
    .language_version:
      - 2
      - 0
    .max_flat_workgroup_size: 256
    .name:           _ZN12_GLOBAL__N_135rocblas_gemm_batched_general_kernelI19rocblas_complex_numIfELi16ELi16ELi32ELi32ELi8ELi32ELi8ELi8ELi32ELc67ELc84EKS2_S3_S2_EEvlllT_PT11_llS6_llS4_PT12_llPT13_lli
    .private_segment_fixed_size: 0
    .sgpr_count:     38
    .sgpr_spill_count: 0
    .symbol:         _ZN12_GLOBAL__N_135rocblas_gemm_batched_general_kernelI19rocblas_complex_numIfELi16ELi16ELi32ELi32ELi8ELi32ELi8ELi8ELi32ELc67ELc84EKS2_S3_S2_EEvlllT_PT11_llS6_llS4_PT12_llPT13_lli.kd
    .uniform_work_group_size: 1
    .uses_dynamic_stack: false
    .vgpr_count:     59
    .vgpr_spill_count: 0
    .wavefront_size: 32
    .workgroup_processor_mode: 1
  - .args:
      - .offset:         0
        .size:           8
        .value_kind:     by_value
      - .offset:         8
        .size:           8
        .value_kind:     by_value
      - .offset:         16
        .size:           8
        .value_kind:     by_value
      - .offset:         24
        .size:           8
        .value_kind:     by_value
      - .address_space:  global
        .offset:         32
        .size:           8
        .value_kind:     global_buffer
      - .offset:         40
        .size:           8
        .value_kind:     by_value
      - .offset:         48
        .size:           8
        .value_kind:     by_value
      - .address_space:  global
        .offset:         56
        .size:           8
        .value_kind:     global_buffer
      - .offset:         64
        .size:           8
        .value_kind:     by_value
      - .offset:         72
        .size:           8
        .value_kind:     by_value
      - .offset:         80
        .size:           8
        .value_kind:     by_value
      - .address_space:  global
        .offset:         88
        .size:           8
        .value_kind:     global_buffer
      - .offset:         96
        .size:           8
        .value_kind:     by_value
      - .offset:         104
        .size:           8
        .value_kind:     by_value
      - .address_space:  global
        .offset:         112
        .size:           8
        .value_kind:     global_buffer
      - .offset:         120
        .size:           8
        .value_kind:     by_value
      - .offset:         128
        .size:           8
        .value_kind:     by_value
      - .offset:         136
        .size:           4
        .value_kind:     by_value
    .group_segment_fixed_size: 4096
    .kernarg_segment_align: 8
    .kernarg_segment_size: 140
    .language:       OpenCL C
    .language_version:
      - 2
      - 0
    .max_flat_workgroup_size: 256
    .name:           _ZN12_GLOBAL__N_135rocblas_gemm_batched_general_kernelI19rocblas_complex_numIfELi16ELi16ELi32ELi32ELi8ELi32ELi8ELi8ELi32ELc78ELc67EKS2_S3_S2_EEvlllT_PT11_llS6_llS4_PT12_llPT13_lli
    .private_segment_fixed_size: 0
    .sgpr_count:     40
    .sgpr_spill_count: 0
    .symbol:         _ZN12_GLOBAL__N_135rocblas_gemm_batched_general_kernelI19rocblas_complex_numIfELi16ELi16ELi32ELi32ELi8ELi32ELi8ELi8ELi32ELc78ELc67EKS2_S3_S2_EEvlllT_PT11_llS6_llS4_PT12_llPT13_lli.kd
    .uniform_work_group_size: 1
    .uses_dynamic_stack: false
    .vgpr_count:     59
    .vgpr_spill_count: 0
    .wavefront_size: 32
    .workgroup_processor_mode: 1
  - .args:
      - .offset:         0
        .size:           8
        .value_kind:     by_value
      - .offset:         8
        .size:           8
        .value_kind:     by_value
      - .offset:         16
        .size:           8
        .value_kind:     by_value
      - .offset:         24
        .size:           8
        .value_kind:     by_value
      - .address_space:  global
        .offset:         32
        .size:           8
        .value_kind:     global_buffer
      - .offset:         40
        .size:           8
        .value_kind:     by_value
      - .offset:         48
        .size:           8
        .value_kind:     by_value
      - .address_space:  global
        .offset:         56
        .size:           8
        .value_kind:     global_buffer
      - .offset:         64
        .size:           8
        .value_kind:     by_value
      - .offset:         72
        .size:           8
        .value_kind:     by_value
      - .offset:         80
        .size:           8
        .value_kind:     by_value
      - .address_space:  global
        .offset:         88
        .size:           8
        .value_kind:     global_buffer
      - .offset:         96
        .size:           8
        .value_kind:     by_value
      - .offset:         104
        .size:           8
        .value_kind:     by_value
      - .address_space:  global
        .offset:         112
        .size:           8
        .value_kind:     global_buffer
      - .offset:         120
        .size:           8
        .value_kind:     by_value
      - .offset:         128
        .size:           8
        .value_kind:     by_value
      - .offset:         136
        .size:           4
        .value_kind:     by_value
    .group_segment_fixed_size: 4096
    .kernarg_segment_align: 8
    .kernarg_segment_size: 140
    .language:       OpenCL C
    .language_version:
      - 2
      - 0
    .max_flat_workgroup_size: 256
    .name:           _ZN12_GLOBAL__N_135rocblas_gemm_batched_general_kernelI19rocblas_complex_numIfELi16ELi16ELi32ELi32ELi8ELi32ELi8ELi8ELi32ELc84ELc67EKS2_S3_S2_EEvlllT_PT11_llS6_llS4_PT12_llPT13_lli
    .private_segment_fixed_size: 0
    .sgpr_count:     38
    .sgpr_spill_count: 0
    .symbol:         _ZN12_GLOBAL__N_135rocblas_gemm_batched_general_kernelI19rocblas_complex_numIfELi16ELi16ELi32ELi32ELi8ELi32ELi8ELi8ELi32ELc84ELc67EKS2_S3_S2_EEvlllT_PT11_llS6_llS4_PT12_llPT13_lli.kd
    .uniform_work_group_size: 1
    .uses_dynamic_stack: false
    .vgpr_count:     59
    .vgpr_spill_count: 0
    .wavefront_size: 32
    .workgroup_processor_mode: 1
  - .args:
      - .offset:         0
        .size:           4
        .value_kind:     by_value
      - .offset:         4
        .size:           4
        .value_kind:     by_value
      - .offset:         8
        .size:           16
        .value_kind:     by_value
      - .address_space:  global
        .offset:         24
        .size:           8
        .value_kind:     global_buffer
      - .offset:         32
        .size:           8
        .value_kind:     by_value
      - .offset:         40
        .size:           8
        .value_kind:     by_value
      - .offset:         48
        .size:           8
        .value_kind:     by_value
      - .offset:         56
        .size:           4
        .value_kind:     by_value
    .group_segment_fixed_size: 0
    .kernarg_segment_align: 8
    .kernarg_segment_size: 60
    .language:       OpenCL C
    .language_version:
      - 2
      - 0
    .max_flat_workgroup_size: 1024
    .name:           _ZN12_GLOBAL__N_125rocblas_gemm_scale_kernelILi32ELi32E19rocblas_complex_numIdEPS2_EEviiT1_T2_llli
    .private_segment_fixed_size: 0
    .sgpr_count:     22
    .sgpr_spill_count: 0
    .symbol:         _ZN12_GLOBAL__N_125rocblas_gemm_scale_kernelILi32ELi32E19rocblas_complex_numIdEPS2_EEviiT1_T2_llli.kd
    .uniform_work_group_size: 1
    .uses_dynamic_stack: false
    .vgpr_count:     12
    .vgpr_spill_count: 0
    .wavefront_size: 32
    .workgroup_processor_mode: 1
  - .args:
      - .offset:         0
        .size:           4
        .value_kind:     by_value
      - .offset:         4
        .size:           4
        .value_kind:     by_value
      - .offset:         8
        .size:           16
        .value_kind:     by_value
      - .address_space:  global
        .offset:         24
        .size:           8
        .value_kind:     global_buffer
      - .offset:         32
        .size:           8
        .value_kind:     by_value
      - .offset:         40
        .size:           8
        .value_kind:     by_value
      - .offset:         48
        .size:           8
        .value_kind:     by_value
      - .address_space:  global
        .offset:         56
        .size:           8
        .value_kind:     global_buffer
      - .offset:         64
        .size:           8
        .value_kind:     by_value
      - .offset:         72
        .size:           8
        .value_kind:     by_value
      - .offset:         80
        .size:           8
        .value_kind:     by_value
      - .offset:         88
        .size:           4
        .value_kind:     by_value
    .group_segment_fixed_size: 0
    .kernarg_segment_align: 8
    .kernarg_segment_size: 92
    .language:       OpenCL C
    .language_version:
      - 2
      - 0
    .max_flat_workgroup_size: 1024
    .name:           _ZN12_GLOBAL__N_120gemm_ex_scale_kernelILi32ELi32E19rocblas_complex_numIdEPKS2_PS2_EEviiT1_T2_lllT3_llli
    .private_segment_fixed_size: 0
    .sgpr_count:     30
    .sgpr_spill_count: 0
    .symbol:         _ZN12_GLOBAL__N_120gemm_ex_scale_kernelILi32ELi32E19rocblas_complex_numIdEPKS2_PS2_EEviiT1_T2_lllT3_llli.kd
    .uniform_work_group_size: 1
    .uses_dynamic_stack: false
    .vgpr_count:     11
    .vgpr_spill_count: 0
    .wavefront_size: 32
    .workgroup_processor_mode: 1
  - .args:
      - .offset:         0
        .size:           8
        .value_kind:     by_value
      - .offset:         8
        .size:           8
        .value_kind:     by_value
      - .offset:         16
        .size:           8
        .value_kind:     by_value
      - .offset:         24
        .size:           16
        .value_kind:     by_value
      - .address_space:  global
        .offset:         40
        .size:           8
        .value_kind:     global_buffer
      - .offset:         48
        .size:           8
        .value_kind:     by_value
      - .offset:         56
        .size:           8
        .value_kind:     by_value
      - .address_space:  global
        .offset:         64
        .size:           8
        .value_kind:     global_buffer
      - .offset:         72
        .size:           8
        .value_kind:     by_value
      - .offset:         80
        .size:           8
        .value_kind:     by_value
      - .offset:         88
        .size:           16
        .value_kind:     by_value
      - .address_space:  global
        .offset:         104
        .size:           8
        .value_kind:     global_buffer
      - .offset:         112
        .size:           8
        .value_kind:     by_value
      - .offset:         120
        .size:           8
        .value_kind:     by_value
      - .address_space:  global
        .offset:         128
        .size:           8
        .value_kind:     global_buffer
      - .offset:         136
        .size:           8
        .value_kind:     by_value
      - .offset:         144
        .size:           8
        .value_kind:     by_value
      - .offset:         152
        .size:           4
        .value_kind:     by_value
    .group_segment_fixed_size: 8192
    .kernarg_segment_align: 8
    .kernarg_segment_size: 156
    .language:       OpenCL C
    .language_version:
      - 2
      - 0
    .max_flat_workgroup_size: 256
    .name:           _ZN12_GLOBAL__N_127rocblas_gemm_batched_kernelI19rocblas_complex_numIdELi16ELi16ELi64ELi64ELi4ELi64ELi4ELi4ELi64ELc78ELc78EKS2_S3_S2_EEvlllT_PT11_llS6_llS4_PT12_llPT13_lli
    .private_segment_fixed_size: 0
    .sgpr_count:     54
    .sgpr_spill_count: 0
    .symbol:         _ZN12_GLOBAL__N_127rocblas_gemm_batched_kernelI19rocblas_complex_numIdELi16ELi16ELi64ELi64ELi4ELi64ELi4ELi4ELi64ELc78ELc78EKS2_S3_S2_EEvlllT_PT11_llS6_llS4_PT12_llPT13_lli.kd
    .uniform_work_group_size: 1
    .uses_dynamic_stack: false
    .vgpr_count:     138
    .vgpr_spill_count: 0
    .wavefront_size: 32
    .workgroup_processor_mode: 1
  - .args:
      - .offset:         0
        .size:           8
        .value_kind:     by_value
      - .offset:         8
        .size:           8
        .value_kind:     by_value
      - .offset:         16
        .size:           8
        .value_kind:     by_value
      - .offset:         24
        .size:           16
        .value_kind:     by_value
      - .address_space:  global
        .offset:         40
        .size:           8
        .value_kind:     global_buffer
      - .offset:         48
        .size:           8
        .value_kind:     by_value
      - .offset:         56
        .size:           8
        .value_kind:     by_value
      - .address_space:  global
        .offset:         64
        .size:           8
        .value_kind:     global_buffer
      - .offset:         72
        .size:           8
        .value_kind:     by_value
      - .offset:         80
        .size:           8
        .value_kind:     by_value
      - .offset:         88
        .size:           16
        .value_kind:     by_value
      - .address_space:  global
        .offset:         104
        .size:           8
        .value_kind:     global_buffer
      - .offset:         112
        .size:           8
        .value_kind:     by_value
      - .offset:         120
        .size:           8
        .value_kind:     by_value
      - .address_space:  global
        .offset:         128
        .size:           8
        .value_kind:     global_buffer
      - .offset:         136
        .size:           8
        .value_kind:     by_value
      - .offset:         144
        .size:           8
        .value_kind:     by_value
      - .offset:         152
        .size:           4
        .value_kind:     by_value
    .group_segment_fixed_size: 8192
    .kernarg_segment_align: 8
    .kernarg_segment_size: 156
    .language:       OpenCL C
    .language_version:
      - 2
      - 0
    .max_flat_workgroup_size: 256
    .name:           _ZN12_GLOBAL__N_127rocblas_gemm_batched_kernelI19rocblas_complex_numIdELi16ELi16ELi64ELi64ELi4ELi64ELi4ELi4ELi64ELc84ELc78EKS2_S3_S2_EEvlllT_PT11_llS6_llS4_PT12_llPT13_lli
    .private_segment_fixed_size: 0
    .sgpr_count:     54
    .sgpr_spill_count: 0
    .symbol:         _ZN12_GLOBAL__N_127rocblas_gemm_batched_kernelI19rocblas_complex_numIdELi16ELi16ELi64ELi64ELi4ELi64ELi4ELi4ELi64ELc84ELc78EKS2_S3_S2_EEvlllT_PT11_llS6_llS4_PT12_llPT13_lli.kd
    .uniform_work_group_size: 1
    .uses_dynamic_stack: false
    .vgpr_count:     138
    .vgpr_spill_count: 0
    .wavefront_size: 32
    .workgroup_processor_mode: 1
  - .args:
      - .offset:         0
        .size:           8
        .value_kind:     by_value
      - .offset:         8
        .size:           8
        .value_kind:     by_value
      - .offset:         16
        .size:           8
        .value_kind:     by_value
      - .offset:         24
        .size:           16
        .value_kind:     by_value
      - .address_space:  global
        .offset:         40
        .size:           8
        .value_kind:     global_buffer
      - .offset:         48
        .size:           8
        .value_kind:     by_value
      - .offset:         56
        .size:           8
        .value_kind:     by_value
      - .address_space:  global
        .offset:         64
        .size:           8
        .value_kind:     global_buffer
      - .offset:         72
        .size:           8
        .value_kind:     by_value
      - .offset:         80
        .size:           8
        .value_kind:     by_value
      - .offset:         88
        .size:           16
        .value_kind:     by_value
      - .address_space:  global
        .offset:         104
        .size:           8
        .value_kind:     global_buffer
      - .offset:         112
        .size:           8
        .value_kind:     by_value
      - .offset:         120
        .size:           8
        .value_kind:     by_value
      - .address_space:  global
        .offset:         128
        .size:           8
        .value_kind:     global_buffer
      - .offset:         136
        .size:           8
        .value_kind:     by_value
      - .offset:         144
        .size:           8
        .value_kind:     by_value
      - .offset:         152
        .size:           4
        .value_kind:     by_value
    .group_segment_fixed_size: 8192
    .kernarg_segment_align: 8
    .kernarg_segment_size: 156
    .language:       OpenCL C
    .language_version:
      - 2
      - 0
    .max_flat_workgroup_size: 256
    .name:           _ZN12_GLOBAL__N_127rocblas_gemm_batched_kernelI19rocblas_complex_numIdELi16ELi16ELi64ELi64ELi4ELi64ELi4ELi4ELi64ELc78ELc84EKS2_S3_S2_EEvlllT_PT11_llS6_llS4_PT12_llPT13_lli
    .private_segment_fixed_size: 0
    .sgpr_count:     54
    .sgpr_spill_count: 0
    .symbol:         _ZN12_GLOBAL__N_127rocblas_gemm_batched_kernelI19rocblas_complex_numIdELi16ELi16ELi64ELi64ELi4ELi64ELi4ELi4ELi64ELc78ELc84EKS2_S3_S2_EEvlllT_PT11_llS6_llS4_PT12_llPT13_lli.kd
    .uniform_work_group_size: 1
    .uses_dynamic_stack: false
    .vgpr_count:     138
    .vgpr_spill_count: 0
    .wavefront_size: 32
    .workgroup_processor_mode: 1
  - .args:
      - .offset:         0
        .size:           8
        .value_kind:     by_value
      - .offset:         8
        .size:           8
        .value_kind:     by_value
      - .offset:         16
        .size:           8
        .value_kind:     by_value
      - .offset:         24
        .size:           16
        .value_kind:     by_value
      - .address_space:  global
        .offset:         40
        .size:           8
        .value_kind:     global_buffer
      - .offset:         48
        .size:           8
        .value_kind:     by_value
      - .offset:         56
        .size:           8
        .value_kind:     by_value
      - .address_space:  global
        .offset:         64
        .size:           8
        .value_kind:     global_buffer
      - .offset:         72
        .size:           8
        .value_kind:     by_value
      - .offset:         80
        .size:           8
        .value_kind:     by_value
      - .offset:         88
        .size:           16
        .value_kind:     by_value
      - .address_space:  global
        .offset:         104
        .size:           8
        .value_kind:     global_buffer
      - .offset:         112
        .size:           8
        .value_kind:     by_value
      - .offset:         120
        .size:           8
        .value_kind:     by_value
      - .address_space:  global
        .offset:         128
        .size:           8
        .value_kind:     global_buffer
      - .offset:         136
        .size:           8
        .value_kind:     by_value
      - .offset:         144
        .size:           8
        .value_kind:     by_value
      - .offset:         152
        .size:           4
        .value_kind:     by_value
    .group_segment_fixed_size: 8192
    .kernarg_segment_align: 8
    .kernarg_segment_size: 156
    .language:       OpenCL C
    .language_version:
      - 2
      - 0
    .max_flat_workgroup_size: 256
    .name:           _ZN12_GLOBAL__N_127rocblas_gemm_batched_kernelI19rocblas_complex_numIdELi16ELi16ELi64ELi64ELi4ELi64ELi4ELi4ELi64ELc84ELc84EKS2_S3_S2_EEvlllT_PT11_llS6_llS4_PT12_llPT13_lli
    .private_segment_fixed_size: 0
    .sgpr_count:     54
    .sgpr_spill_count: 0
    .symbol:         _ZN12_GLOBAL__N_127rocblas_gemm_batched_kernelI19rocblas_complex_numIdELi16ELi16ELi64ELi64ELi4ELi64ELi4ELi4ELi64ELc84ELc84EKS2_S3_S2_EEvlllT_PT11_llS6_llS4_PT12_llPT13_lli.kd
    .uniform_work_group_size: 1
    .uses_dynamic_stack: false
    .vgpr_count:     138
    .vgpr_spill_count: 0
    .wavefront_size: 32
    .workgroup_processor_mode: 1
  - .args:
      - .offset:         0
        .size:           8
        .value_kind:     by_value
      - .offset:         8
        .size:           8
        .value_kind:     by_value
      - .offset:         16
        .size:           8
        .value_kind:     by_value
      - .offset:         24
        .size:           16
        .value_kind:     by_value
      - .address_space:  global
        .offset:         40
        .size:           8
        .value_kind:     global_buffer
      - .offset:         48
        .size:           8
        .value_kind:     by_value
      - .offset:         56
        .size:           8
        .value_kind:     by_value
      - .address_space:  global
        .offset:         64
        .size:           8
        .value_kind:     global_buffer
      - .offset:         72
        .size:           8
        .value_kind:     by_value
      - .offset:         80
        .size:           8
        .value_kind:     by_value
      - .offset:         88
        .size:           16
        .value_kind:     by_value
      - .address_space:  global
        .offset:         104
        .size:           8
        .value_kind:     global_buffer
      - .offset:         112
        .size:           8
        .value_kind:     by_value
      - .offset:         120
        .size:           8
        .value_kind:     by_value
      - .address_space:  global
        .offset:         128
        .size:           8
        .value_kind:     global_buffer
      - .offset:         136
        .size:           8
        .value_kind:     by_value
      - .offset:         144
        .size:           8
        .value_kind:     by_value
      - .offset:         152
        .size:           4
        .value_kind:     by_value
    .group_segment_fixed_size: 8192
    .kernarg_segment_align: 8
    .kernarg_segment_size: 156
    .language:       OpenCL C
    .language_version:
      - 2
      - 0
    .max_flat_workgroup_size: 256
    .name:           _ZN12_GLOBAL__N_127rocblas_gemm_batched_kernelI19rocblas_complex_numIdELi16ELi16ELi64ELi64ELi4ELi64ELi4ELi4ELi64ELc67ELc67EKS2_S3_S2_EEvlllT_PT11_llS6_llS4_PT12_llPT13_lli
    .private_segment_fixed_size: 0
    .sgpr_count:     54
    .sgpr_spill_count: 0
    .symbol:         _ZN12_GLOBAL__N_127rocblas_gemm_batched_kernelI19rocblas_complex_numIdELi16ELi16ELi64ELi64ELi4ELi64ELi4ELi4ELi64ELc67ELc67EKS2_S3_S2_EEvlllT_PT11_llS6_llS4_PT12_llPT13_lli.kd
    .uniform_work_group_size: 1
    .uses_dynamic_stack: false
    .vgpr_count:     138
    .vgpr_spill_count: 0
    .wavefront_size: 32
    .workgroup_processor_mode: 1
  - .args:
      - .offset:         0
        .size:           8
        .value_kind:     by_value
      - .offset:         8
        .size:           8
        .value_kind:     by_value
      - .offset:         16
        .size:           8
        .value_kind:     by_value
      - .offset:         24
        .size:           16
        .value_kind:     by_value
      - .address_space:  global
        .offset:         40
        .size:           8
        .value_kind:     global_buffer
      - .offset:         48
        .size:           8
        .value_kind:     by_value
      - .offset:         56
        .size:           8
        .value_kind:     by_value
      - .address_space:  global
        .offset:         64
        .size:           8
        .value_kind:     global_buffer
      - .offset:         72
        .size:           8
        .value_kind:     by_value
      - .offset:         80
        .size:           8
        .value_kind:     by_value
      - .offset:         88
        .size:           16
        .value_kind:     by_value
      - .address_space:  global
        .offset:         104
        .size:           8
        .value_kind:     global_buffer
      - .offset:         112
        .size:           8
        .value_kind:     by_value
      - .offset:         120
        .size:           8
        .value_kind:     by_value
      - .address_space:  global
        .offset:         128
        .size:           8
        .value_kind:     global_buffer
      - .offset:         136
        .size:           8
        .value_kind:     by_value
      - .offset:         144
        .size:           8
        .value_kind:     by_value
      - .offset:         152
        .size:           4
        .value_kind:     by_value
    .group_segment_fixed_size: 8192
    .kernarg_segment_align: 8
    .kernarg_segment_size: 156
    .language:       OpenCL C
    .language_version:
      - 2
      - 0
    .max_flat_workgroup_size: 256
    .name:           _ZN12_GLOBAL__N_127rocblas_gemm_batched_kernelI19rocblas_complex_numIdELi16ELi16ELi64ELi64ELi4ELi64ELi4ELi4ELi64ELc67ELc78EKS2_S3_S2_EEvlllT_PT11_llS6_llS4_PT12_llPT13_lli
    .private_segment_fixed_size: 0
    .sgpr_count:     54
    .sgpr_spill_count: 0
    .symbol:         _ZN12_GLOBAL__N_127rocblas_gemm_batched_kernelI19rocblas_complex_numIdELi16ELi16ELi64ELi64ELi4ELi64ELi4ELi4ELi64ELc67ELc78EKS2_S3_S2_EEvlllT_PT11_llS6_llS4_PT12_llPT13_lli.kd
    .uniform_work_group_size: 1
    .uses_dynamic_stack: false
    .vgpr_count:     138
    .vgpr_spill_count: 0
    .wavefront_size: 32
    .workgroup_processor_mode: 1
  - .args:
      - .offset:         0
        .size:           8
        .value_kind:     by_value
      - .offset:         8
        .size:           8
        .value_kind:     by_value
      - .offset:         16
        .size:           8
        .value_kind:     by_value
      - .offset:         24
        .size:           16
        .value_kind:     by_value
      - .address_space:  global
        .offset:         40
        .size:           8
        .value_kind:     global_buffer
      - .offset:         48
        .size:           8
        .value_kind:     by_value
      - .offset:         56
        .size:           8
        .value_kind:     by_value
      - .address_space:  global
        .offset:         64
        .size:           8
        .value_kind:     global_buffer
      - .offset:         72
        .size:           8
        .value_kind:     by_value
      - .offset:         80
        .size:           8
        .value_kind:     by_value
      - .offset:         88
        .size:           16
        .value_kind:     by_value
      - .address_space:  global
        .offset:         104
        .size:           8
        .value_kind:     global_buffer
      - .offset:         112
        .size:           8
        .value_kind:     by_value
      - .offset:         120
        .size:           8
        .value_kind:     by_value
      - .address_space:  global
        .offset:         128
        .size:           8
        .value_kind:     global_buffer
      - .offset:         136
        .size:           8
        .value_kind:     by_value
      - .offset:         144
        .size:           8
        .value_kind:     by_value
      - .offset:         152
        .size:           4
        .value_kind:     by_value
    .group_segment_fixed_size: 8192
    .kernarg_segment_align: 8
    .kernarg_segment_size: 156
    .language:       OpenCL C
    .language_version:
      - 2
      - 0
    .max_flat_workgroup_size: 256
    .name:           _ZN12_GLOBAL__N_127rocblas_gemm_batched_kernelI19rocblas_complex_numIdELi16ELi16ELi64ELi64ELi4ELi64ELi4ELi4ELi64ELc67ELc84EKS2_S3_S2_EEvlllT_PT11_llS6_llS4_PT12_llPT13_lli
    .private_segment_fixed_size: 0
    .sgpr_count:     54
    .sgpr_spill_count: 0
    .symbol:         _ZN12_GLOBAL__N_127rocblas_gemm_batched_kernelI19rocblas_complex_numIdELi16ELi16ELi64ELi64ELi4ELi64ELi4ELi4ELi64ELc67ELc84EKS2_S3_S2_EEvlllT_PT11_llS6_llS4_PT12_llPT13_lli.kd
    .uniform_work_group_size: 1
    .uses_dynamic_stack: false
    .vgpr_count:     138
    .vgpr_spill_count: 0
    .wavefront_size: 32
    .workgroup_processor_mode: 1
  - .args:
      - .offset:         0
        .size:           8
        .value_kind:     by_value
      - .offset:         8
        .size:           8
        .value_kind:     by_value
      - .offset:         16
        .size:           8
        .value_kind:     by_value
      - .offset:         24
        .size:           16
        .value_kind:     by_value
      - .address_space:  global
        .offset:         40
        .size:           8
        .value_kind:     global_buffer
      - .offset:         48
        .size:           8
        .value_kind:     by_value
      - .offset:         56
        .size:           8
        .value_kind:     by_value
      - .address_space:  global
        .offset:         64
        .size:           8
        .value_kind:     global_buffer
      - .offset:         72
        .size:           8
        .value_kind:     by_value
      - .offset:         80
        .size:           8
        .value_kind:     by_value
      - .offset:         88
        .size:           16
        .value_kind:     by_value
      - .address_space:  global
        .offset:         104
        .size:           8
        .value_kind:     global_buffer
      - .offset:         112
        .size:           8
        .value_kind:     by_value
      - .offset:         120
        .size:           8
        .value_kind:     by_value
      - .address_space:  global
        .offset:         128
        .size:           8
        .value_kind:     global_buffer
      - .offset:         136
        .size:           8
        .value_kind:     by_value
      - .offset:         144
        .size:           8
        .value_kind:     by_value
      - .offset:         152
        .size:           4
        .value_kind:     by_value
    .group_segment_fixed_size: 8192
    .kernarg_segment_align: 8
    .kernarg_segment_size: 156
    .language:       OpenCL C
    .language_version:
      - 2
      - 0
    .max_flat_workgroup_size: 256
    .name:           _ZN12_GLOBAL__N_127rocblas_gemm_batched_kernelI19rocblas_complex_numIdELi16ELi16ELi64ELi64ELi4ELi64ELi4ELi4ELi64ELc78ELc67EKS2_S3_S2_EEvlllT_PT11_llS6_llS4_PT12_llPT13_lli
    .private_segment_fixed_size: 0
    .sgpr_count:     54
    .sgpr_spill_count: 0
    .symbol:         _ZN12_GLOBAL__N_127rocblas_gemm_batched_kernelI19rocblas_complex_numIdELi16ELi16ELi64ELi64ELi4ELi64ELi4ELi4ELi64ELc78ELc67EKS2_S3_S2_EEvlllT_PT11_llS6_llS4_PT12_llPT13_lli.kd
    .uniform_work_group_size: 1
    .uses_dynamic_stack: false
    .vgpr_count:     138
    .vgpr_spill_count: 0
    .wavefront_size: 32
    .workgroup_processor_mode: 1
  - .args:
      - .offset:         0
        .size:           8
        .value_kind:     by_value
      - .offset:         8
        .size:           8
        .value_kind:     by_value
      - .offset:         16
        .size:           8
        .value_kind:     by_value
      - .offset:         24
        .size:           16
        .value_kind:     by_value
      - .address_space:  global
        .offset:         40
        .size:           8
        .value_kind:     global_buffer
      - .offset:         48
        .size:           8
        .value_kind:     by_value
      - .offset:         56
        .size:           8
        .value_kind:     by_value
      - .address_space:  global
        .offset:         64
        .size:           8
        .value_kind:     global_buffer
      - .offset:         72
        .size:           8
        .value_kind:     by_value
      - .offset:         80
        .size:           8
        .value_kind:     by_value
      - .offset:         88
        .size:           16
        .value_kind:     by_value
      - .address_space:  global
        .offset:         104
        .size:           8
        .value_kind:     global_buffer
      - .offset:         112
        .size:           8
        .value_kind:     by_value
      - .offset:         120
        .size:           8
        .value_kind:     by_value
      - .address_space:  global
        .offset:         128
        .size:           8
        .value_kind:     global_buffer
      - .offset:         136
        .size:           8
        .value_kind:     by_value
      - .offset:         144
        .size:           8
        .value_kind:     by_value
      - .offset:         152
        .size:           4
        .value_kind:     by_value
    .group_segment_fixed_size: 8192
    .kernarg_segment_align: 8
    .kernarg_segment_size: 156
    .language:       OpenCL C
    .language_version:
      - 2
      - 0
    .max_flat_workgroup_size: 256
    .name:           _ZN12_GLOBAL__N_127rocblas_gemm_batched_kernelI19rocblas_complex_numIdELi16ELi16ELi64ELi64ELi4ELi64ELi4ELi4ELi64ELc84ELc67EKS2_S3_S2_EEvlllT_PT11_llS6_llS4_PT12_llPT13_lli
    .private_segment_fixed_size: 0
    .sgpr_count:     54
    .sgpr_spill_count: 0
    .symbol:         _ZN12_GLOBAL__N_127rocblas_gemm_batched_kernelI19rocblas_complex_numIdELi16ELi16ELi64ELi64ELi4ELi64ELi4ELi4ELi64ELc84ELc67EKS2_S3_S2_EEvlllT_PT11_llS6_llS4_PT12_llPT13_lli.kd
    .uniform_work_group_size: 1
    .uses_dynamic_stack: false
    .vgpr_count:     138
    .vgpr_spill_count: 0
    .wavefront_size: 32
    .workgroup_processor_mode: 1
  - .args:
      - .offset:         0
        .size:           8
        .value_kind:     by_value
      - .offset:         8
        .size:           8
        .value_kind:     by_value
      - .offset:         16
        .size:           8
        .value_kind:     by_value
      - .offset:         24
        .size:           16
        .value_kind:     by_value
      - .address_space:  global
        .offset:         40
        .size:           8
        .value_kind:     global_buffer
      - .offset:         48
        .size:           8
        .value_kind:     by_value
      - .offset:         56
        .size:           8
        .value_kind:     by_value
      - .address_space:  global
        .offset:         64
        .size:           8
        .value_kind:     global_buffer
      - .offset:         72
        .size:           8
        .value_kind:     by_value
      - .offset:         80
        .size:           8
        .value_kind:     by_value
      - .offset:         88
        .size:           16
        .value_kind:     by_value
      - .address_space:  global
        .offset:         104
        .size:           8
        .value_kind:     global_buffer
      - .offset:         112
        .size:           8
        .value_kind:     by_value
      - .offset:         120
        .size:           8
        .value_kind:     by_value
      - .address_space:  global
        .offset:         128
        .size:           8
        .value_kind:     global_buffer
      - .offset:         136
        .size:           8
        .value_kind:     by_value
      - .offset:         144
        .size:           8
        .value_kind:     by_value
      - .offset:         152
        .size:           4
        .value_kind:     by_value
    .group_segment_fixed_size: 8192
    .kernarg_segment_align: 8
    .kernarg_segment_size: 156
    .language:       OpenCL C
    .language_version:
      - 2
      - 0
    .max_flat_workgroup_size: 256
    .name:           _ZN12_GLOBAL__N_127rocblas_gemm_batched_kernelI19rocblas_complex_numIdELi16ELi16ELi32ELi32ELi8ELi32ELi8ELi8ELi32ELc78ELc78EKS2_S3_S2_EEvlllT_PT11_llS6_llS4_PT12_llPT13_lli
    .private_segment_fixed_size: 0
    .sgpr_count:     54
    .sgpr_spill_count: 0
    .symbol:         _ZN12_GLOBAL__N_127rocblas_gemm_batched_kernelI19rocblas_complex_numIdELi16ELi16ELi32ELi32ELi8ELi32ELi8ELi8ELi32ELc78ELc78EKS2_S3_S2_EEvlllT_PT11_llS6_llS4_PT12_llPT13_lli.kd
    .uniform_work_group_size: 1
    .uses_dynamic_stack: false
    .vgpr_count:     162
    .vgpr_spill_count: 0
    .wavefront_size: 32
    .workgroup_processor_mode: 1
  - .args:
      - .offset:         0
        .size:           8
        .value_kind:     by_value
      - .offset:         8
        .size:           8
        .value_kind:     by_value
      - .offset:         16
        .size:           8
        .value_kind:     by_value
      - .offset:         24
        .size:           16
        .value_kind:     by_value
      - .address_space:  global
        .offset:         40
        .size:           8
        .value_kind:     global_buffer
      - .offset:         48
        .size:           8
        .value_kind:     by_value
      - .offset:         56
        .size:           8
        .value_kind:     by_value
      - .address_space:  global
        .offset:         64
        .size:           8
        .value_kind:     global_buffer
      - .offset:         72
        .size:           8
        .value_kind:     by_value
      - .offset:         80
        .size:           8
        .value_kind:     by_value
      - .offset:         88
        .size:           16
        .value_kind:     by_value
      - .address_space:  global
        .offset:         104
        .size:           8
        .value_kind:     global_buffer
      - .offset:         112
        .size:           8
        .value_kind:     by_value
      - .offset:         120
        .size:           8
        .value_kind:     by_value
      - .address_space:  global
        .offset:         128
        .size:           8
        .value_kind:     global_buffer
      - .offset:         136
        .size:           8
        .value_kind:     by_value
      - .offset:         144
        .size:           8
        .value_kind:     by_value
      - .offset:         152
        .size:           4
        .value_kind:     by_value
    .group_segment_fixed_size: 8192
    .kernarg_segment_align: 8
    .kernarg_segment_size: 156
    .language:       OpenCL C
    .language_version:
      - 2
      - 0
    .max_flat_workgroup_size: 256
    .name:           _ZN12_GLOBAL__N_127rocblas_gemm_batched_kernelI19rocblas_complex_numIdELi16ELi16ELi32ELi32ELi8ELi32ELi8ELi8ELi32ELc84ELc78EKS2_S3_S2_EEvlllT_PT11_llS6_llS4_PT12_llPT13_lli
    .private_segment_fixed_size: 0
    .sgpr_count:     54
    .sgpr_spill_count: 0
    .symbol:         _ZN12_GLOBAL__N_127rocblas_gemm_batched_kernelI19rocblas_complex_numIdELi16ELi16ELi32ELi32ELi8ELi32ELi8ELi8ELi32ELc84ELc78EKS2_S3_S2_EEvlllT_PT11_llS6_llS4_PT12_llPT13_lli.kd
    .uniform_work_group_size: 1
    .uses_dynamic_stack: false
    .vgpr_count:     162
    .vgpr_spill_count: 0
    .wavefront_size: 32
    .workgroup_processor_mode: 1
  - .args:
      - .offset:         0
        .size:           8
        .value_kind:     by_value
      - .offset:         8
        .size:           8
        .value_kind:     by_value
      - .offset:         16
        .size:           8
        .value_kind:     by_value
      - .offset:         24
        .size:           16
        .value_kind:     by_value
      - .address_space:  global
        .offset:         40
        .size:           8
        .value_kind:     global_buffer
      - .offset:         48
        .size:           8
        .value_kind:     by_value
      - .offset:         56
        .size:           8
        .value_kind:     by_value
      - .address_space:  global
        .offset:         64
        .size:           8
        .value_kind:     global_buffer
      - .offset:         72
        .size:           8
        .value_kind:     by_value
      - .offset:         80
        .size:           8
        .value_kind:     by_value
      - .offset:         88
        .size:           16
        .value_kind:     by_value
      - .address_space:  global
        .offset:         104
        .size:           8
        .value_kind:     global_buffer
      - .offset:         112
        .size:           8
        .value_kind:     by_value
      - .offset:         120
        .size:           8
        .value_kind:     by_value
      - .address_space:  global
        .offset:         128
        .size:           8
        .value_kind:     global_buffer
      - .offset:         136
        .size:           8
        .value_kind:     by_value
      - .offset:         144
        .size:           8
        .value_kind:     by_value
      - .offset:         152
        .size:           4
        .value_kind:     by_value
    .group_segment_fixed_size: 8192
    .kernarg_segment_align: 8
    .kernarg_segment_size: 156
    .language:       OpenCL C
    .language_version:
      - 2
      - 0
    .max_flat_workgroup_size: 256
    .name:           _ZN12_GLOBAL__N_127rocblas_gemm_batched_kernelI19rocblas_complex_numIdELi16ELi16ELi32ELi32ELi8ELi32ELi8ELi8ELi32ELc78ELc84EKS2_S3_S2_EEvlllT_PT11_llS6_llS4_PT12_llPT13_lli
    .private_segment_fixed_size: 0
    .sgpr_count:     54
    .sgpr_spill_count: 0
    .symbol:         _ZN12_GLOBAL__N_127rocblas_gemm_batched_kernelI19rocblas_complex_numIdELi16ELi16ELi32ELi32ELi8ELi32ELi8ELi8ELi32ELc78ELc84EKS2_S3_S2_EEvlllT_PT11_llS6_llS4_PT12_llPT13_lli.kd
    .uniform_work_group_size: 1
    .uses_dynamic_stack: false
    .vgpr_count:     162
    .vgpr_spill_count: 0
    .wavefront_size: 32
    .workgroup_processor_mode: 1
  - .args:
      - .offset:         0
        .size:           8
        .value_kind:     by_value
      - .offset:         8
        .size:           8
        .value_kind:     by_value
      - .offset:         16
        .size:           8
        .value_kind:     by_value
      - .offset:         24
        .size:           16
        .value_kind:     by_value
      - .address_space:  global
        .offset:         40
        .size:           8
        .value_kind:     global_buffer
      - .offset:         48
        .size:           8
        .value_kind:     by_value
      - .offset:         56
        .size:           8
        .value_kind:     by_value
      - .address_space:  global
        .offset:         64
        .size:           8
        .value_kind:     global_buffer
      - .offset:         72
        .size:           8
        .value_kind:     by_value
      - .offset:         80
        .size:           8
        .value_kind:     by_value
      - .offset:         88
        .size:           16
        .value_kind:     by_value
      - .address_space:  global
        .offset:         104
        .size:           8
        .value_kind:     global_buffer
      - .offset:         112
        .size:           8
        .value_kind:     by_value
      - .offset:         120
        .size:           8
        .value_kind:     by_value
      - .address_space:  global
        .offset:         128
        .size:           8
        .value_kind:     global_buffer
      - .offset:         136
        .size:           8
        .value_kind:     by_value
      - .offset:         144
        .size:           8
        .value_kind:     by_value
      - .offset:         152
        .size:           4
        .value_kind:     by_value
    .group_segment_fixed_size: 8192
    .kernarg_segment_align: 8
    .kernarg_segment_size: 156
    .language:       OpenCL C
    .language_version:
      - 2
      - 0
    .max_flat_workgroup_size: 256
    .name:           _ZN12_GLOBAL__N_127rocblas_gemm_batched_kernelI19rocblas_complex_numIdELi16ELi16ELi32ELi32ELi8ELi32ELi8ELi8ELi32ELc84ELc84EKS2_S3_S2_EEvlllT_PT11_llS6_llS4_PT12_llPT13_lli
    .private_segment_fixed_size: 0
    .sgpr_count:     54
    .sgpr_spill_count: 0
    .symbol:         _ZN12_GLOBAL__N_127rocblas_gemm_batched_kernelI19rocblas_complex_numIdELi16ELi16ELi32ELi32ELi8ELi32ELi8ELi8ELi32ELc84ELc84EKS2_S3_S2_EEvlllT_PT11_llS6_llS4_PT12_llPT13_lli.kd
    .uniform_work_group_size: 1
    .uses_dynamic_stack: false
    .vgpr_count:     162
    .vgpr_spill_count: 0
    .wavefront_size: 32
    .workgroup_processor_mode: 1
  - .args:
      - .offset:         0
        .size:           8
        .value_kind:     by_value
      - .offset:         8
        .size:           8
        .value_kind:     by_value
      - .offset:         16
        .size:           8
        .value_kind:     by_value
      - .offset:         24
        .size:           16
        .value_kind:     by_value
      - .address_space:  global
        .offset:         40
        .size:           8
        .value_kind:     global_buffer
      - .offset:         48
        .size:           8
        .value_kind:     by_value
      - .offset:         56
        .size:           8
        .value_kind:     by_value
      - .address_space:  global
        .offset:         64
        .size:           8
        .value_kind:     global_buffer
      - .offset:         72
        .size:           8
        .value_kind:     by_value
      - .offset:         80
        .size:           8
        .value_kind:     by_value
      - .offset:         88
        .size:           16
        .value_kind:     by_value
      - .address_space:  global
        .offset:         104
        .size:           8
        .value_kind:     global_buffer
      - .offset:         112
        .size:           8
        .value_kind:     by_value
      - .offset:         120
        .size:           8
        .value_kind:     by_value
      - .address_space:  global
        .offset:         128
        .size:           8
        .value_kind:     global_buffer
      - .offset:         136
        .size:           8
        .value_kind:     by_value
      - .offset:         144
        .size:           8
        .value_kind:     by_value
      - .offset:         152
        .size:           4
        .value_kind:     by_value
    .group_segment_fixed_size: 8192
    .kernarg_segment_align: 8
    .kernarg_segment_size: 156
    .language:       OpenCL C
    .language_version:
      - 2
      - 0
    .max_flat_workgroup_size: 256
    .name:           _ZN12_GLOBAL__N_127rocblas_gemm_batched_kernelI19rocblas_complex_numIdELi16ELi16ELi32ELi32ELi8ELi32ELi8ELi8ELi32ELc67ELc67EKS2_S3_S2_EEvlllT_PT11_llS6_llS4_PT12_llPT13_lli
    .private_segment_fixed_size: 0
    .sgpr_count:     54
    .sgpr_spill_count: 0
    .symbol:         _ZN12_GLOBAL__N_127rocblas_gemm_batched_kernelI19rocblas_complex_numIdELi16ELi16ELi32ELi32ELi8ELi32ELi8ELi8ELi32ELc67ELc67EKS2_S3_S2_EEvlllT_PT11_llS6_llS4_PT12_llPT13_lli.kd
    .uniform_work_group_size: 1
    .uses_dynamic_stack: false
    .vgpr_count:     162
    .vgpr_spill_count: 0
    .wavefront_size: 32
    .workgroup_processor_mode: 1
  - .args:
      - .offset:         0
        .size:           8
        .value_kind:     by_value
      - .offset:         8
        .size:           8
        .value_kind:     by_value
      - .offset:         16
        .size:           8
        .value_kind:     by_value
      - .offset:         24
        .size:           16
        .value_kind:     by_value
      - .address_space:  global
        .offset:         40
        .size:           8
        .value_kind:     global_buffer
      - .offset:         48
        .size:           8
        .value_kind:     by_value
      - .offset:         56
        .size:           8
        .value_kind:     by_value
      - .address_space:  global
        .offset:         64
        .size:           8
        .value_kind:     global_buffer
      - .offset:         72
        .size:           8
        .value_kind:     by_value
      - .offset:         80
        .size:           8
        .value_kind:     by_value
      - .offset:         88
        .size:           16
        .value_kind:     by_value
      - .address_space:  global
        .offset:         104
        .size:           8
        .value_kind:     global_buffer
      - .offset:         112
        .size:           8
        .value_kind:     by_value
      - .offset:         120
        .size:           8
        .value_kind:     by_value
      - .address_space:  global
        .offset:         128
        .size:           8
        .value_kind:     global_buffer
      - .offset:         136
        .size:           8
        .value_kind:     by_value
      - .offset:         144
        .size:           8
        .value_kind:     by_value
      - .offset:         152
        .size:           4
        .value_kind:     by_value
    .group_segment_fixed_size: 8192
    .kernarg_segment_align: 8
    .kernarg_segment_size: 156
    .language:       OpenCL C
    .language_version:
      - 2
      - 0
    .max_flat_workgroup_size: 256
    .name:           _ZN12_GLOBAL__N_127rocblas_gemm_batched_kernelI19rocblas_complex_numIdELi16ELi16ELi32ELi32ELi8ELi32ELi8ELi8ELi32ELc67ELc78EKS2_S3_S2_EEvlllT_PT11_llS6_llS4_PT12_llPT13_lli
    .private_segment_fixed_size: 0
    .sgpr_count:     54
    .sgpr_spill_count: 0
    .symbol:         _ZN12_GLOBAL__N_127rocblas_gemm_batched_kernelI19rocblas_complex_numIdELi16ELi16ELi32ELi32ELi8ELi32ELi8ELi8ELi32ELc67ELc78EKS2_S3_S2_EEvlllT_PT11_llS6_llS4_PT12_llPT13_lli.kd
    .uniform_work_group_size: 1
    .uses_dynamic_stack: false
    .vgpr_count:     162
    .vgpr_spill_count: 0
    .wavefront_size: 32
    .workgroup_processor_mode: 1
  - .args:
      - .offset:         0
        .size:           8
        .value_kind:     by_value
      - .offset:         8
        .size:           8
        .value_kind:     by_value
      - .offset:         16
        .size:           8
        .value_kind:     by_value
      - .offset:         24
        .size:           16
        .value_kind:     by_value
      - .address_space:  global
        .offset:         40
        .size:           8
        .value_kind:     global_buffer
      - .offset:         48
        .size:           8
        .value_kind:     by_value
      - .offset:         56
        .size:           8
        .value_kind:     by_value
      - .address_space:  global
        .offset:         64
        .size:           8
        .value_kind:     global_buffer
      - .offset:         72
        .size:           8
        .value_kind:     by_value
      - .offset:         80
        .size:           8
        .value_kind:     by_value
      - .offset:         88
        .size:           16
        .value_kind:     by_value
      - .address_space:  global
        .offset:         104
        .size:           8
        .value_kind:     global_buffer
      - .offset:         112
        .size:           8
        .value_kind:     by_value
      - .offset:         120
        .size:           8
        .value_kind:     by_value
      - .address_space:  global
        .offset:         128
        .size:           8
        .value_kind:     global_buffer
      - .offset:         136
        .size:           8
        .value_kind:     by_value
      - .offset:         144
        .size:           8
        .value_kind:     by_value
      - .offset:         152
        .size:           4
        .value_kind:     by_value
    .group_segment_fixed_size: 8192
    .kernarg_segment_align: 8
    .kernarg_segment_size: 156
    .language:       OpenCL C
    .language_version:
      - 2
      - 0
    .max_flat_workgroup_size: 256
    .name:           _ZN12_GLOBAL__N_127rocblas_gemm_batched_kernelI19rocblas_complex_numIdELi16ELi16ELi32ELi32ELi8ELi32ELi8ELi8ELi32ELc67ELc84EKS2_S3_S2_EEvlllT_PT11_llS6_llS4_PT12_llPT13_lli
    .private_segment_fixed_size: 0
    .sgpr_count:     54
    .sgpr_spill_count: 0
    .symbol:         _ZN12_GLOBAL__N_127rocblas_gemm_batched_kernelI19rocblas_complex_numIdELi16ELi16ELi32ELi32ELi8ELi32ELi8ELi8ELi32ELc67ELc84EKS2_S3_S2_EEvlllT_PT11_llS6_llS4_PT12_llPT13_lli.kd
    .uniform_work_group_size: 1
    .uses_dynamic_stack: false
    .vgpr_count:     162
    .vgpr_spill_count: 0
    .wavefront_size: 32
    .workgroup_processor_mode: 1
  - .args:
      - .offset:         0
        .size:           8
        .value_kind:     by_value
      - .offset:         8
        .size:           8
        .value_kind:     by_value
      - .offset:         16
        .size:           8
        .value_kind:     by_value
      - .offset:         24
        .size:           16
        .value_kind:     by_value
      - .address_space:  global
        .offset:         40
        .size:           8
        .value_kind:     global_buffer
      - .offset:         48
        .size:           8
        .value_kind:     by_value
      - .offset:         56
        .size:           8
        .value_kind:     by_value
      - .address_space:  global
        .offset:         64
        .size:           8
        .value_kind:     global_buffer
      - .offset:         72
        .size:           8
        .value_kind:     by_value
      - .offset:         80
        .size:           8
        .value_kind:     by_value
      - .offset:         88
        .size:           16
        .value_kind:     by_value
      - .address_space:  global
        .offset:         104
        .size:           8
        .value_kind:     global_buffer
      - .offset:         112
        .size:           8
        .value_kind:     by_value
      - .offset:         120
        .size:           8
        .value_kind:     by_value
      - .address_space:  global
        .offset:         128
        .size:           8
        .value_kind:     global_buffer
      - .offset:         136
        .size:           8
        .value_kind:     by_value
      - .offset:         144
        .size:           8
        .value_kind:     by_value
      - .offset:         152
        .size:           4
        .value_kind:     by_value
    .group_segment_fixed_size: 8192
    .kernarg_segment_align: 8
    .kernarg_segment_size: 156
    .language:       OpenCL C
    .language_version:
      - 2
      - 0
    .max_flat_workgroup_size: 256
    .name:           _ZN12_GLOBAL__N_127rocblas_gemm_batched_kernelI19rocblas_complex_numIdELi16ELi16ELi32ELi32ELi8ELi32ELi8ELi8ELi32ELc78ELc67EKS2_S3_S2_EEvlllT_PT11_llS6_llS4_PT12_llPT13_lli
    .private_segment_fixed_size: 0
    .sgpr_count:     54
    .sgpr_spill_count: 0
    .symbol:         _ZN12_GLOBAL__N_127rocblas_gemm_batched_kernelI19rocblas_complex_numIdELi16ELi16ELi32ELi32ELi8ELi32ELi8ELi8ELi32ELc78ELc67EKS2_S3_S2_EEvlllT_PT11_llS6_llS4_PT12_llPT13_lli.kd
    .uniform_work_group_size: 1
    .uses_dynamic_stack: false
    .vgpr_count:     162
    .vgpr_spill_count: 0
    .wavefront_size: 32
    .workgroup_processor_mode: 1
  - .args:
      - .offset:         0
        .size:           8
        .value_kind:     by_value
      - .offset:         8
        .size:           8
        .value_kind:     by_value
      - .offset:         16
        .size:           8
        .value_kind:     by_value
      - .offset:         24
        .size:           16
        .value_kind:     by_value
      - .address_space:  global
        .offset:         40
        .size:           8
        .value_kind:     global_buffer
      - .offset:         48
        .size:           8
        .value_kind:     by_value
      - .offset:         56
        .size:           8
        .value_kind:     by_value
      - .address_space:  global
        .offset:         64
        .size:           8
        .value_kind:     global_buffer
      - .offset:         72
        .size:           8
        .value_kind:     by_value
      - .offset:         80
        .size:           8
        .value_kind:     by_value
      - .offset:         88
        .size:           16
        .value_kind:     by_value
      - .address_space:  global
        .offset:         104
        .size:           8
        .value_kind:     global_buffer
      - .offset:         112
        .size:           8
        .value_kind:     by_value
      - .offset:         120
        .size:           8
        .value_kind:     by_value
      - .address_space:  global
        .offset:         128
        .size:           8
        .value_kind:     global_buffer
      - .offset:         136
        .size:           8
        .value_kind:     by_value
      - .offset:         144
        .size:           8
        .value_kind:     by_value
      - .offset:         152
        .size:           4
        .value_kind:     by_value
    .group_segment_fixed_size: 8192
    .kernarg_segment_align: 8
    .kernarg_segment_size: 156
    .language:       OpenCL C
    .language_version:
      - 2
      - 0
    .max_flat_workgroup_size: 256
    .name:           _ZN12_GLOBAL__N_127rocblas_gemm_batched_kernelI19rocblas_complex_numIdELi16ELi16ELi32ELi32ELi8ELi32ELi8ELi8ELi32ELc84ELc67EKS2_S3_S2_EEvlllT_PT11_llS6_llS4_PT12_llPT13_lli
    .private_segment_fixed_size: 0
    .sgpr_count:     54
    .sgpr_spill_count: 0
    .symbol:         _ZN12_GLOBAL__N_127rocblas_gemm_batched_kernelI19rocblas_complex_numIdELi16ELi16ELi32ELi32ELi8ELi32ELi8ELi8ELi32ELc84ELc67EKS2_S3_S2_EEvlllT_PT11_llS6_llS4_PT12_llPT13_lli.kd
    .uniform_work_group_size: 1
    .uses_dynamic_stack: false
    .vgpr_count:     162
    .vgpr_spill_count: 0
    .wavefront_size: 32
    .workgroup_processor_mode: 1
  - .args:
      - .offset:         0
        .size:           8
        .value_kind:     by_value
      - .offset:         8
        .size:           8
        .value_kind:     by_value
      - .offset:         16
        .size:           8
        .value_kind:     by_value
      - .offset:         24
        .size:           16
        .value_kind:     by_value
      - .address_space:  global
        .offset:         40
        .size:           8
        .value_kind:     global_buffer
      - .offset:         48
        .size:           8
        .value_kind:     by_value
      - .offset:         56
        .size:           8
        .value_kind:     by_value
      - .address_space:  global
        .offset:         64
        .size:           8
        .value_kind:     global_buffer
      - .offset:         72
        .size:           8
        .value_kind:     by_value
      - .offset:         80
        .size:           8
        .value_kind:     by_value
      - .offset:         88
        .size:           16
        .value_kind:     by_value
      - .address_space:  global
        .offset:         104
        .size:           8
        .value_kind:     global_buffer
      - .offset:         112
        .size:           8
        .value_kind:     by_value
      - .offset:         120
        .size:           8
        .value_kind:     by_value
      - .address_space:  global
        .offset:         128
        .size:           8
        .value_kind:     global_buffer
      - .offset:         136
        .size:           8
        .value_kind:     by_value
      - .offset:         144
        .size:           8
        .value_kind:     by_value
      - .offset:         152
        .size:           4
        .value_kind:     by_value
    .group_segment_fixed_size: 8192
    .kernarg_segment_align: 8
    .kernarg_segment_size: 156
    .language:       OpenCL C
    .language_version:
      - 2
      - 0
    .max_flat_workgroup_size: 256
    .name:           _ZN12_GLOBAL__N_135rocblas_gemm_batched_general_kernelI19rocblas_complex_numIdELi16ELi16ELi32ELi32ELi8ELi32ELi8ELi8ELi32ELc78ELc78EKS2_S3_S2_EEvlllT_PT11_llS6_llS4_PT12_llPT13_lli
    .private_segment_fixed_size: 0
    .sgpr_count:     54
    .sgpr_spill_count: 0
    .symbol:         _ZN12_GLOBAL__N_135rocblas_gemm_batched_general_kernelI19rocblas_complex_numIdELi16ELi16ELi32ELi32ELi8ELi32ELi8ELi8ELi32ELc78ELc78EKS2_S3_S2_EEvlllT_PT11_llS6_llS4_PT12_llPT13_lli.kd
    .uniform_work_group_size: 1
    .uses_dynamic_stack: false
    .vgpr_count:     56
    .vgpr_spill_count: 0
    .wavefront_size: 32
    .workgroup_processor_mode: 1
  - .args:
      - .offset:         0
        .size:           8
        .value_kind:     by_value
      - .offset:         8
        .size:           8
        .value_kind:     by_value
      - .offset:         16
        .size:           8
        .value_kind:     by_value
      - .offset:         24
        .size:           16
        .value_kind:     by_value
      - .address_space:  global
        .offset:         40
        .size:           8
        .value_kind:     global_buffer
      - .offset:         48
        .size:           8
        .value_kind:     by_value
      - .offset:         56
        .size:           8
        .value_kind:     by_value
      - .address_space:  global
        .offset:         64
        .size:           8
        .value_kind:     global_buffer
      - .offset:         72
        .size:           8
        .value_kind:     by_value
      - .offset:         80
        .size:           8
        .value_kind:     by_value
      - .offset:         88
        .size:           16
        .value_kind:     by_value
      - .address_space:  global
        .offset:         104
        .size:           8
        .value_kind:     global_buffer
      - .offset:         112
        .size:           8
        .value_kind:     by_value
      - .offset:         120
        .size:           8
        .value_kind:     by_value
      - .address_space:  global
        .offset:         128
        .size:           8
        .value_kind:     global_buffer
      - .offset:         136
        .size:           8
        .value_kind:     by_value
      - .offset:         144
        .size:           8
        .value_kind:     by_value
      - .offset:         152
        .size:           4
        .value_kind:     by_value
    .group_segment_fixed_size: 8192
    .kernarg_segment_align: 8
    .kernarg_segment_size: 156
    .language:       OpenCL C
    .language_version:
      - 2
      - 0
    .max_flat_workgroup_size: 256
    .name:           _ZN12_GLOBAL__N_135rocblas_gemm_batched_general_kernelI19rocblas_complex_numIdELi16ELi16ELi32ELi32ELi8ELi32ELi8ELi8ELi32ELc84ELc78EKS2_S3_S2_EEvlllT_PT11_llS6_llS4_PT12_llPT13_lli
    .private_segment_fixed_size: 0
    .sgpr_count:     54
    .sgpr_spill_count: 0
    .symbol:         _ZN12_GLOBAL__N_135rocblas_gemm_batched_general_kernelI19rocblas_complex_numIdELi16ELi16ELi32ELi32ELi8ELi32ELi8ELi8ELi32ELc84ELc78EKS2_S3_S2_EEvlllT_PT11_llS6_llS4_PT12_llPT13_lli.kd
    .uniform_work_group_size: 1
    .uses_dynamic_stack: false
    .vgpr_count:     56
    .vgpr_spill_count: 0
    .wavefront_size: 32
    .workgroup_processor_mode: 1
  - .args:
      - .offset:         0
        .size:           8
        .value_kind:     by_value
      - .offset:         8
        .size:           8
        .value_kind:     by_value
      - .offset:         16
        .size:           8
        .value_kind:     by_value
      - .offset:         24
        .size:           16
        .value_kind:     by_value
      - .address_space:  global
        .offset:         40
        .size:           8
        .value_kind:     global_buffer
      - .offset:         48
        .size:           8
        .value_kind:     by_value
      - .offset:         56
        .size:           8
        .value_kind:     by_value
      - .address_space:  global
        .offset:         64
        .size:           8
        .value_kind:     global_buffer
      - .offset:         72
        .size:           8
        .value_kind:     by_value
      - .offset:         80
        .size:           8
        .value_kind:     by_value
      - .offset:         88
        .size:           16
        .value_kind:     by_value
      - .address_space:  global
        .offset:         104
        .size:           8
        .value_kind:     global_buffer
      - .offset:         112
        .size:           8
        .value_kind:     by_value
      - .offset:         120
        .size:           8
        .value_kind:     by_value
      - .address_space:  global
        .offset:         128
        .size:           8
        .value_kind:     global_buffer
      - .offset:         136
        .size:           8
        .value_kind:     by_value
      - .offset:         144
        .size:           8
        .value_kind:     by_value
      - .offset:         152
        .size:           4
        .value_kind:     by_value
    .group_segment_fixed_size: 8192
    .kernarg_segment_align: 8
    .kernarg_segment_size: 156
    .language:       OpenCL C
    .language_version:
      - 2
      - 0
    .max_flat_workgroup_size: 256
    .name:           _ZN12_GLOBAL__N_135rocblas_gemm_batched_general_kernelI19rocblas_complex_numIdELi16ELi16ELi32ELi32ELi8ELi32ELi8ELi8ELi32ELc78ELc84EKS2_S3_S2_EEvlllT_PT11_llS6_llS4_PT12_llPT13_lli
    .private_segment_fixed_size: 0
    .sgpr_count:     54
    .sgpr_spill_count: 0
    .symbol:         _ZN12_GLOBAL__N_135rocblas_gemm_batched_general_kernelI19rocblas_complex_numIdELi16ELi16ELi32ELi32ELi8ELi32ELi8ELi8ELi32ELc78ELc84EKS2_S3_S2_EEvlllT_PT11_llS6_llS4_PT12_llPT13_lli.kd
    .uniform_work_group_size: 1
    .uses_dynamic_stack: false
    .vgpr_count:     56
    .vgpr_spill_count: 0
    .wavefront_size: 32
    .workgroup_processor_mode: 1
  - .args:
      - .offset:         0
        .size:           8
        .value_kind:     by_value
      - .offset:         8
        .size:           8
        .value_kind:     by_value
      - .offset:         16
        .size:           8
        .value_kind:     by_value
      - .offset:         24
        .size:           16
        .value_kind:     by_value
      - .address_space:  global
        .offset:         40
        .size:           8
        .value_kind:     global_buffer
      - .offset:         48
        .size:           8
        .value_kind:     by_value
      - .offset:         56
        .size:           8
        .value_kind:     by_value
      - .address_space:  global
        .offset:         64
        .size:           8
        .value_kind:     global_buffer
      - .offset:         72
        .size:           8
        .value_kind:     by_value
      - .offset:         80
        .size:           8
        .value_kind:     by_value
      - .offset:         88
        .size:           16
        .value_kind:     by_value
      - .address_space:  global
        .offset:         104
        .size:           8
        .value_kind:     global_buffer
      - .offset:         112
        .size:           8
        .value_kind:     by_value
      - .offset:         120
        .size:           8
        .value_kind:     by_value
      - .address_space:  global
        .offset:         128
        .size:           8
        .value_kind:     global_buffer
      - .offset:         136
        .size:           8
        .value_kind:     by_value
      - .offset:         144
        .size:           8
        .value_kind:     by_value
      - .offset:         152
        .size:           4
        .value_kind:     by_value
    .group_segment_fixed_size: 8192
    .kernarg_segment_align: 8
    .kernarg_segment_size: 156
    .language:       OpenCL C
    .language_version:
      - 2
      - 0
    .max_flat_workgroup_size: 256
    .name:           _ZN12_GLOBAL__N_135rocblas_gemm_batched_general_kernelI19rocblas_complex_numIdELi16ELi16ELi32ELi32ELi8ELi32ELi8ELi8ELi32ELc84ELc84EKS2_S3_S2_EEvlllT_PT11_llS6_llS4_PT12_llPT13_lli
    .private_segment_fixed_size: 0
    .sgpr_count:     54
    .sgpr_spill_count: 0
    .symbol:         _ZN12_GLOBAL__N_135rocblas_gemm_batched_general_kernelI19rocblas_complex_numIdELi16ELi16ELi32ELi32ELi8ELi32ELi8ELi8ELi32ELc84ELc84EKS2_S3_S2_EEvlllT_PT11_llS6_llS4_PT12_llPT13_lli.kd
    .uniform_work_group_size: 1
    .uses_dynamic_stack: false
    .vgpr_count:     56
    .vgpr_spill_count: 0
    .wavefront_size: 32
    .workgroup_processor_mode: 1
  - .args:
      - .offset:         0
        .size:           8
        .value_kind:     by_value
      - .offset:         8
        .size:           8
        .value_kind:     by_value
      - .offset:         16
        .size:           8
        .value_kind:     by_value
      - .offset:         24
        .size:           16
        .value_kind:     by_value
      - .address_space:  global
        .offset:         40
        .size:           8
        .value_kind:     global_buffer
      - .offset:         48
        .size:           8
        .value_kind:     by_value
      - .offset:         56
        .size:           8
        .value_kind:     by_value
      - .address_space:  global
        .offset:         64
        .size:           8
        .value_kind:     global_buffer
      - .offset:         72
        .size:           8
        .value_kind:     by_value
      - .offset:         80
        .size:           8
        .value_kind:     by_value
      - .offset:         88
        .size:           16
        .value_kind:     by_value
      - .address_space:  global
        .offset:         104
        .size:           8
        .value_kind:     global_buffer
      - .offset:         112
        .size:           8
        .value_kind:     by_value
      - .offset:         120
        .size:           8
        .value_kind:     by_value
      - .address_space:  global
        .offset:         128
        .size:           8
        .value_kind:     global_buffer
      - .offset:         136
        .size:           8
        .value_kind:     by_value
      - .offset:         144
        .size:           8
        .value_kind:     by_value
      - .offset:         152
        .size:           4
        .value_kind:     by_value
    .group_segment_fixed_size: 8192
    .kernarg_segment_align: 8
    .kernarg_segment_size: 156
    .language:       OpenCL C
    .language_version:
      - 2
      - 0
    .max_flat_workgroup_size: 256
    .name:           _ZN12_GLOBAL__N_135rocblas_gemm_batched_general_kernelI19rocblas_complex_numIdELi16ELi16ELi32ELi32ELi8ELi32ELi8ELi8ELi32ELc67ELc67EKS2_S3_S2_EEvlllT_PT11_llS6_llS4_PT12_llPT13_lli
    .private_segment_fixed_size: 0
    .sgpr_count:     54
    .sgpr_spill_count: 0
    .symbol:         _ZN12_GLOBAL__N_135rocblas_gemm_batched_general_kernelI19rocblas_complex_numIdELi16ELi16ELi32ELi32ELi8ELi32ELi8ELi8ELi32ELc67ELc67EKS2_S3_S2_EEvlllT_PT11_llS6_llS4_PT12_llPT13_lli.kd
    .uniform_work_group_size: 1
    .uses_dynamic_stack: false
    .vgpr_count:     126
    .vgpr_spill_count: 0
    .wavefront_size: 32
    .workgroup_processor_mode: 1
  - .args:
      - .offset:         0
        .size:           8
        .value_kind:     by_value
      - .offset:         8
        .size:           8
        .value_kind:     by_value
      - .offset:         16
        .size:           8
        .value_kind:     by_value
      - .offset:         24
        .size:           16
        .value_kind:     by_value
      - .address_space:  global
        .offset:         40
        .size:           8
        .value_kind:     global_buffer
      - .offset:         48
        .size:           8
        .value_kind:     by_value
      - .offset:         56
        .size:           8
        .value_kind:     by_value
      - .address_space:  global
        .offset:         64
        .size:           8
        .value_kind:     global_buffer
      - .offset:         72
        .size:           8
        .value_kind:     by_value
      - .offset:         80
        .size:           8
        .value_kind:     by_value
      - .offset:         88
        .size:           16
        .value_kind:     by_value
      - .address_space:  global
        .offset:         104
        .size:           8
        .value_kind:     global_buffer
      - .offset:         112
        .size:           8
        .value_kind:     by_value
      - .offset:         120
        .size:           8
        .value_kind:     by_value
      - .address_space:  global
        .offset:         128
        .size:           8
        .value_kind:     global_buffer
      - .offset:         136
        .size:           8
        .value_kind:     by_value
      - .offset:         144
        .size:           8
        .value_kind:     by_value
      - .offset:         152
        .size:           4
        .value_kind:     by_value
    .group_segment_fixed_size: 8192
    .kernarg_segment_align: 8
    .kernarg_segment_size: 156
    .language:       OpenCL C
    .language_version:
      - 2
      - 0
    .max_flat_workgroup_size: 256
    .name:           _ZN12_GLOBAL__N_135rocblas_gemm_batched_general_kernelI19rocblas_complex_numIdELi16ELi16ELi32ELi32ELi8ELi32ELi8ELi8ELi32ELc67ELc78EKS2_S3_S2_EEvlllT_PT11_llS6_llS4_PT12_llPT13_lli
    .private_segment_fixed_size: 0
    .sgpr_count:     54
    .sgpr_spill_count: 0
    .symbol:         _ZN12_GLOBAL__N_135rocblas_gemm_batched_general_kernelI19rocblas_complex_numIdELi16ELi16ELi32ELi32ELi8ELi32ELi8ELi8ELi32ELc67ELc78EKS2_S3_S2_EEvlllT_PT11_llS6_llS4_PT12_llPT13_lli.kd
    .uniform_work_group_size: 1
    .uses_dynamic_stack: false
    .vgpr_count:     127
    .vgpr_spill_count: 0
    .wavefront_size: 32
    .workgroup_processor_mode: 1
  - .args:
      - .offset:         0
        .size:           8
        .value_kind:     by_value
      - .offset:         8
        .size:           8
        .value_kind:     by_value
      - .offset:         16
        .size:           8
        .value_kind:     by_value
      - .offset:         24
        .size:           16
        .value_kind:     by_value
      - .address_space:  global
        .offset:         40
        .size:           8
        .value_kind:     global_buffer
      - .offset:         48
        .size:           8
        .value_kind:     by_value
      - .offset:         56
        .size:           8
        .value_kind:     by_value
      - .address_space:  global
        .offset:         64
        .size:           8
        .value_kind:     global_buffer
      - .offset:         72
        .size:           8
        .value_kind:     by_value
      - .offset:         80
        .size:           8
        .value_kind:     by_value
      - .offset:         88
        .size:           16
        .value_kind:     by_value
      - .address_space:  global
        .offset:         104
        .size:           8
        .value_kind:     global_buffer
      - .offset:         112
        .size:           8
        .value_kind:     by_value
      - .offset:         120
        .size:           8
        .value_kind:     by_value
      - .address_space:  global
        .offset:         128
        .size:           8
        .value_kind:     global_buffer
      - .offset:         136
        .size:           8
        .value_kind:     by_value
      - .offset:         144
        .size:           8
        .value_kind:     by_value
      - .offset:         152
        .size:           4
        .value_kind:     by_value
    .group_segment_fixed_size: 8192
    .kernarg_segment_align: 8
    .kernarg_segment_size: 156
    .language:       OpenCL C
    .language_version:
      - 2
      - 0
    .max_flat_workgroup_size: 256
    .name:           _ZN12_GLOBAL__N_135rocblas_gemm_batched_general_kernelI19rocblas_complex_numIdELi16ELi16ELi32ELi32ELi8ELi32ELi8ELi8ELi32ELc67ELc84EKS2_S3_S2_EEvlllT_PT11_llS6_llS4_PT12_llPT13_lli
    .private_segment_fixed_size: 0
    .sgpr_count:     54
    .sgpr_spill_count: 0
    .symbol:         _ZN12_GLOBAL__N_135rocblas_gemm_batched_general_kernelI19rocblas_complex_numIdELi16ELi16ELi32ELi32ELi8ELi32ELi8ELi8ELi32ELc67ELc84EKS2_S3_S2_EEvlllT_PT11_llS6_llS4_PT12_llPT13_lli.kd
    .uniform_work_group_size: 1
    .uses_dynamic_stack: false
    .vgpr_count:     127
    .vgpr_spill_count: 0
    .wavefront_size: 32
    .workgroup_processor_mode: 1
  - .args:
      - .offset:         0
        .size:           8
        .value_kind:     by_value
      - .offset:         8
        .size:           8
        .value_kind:     by_value
      - .offset:         16
        .size:           8
        .value_kind:     by_value
      - .offset:         24
        .size:           16
        .value_kind:     by_value
      - .address_space:  global
        .offset:         40
        .size:           8
        .value_kind:     global_buffer
      - .offset:         48
        .size:           8
        .value_kind:     by_value
      - .offset:         56
        .size:           8
        .value_kind:     by_value
      - .address_space:  global
        .offset:         64
        .size:           8
        .value_kind:     global_buffer
      - .offset:         72
        .size:           8
        .value_kind:     by_value
      - .offset:         80
        .size:           8
        .value_kind:     by_value
      - .offset:         88
        .size:           16
        .value_kind:     by_value
      - .address_space:  global
        .offset:         104
        .size:           8
        .value_kind:     global_buffer
      - .offset:         112
        .size:           8
        .value_kind:     by_value
      - .offset:         120
        .size:           8
        .value_kind:     by_value
      - .address_space:  global
        .offset:         128
        .size:           8
        .value_kind:     global_buffer
      - .offset:         136
        .size:           8
        .value_kind:     by_value
      - .offset:         144
        .size:           8
        .value_kind:     by_value
      - .offset:         152
        .size:           4
        .value_kind:     by_value
    .group_segment_fixed_size: 8192
    .kernarg_segment_align: 8
    .kernarg_segment_size: 156
    .language:       OpenCL C
    .language_version:
      - 2
      - 0
    .max_flat_workgroup_size: 256
    .name:           _ZN12_GLOBAL__N_135rocblas_gemm_batched_general_kernelI19rocblas_complex_numIdELi16ELi16ELi32ELi32ELi8ELi32ELi8ELi8ELi32ELc78ELc67EKS2_S3_S2_EEvlllT_PT11_llS6_llS4_PT12_llPT13_lli
    .private_segment_fixed_size: 0
    .sgpr_count:     54
    .sgpr_spill_count: 0
    .symbol:         _ZN12_GLOBAL__N_135rocblas_gemm_batched_general_kernelI19rocblas_complex_numIdELi16ELi16ELi32ELi32ELi8ELi32ELi8ELi8ELi32ELc78ELc67EKS2_S3_S2_EEvlllT_PT11_llS6_llS4_PT12_llPT13_lli.kd
    .uniform_work_group_size: 1
    .uses_dynamic_stack: false
    .vgpr_count:     127
    .vgpr_spill_count: 0
    .wavefront_size: 32
    .workgroup_processor_mode: 1
  - .args:
      - .offset:         0
        .size:           8
        .value_kind:     by_value
      - .offset:         8
        .size:           8
        .value_kind:     by_value
      - .offset:         16
        .size:           8
        .value_kind:     by_value
      - .offset:         24
        .size:           16
        .value_kind:     by_value
      - .address_space:  global
        .offset:         40
        .size:           8
        .value_kind:     global_buffer
      - .offset:         48
        .size:           8
        .value_kind:     by_value
      - .offset:         56
        .size:           8
        .value_kind:     by_value
      - .address_space:  global
        .offset:         64
        .size:           8
        .value_kind:     global_buffer
      - .offset:         72
        .size:           8
        .value_kind:     by_value
      - .offset:         80
        .size:           8
        .value_kind:     by_value
      - .offset:         88
        .size:           16
        .value_kind:     by_value
      - .address_space:  global
        .offset:         104
        .size:           8
        .value_kind:     global_buffer
      - .offset:         112
        .size:           8
        .value_kind:     by_value
      - .offset:         120
        .size:           8
        .value_kind:     by_value
      - .address_space:  global
        .offset:         128
        .size:           8
        .value_kind:     global_buffer
      - .offset:         136
        .size:           8
        .value_kind:     by_value
      - .offset:         144
        .size:           8
        .value_kind:     by_value
      - .offset:         152
        .size:           4
        .value_kind:     by_value
    .group_segment_fixed_size: 8192
    .kernarg_segment_align: 8
    .kernarg_segment_size: 156
    .language:       OpenCL C
    .language_version:
      - 2
      - 0
    .max_flat_workgroup_size: 256
    .name:           _ZN12_GLOBAL__N_135rocblas_gemm_batched_general_kernelI19rocblas_complex_numIdELi16ELi16ELi32ELi32ELi8ELi32ELi8ELi8ELi32ELc84ELc67EKS2_S3_S2_EEvlllT_PT11_llS6_llS4_PT12_llPT13_lli
    .private_segment_fixed_size: 0
    .sgpr_count:     54
    .sgpr_spill_count: 0
    .symbol:         _ZN12_GLOBAL__N_135rocblas_gemm_batched_general_kernelI19rocblas_complex_numIdELi16ELi16ELi32ELi32ELi8ELi32ELi8ELi8ELi32ELc84ELc67EKS2_S3_S2_EEvlllT_PT11_llS6_llS4_PT12_llPT13_lli.kd
    .uniform_work_group_size: 1
    .uses_dynamic_stack: false
    .vgpr_count:     127
    .vgpr_spill_count: 0
    .wavefront_size: 32
    .workgroup_processor_mode: 1
  - .args:
      - .offset:         0
        .size:           4
        .value_kind:     by_value
      - .offset:         4
        .size:           4
        .value_kind:     by_value
      - .offset:         8
        .size:           2
        .value_kind:     by_value
      - .address_space:  global
        .offset:         16
        .size:           8
        .value_kind:     global_buffer
      - .offset:         24
        .size:           8
        .value_kind:     by_value
      - .offset:         32
        .size:           8
        .value_kind:     by_value
      - .offset:         40
        .size:           8
        .value_kind:     by_value
      - .offset:         48
        .size:           4
        .value_kind:     by_value
    .group_segment_fixed_size: 0
    .kernarg_segment_align: 8
    .kernarg_segment_size: 52
    .language:       OpenCL C
    .language_version:
      - 2
      - 0
    .max_flat_workgroup_size: 1024
    .name:           _ZN12_GLOBAL__N_125rocblas_gemm_scale_kernelILi32ELi32EDF16_PKPDF16_EEviiT1_T2_llli
    .private_segment_fixed_size: 0
    .sgpr_count:     12
    .sgpr_spill_count: 0
    .symbol:         _ZN12_GLOBAL__N_125rocblas_gemm_scale_kernelILi32ELi32EDF16_PKPDF16_EEviiT1_T2_llli.kd
    .uniform_work_group_size: 1
    .uses_dynamic_stack: false
    .vgpr_count:     6
    .vgpr_spill_count: 0
    .wavefront_size: 32
    .workgroup_processor_mode: 1
  - .args:
      - .offset:         0
        .size:           4
        .value_kind:     by_value
      - .offset:         4
        .size:           4
        .value_kind:     by_value
      - .offset:         8
        .size:           2
        .value_kind:     by_value
      - .address_space:  global
        .offset:         16
        .size:           8
        .value_kind:     global_buffer
      - .offset:         24
        .size:           8
        .value_kind:     by_value
      - .offset:         32
        .size:           8
        .value_kind:     by_value
      - .offset:         40
        .size:           8
        .value_kind:     by_value
      - .address_space:  global
        .offset:         48
        .size:           8
        .value_kind:     global_buffer
      - .offset:         56
        .size:           8
        .value_kind:     by_value
      - .offset:         64
        .size:           8
        .value_kind:     by_value
      - .offset:         72
        .size:           8
        .value_kind:     by_value
      - .offset:         80
        .size:           4
        .value_kind:     by_value
    .group_segment_fixed_size: 0
    .kernarg_segment_align: 8
    .kernarg_segment_size: 84
    .language:       OpenCL C
    .language_version:
      - 2
      - 0
    .max_flat_workgroup_size: 1024
    .name:           _ZN12_GLOBAL__N_120gemm_ex_scale_kernelILi32ELi32EDF16_PKPKDF16_PKPDF16_EEviiT1_T2_lllT3_llli
    .private_segment_fixed_size: 0
    .sgpr_count:     22
    .sgpr_spill_count: 0
    .symbol:         _ZN12_GLOBAL__N_120gemm_ex_scale_kernelILi32ELi32EDF16_PKPKDF16_PKPDF16_EEviiT1_T2_lllT3_llli.kd
    .uniform_work_group_size: 1
    .uses_dynamic_stack: false
    .vgpr_count:     8
    .vgpr_spill_count: 0
    .wavefront_size: 32
    .workgroup_processor_mode: 1
  - .args:
      - .offset:         0
        .size:           8
        .value_kind:     by_value
      - .offset:         8
        .size:           8
        .value_kind:     by_value
      - .offset:         16
        .size:           8
        .value_kind:     by_value
      - .offset:         24
        .size:           2
        .value_kind:     by_value
      - .address_space:  global
        .offset:         32
        .size:           8
        .value_kind:     global_buffer
      - .offset:         40
        .size:           8
        .value_kind:     by_value
      - .offset:         48
        .size:           8
        .value_kind:     by_value
      - .address_space:  global
        .offset:         56
        .size:           8
        .value_kind:     global_buffer
      - .offset:         64
        .size:           8
        .value_kind:     by_value
      - .offset:         72
        .size:           8
        .value_kind:     by_value
      - .offset:         80
        .size:           2
        .value_kind:     by_value
      - .address_space:  global
        .offset:         88
        .size:           8
        .value_kind:     global_buffer
      - .offset:         96
        .size:           8
        .value_kind:     by_value
      - .offset:         104
        .size:           8
        .value_kind:     by_value
      - .address_space:  global
        .offset:         112
        .size:           8
        .value_kind:     global_buffer
      - .offset:         120
        .size:           8
        .value_kind:     by_value
      - .offset:         128
        .size:           8
        .value_kind:     by_value
      - .offset:         136
        .size:           4
        .value_kind:     by_value
    .group_segment_fixed_size: 1024
    .kernarg_segment_align: 8
    .kernarg_segment_size: 140
    .language:       OpenCL C
    .language_version:
      - 2
      - 0
    .max_flat_workgroup_size: 256
    .name:           _ZN12_GLOBAL__N_127rocblas_gemm_batched_kernelIDF16_Li16ELi16ELi64ELi64ELi4ELi64ELi4ELi4ELi64ELc78ELc78EKPKDF16_S3_KPDF16_EEvlllT_PT11_llS8_llS6_PT12_llPT13_lli
    .private_segment_fixed_size: 0
    .sgpr_count:     38
    .sgpr_spill_count: 0
    .symbol:         _ZN12_GLOBAL__N_127rocblas_gemm_batched_kernelIDF16_Li16ELi16ELi64ELi64ELi4ELi64ELi4ELi4ELi64ELc78ELc78EKPKDF16_S3_KPDF16_EEvlllT_PT11_llS8_llS6_PT12_llPT13_lli.kd
    .uniform_work_group_size: 1
    .uses_dynamic_stack: false
    .vgpr_count:     36
    .vgpr_spill_count: 0
    .wavefront_size: 32
    .workgroup_processor_mode: 1
  - .args:
      - .offset:         0
        .size:           8
        .value_kind:     by_value
      - .offset:         8
        .size:           8
        .value_kind:     by_value
      - .offset:         16
        .size:           8
        .value_kind:     by_value
      - .offset:         24
        .size:           2
        .value_kind:     by_value
      - .address_space:  global
        .offset:         32
        .size:           8
        .value_kind:     global_buffer
      - .offset:         40
        .size:           8
        .value_kind:     by_value
      - .offset:         48
        .size:           8
        .value_kind:     by_value
      - .address_space:  global
        .offset:         56
        .size:           8
        .value_kind:     global_buffer
      - .offset:         64
        .size:           8
        .value_kind:     by_value
      - .offset:         72
        .size:           8
        .value_kind:     by_value
      - .offset:         80
        .size:           2
        .value_kind:     by_value
      - .address_space:  global
        .offset:         88
        .size:           8
        .value_kind:     global_buffer
      - .offset:         96
        .size:           8
        .value_kind:     by_value
      - .offset:         104
        .size:           8
        .value_kind:     by_value
      - .address_space:  global
        .offset:         112
        .size:           8
        .value_kind:     global_buffer
      - .offset:         120
        .size:           8
        .value_kind:     by_value
      - .offset:         128
        .size:           8
        .value_kind:     by_value
      - .offset:         136
        .size:           4
        .value_kind:     by_value
    .group_segment_fixed_size: 1024
    .kernarg_segment_align: 8
    .kernarg_segment_size: 140
    .language:       OpenCL C
    .language_version:
      - 2
      - 0
    .max_flat_workgroup_size: 256
    .name:           _ZN12_GLOBAL__N_127rocblas_gemm_batched_kernelIDF16_Li16ELi16ELi64ELi64ELi4ELi64ELi4ELi4ELi64ELc84ELc78EKPKDF16_S3_KPDF16_EEvlllT_PT11_llS8_llS6_PT12_llPT13_lli
    .private_segment_fixed_size: 0
    .sgpr_count:     38
    .sgpr_spill_count: 0
    .symbol:         _ZN12_GLOBAL__N_127rocblas_gemm_batched_kernelIDF16_Li16ELi16ELi64ELi64ELi4ELi64ELi4ELi4ELi64ELc84ELc78EKPKDF16_S3_KPDF16_EEvlllT_PT11_llS8_llS6_PT12_llPT13_lli.kd
    .uniform_work_group_size: 1
    .uses_dynamic_stack: false
    .vgpr_count:     36
    .vgpr_spill_count: 0
    .wavefront_size: 32
    .workgroup_processor_mode: 1
  - .args:
      - .offset:         0
        .size:           8
        .value_kind:     by_value
      - .offset:         8
        .size:           8
        .value_kind:     by_value
      - .offset:         16
        .size:           8
        .value_kind:     by_value
      - .offset:         24
        .size:           2
        .value_kind:     by_value
      - .address_space:  global
        .offset:         32
        .size:           8
        .value_kind:     global_buffer
      - .offset:         40
        .size:           8
        .value_kind:     by_value
      - .offset:         48
        .size:           8
        .value_kind:     by_value
      - .address_space:  global
        .offset:         56
        .size:           8
        .value_kind:     global_buffer
      - .offset:         64
        .size:           8
        .value_kind:     by_value
      - .offset:         72
        .size:           8
        .value_kind:     by_value
      - .offset:         80
        .size:           2
        .value_kind:     by_value
      - .address_space:  global
        .offset:         88
        .size:           8
        .value_kind:     global_buffer
      - .offset:         96
        .size:           8
        .value_kind:     by_value
      - .offset:         104
        .size:           8
        .value_kind:     by_value
      - .address_space:  global
        .offset:         112
        .size:           8
        .value_kind:     global_buffer
      - .offset:         120
        .size:           8
        .value_kind:     by_value
      - .offset:         128
        .size:           8
        .value_kind:     by_value
      - .offset:         136
        .size:           4
        .value_kind:     by_value
    .group_segment_fixed_size: 1024
    .kernarg_segment_align: 8
    .kernarg_segment_size: 140
    .language:       OpenCL C
    .language_version:
      - 2
      - 0
    .max_flat_workgroup_size: 256
    .name:           _ZN12_GLOBAL__N_127rocblas_gemm_batched_kernelIDF16_Li16ELi16ELi64ELi64ELi4ELi64ELi4ELi4ELi64ELc78ELc84EKPKDF16_S3_KPDF16_EEvlllT_PT11_llS8_llS6_PT12_llPT13_lli
    .private_segment_fixed_size: 0
    .sgpr_count:     38
    .sgpr_spill_count: 0
    .symbol:         _ZN12_GLOBAL__N_127rocblas_gemm_batched_kernelIDF16_Li16ELi16ELi64ELi64ELi4ELi64ELi4ELi4ELi64ELc78ELc84EKPKDF16_S3_KPDF16_EEvlllT_PT11_llS8_llS6_PT12_llPT13_lli.kd
    .uniform_work_group_size: 1
    .uses_dynamic_stack: false
    .vgpr_count:     36
    .vgpr_spill_count: 0
    .wavefront_size: 32
    .workgroup_processor_mode: 1
  - .args:
      - .offset:         0
        .size:           8
        .value_kind:     by_value
      - .offset:         8
        .size:           8
        .value_kind:     by_value
      - .offset:         16
        .size:           8
        .value_kind:     by_value
      - .offset:         24
        .size:           2
        .value_kind:     by_value
      - .address_space:  global
        .offset:         32
        .size:           8
        .value_kind:     global_buffer
      - .offset:         40
        .size:           8
        .value_kind:     by_value
      - .offset:         48
        .size:           8
        .value_kind:     by_value
      - .address_space:  global
        .offset:         56
        .size:           8
        .value_kind:     global_buffer
      - .offset:         64
        .size:           8
        .value_kind:     by_value
      - .offset:         72
        .size:           8
        .value_kind:     by_value
      - .offset:         80
        .size:           2
        .value_kind:     by_value
      - .address_space:  global
        .offset:         88
        .size:           8
        .value_kind:     global_buffer
      - .offset:         96
        .size:           8
        .value_kind:     by_value
      - .offset:         104
        .size:           8
        .value_kind:     by_value
      - .address_space:  global
        .offset:         112
        .size:           8
        .value_kind:     global_buffer
      - .offset:         120
        .size:           8
        .value_kind:     by_value
      - .offset:         128
        .size:           8
        .value_kind:     by_value
      - .offset:         136
        .size:           4
        .value_kind:     by_value
    .group_segment_fixed_size: 1024
    .kernarg_segment_align: 8
    .kernarg_segment_size: 140
    .language:       OpenCL C
    .language_version:
      - 2
      - 0
    .max_flat_workgroup_size: 256
    .name:           _ZN12_GLOBAL__N_127rocblas_gemm_batched_kernelIDF16_Li16ELi16ELi64ELi64ELi4ELi64ELi4ELi4ELi64ELc84ELc84EKPKDF16_S3_KPDF16_EEvlllT_PT11_llS8_llS6_PT12_llPT13_lli
    .private_segment_fixed_size: 0
    .sgpr_count:     38
    .sgpr_spill_count: 0
    .symbol:         _ZN12_GLOBAL__N_127rocblas_gemm_batched_kernelIDF16_Li16ELi16ELi64ELi64ELi4ELi64ELi4ELi4ELi64ELc84ELc84EKPKDF16_S3_KPDF16_EEvlllT_PT11_llS8_llS6_PT12_llPT13_lli.kd
    .uniform_work_group_size: 1
    .uses_dynamic_stack: false
    .vgpr_count:     36
    .vgpr_spill_count: 0
    .wavefront_size: 32
    .workgroup_processor_mode: 1
  - .args:
      - .offset:         0
        .size:           8
        .value_kind:     by_value
      - .offset:         8
        .size:           8
        .value_kind:     by_value
      - .offset:         16
        .size:           8
        .value_kind:     by_value
      - .offset:         24
        .size:           2
        .value_kind:     by_value
      - .address_space:  global
        .offset:         32
        .size:           8
        .value_kind:     global_buffer
      - .offset:         40
        .size:           8
        .value_kind:     by_value
      - .offset:         48
        .size:           8
        .value_kind:     by_value
      - .address_space:  global
        .offset:         56
        .size:           8
        .value_kind:     global_buffer
      - .offset:         64
        .size:           8
        .value_kind:     by_value
      - .offset:         72
        .size:           8
        .value_kind:     by_value
      - .offset:         80
        .size:           2
        .value_kind:     by_value
      - .address_space:  global
        .offset:         88
        .size:           8
        .value_kind:     global_buffer
      - .offset:         96
        .size:           8
        .value_kind:     by_value
      - .offset:         104
        .size:           8
        .value_kind:     by_value
      - .address_space:  global
        .offset:         112
        .size:           8
        .value_kind:     global_buffer
      - .offset:         120
        .size:           8
        .value_kind:     by_value
      - .offset:         128
        .size:           8
        .value_kind:     by_value
      - .offset:         136
        .size:           4
        .value_kind:     by_value
    .group_segment_fixed_size: 1024
    .kernarg_segment_align: 8
    .kernarg_segment_size: 140
    .language:       OpenCL C
    .language_version:
      - 2
      - 0
    .max_flat_workgroup_size: 256
    .name:           _ZN12_GLOBAL__N_127rocblas_gemm_batched_kernelIDF16_Li16ELi16ELi64ELi64ELi4ELi64ELi4ELi4ELi64ELc67ELc67EKPKDF16_S3_KPDF16_EEvlllT_PT11_llS8_llS6_PT12_llPT13_lli
    .private_segment_fixed_size: 0
    .sgpr_count:     38
    .sgpr_spill_count: 0
    .symbol:         _ZN12_GLOBAL__N_127rocblas_gemm_batched_kernelIDF16_Li16ELi16ELi64ELi64ELi4ELi64ELi4ELi4ELi64ELc67ELc67EKPKDF16_S3_KPDF16_EEvlllT_PT11_llS8_llS6_PT12_llPT13_lli.kd
    .uniform_work_group_size: 1
    .uses_dynamic_stack: false
    .vgpr_count:     36
    .vgpr_spill_count: 0
    .wavefront_size: 32
    .workgroup_processor_mode: 1
  - .args:
      - .offset:         0
        .size:           8
        .value_kind:     by_value
      - .offset:         8
        .size:           8
        .value_kind:     by_value
      - .offset:         16
        .size:           8
        .value_kind:     by_value
      - .offset:         24
        .size:           2
        .value_kind:     by_value
      - .address_space:  global
        .offset:         32
        .size:           8
        .value_kind:     global_buffer
      - .offset:         40
        .size:           8
        .value_kind:     by_value
      - .offset:         48
        .size:           8
        .value_kind:     by_value
      - .address_space:  global
        .offset:         56
        .size:           8
        .value_kind:     global_buffer
      - .offset:         64
        .size:           8
        .value_kind:     by_value
      - .offset:         72
        .size:           8
        .value_kind:     by_value
      - .offset:         80
        .size:           2
        .value_kind:     by_value
      - .address_space:  global
        .offset:         88
        .size:           8
        .value_kind:     global_buffer
      - .offset:         96
        .size:           8
        .value_kind:     by_value
      - .offset:         104
        .size:           8
        .value_kind:     by_value
      - .address_space:  global
        .offset:         112
        .size:           8
        .value_kind:     global_buffer
      - .offset:         120
        .size:           8
        .value_kind:     by_value
      - .offset:         128
        .size:           8
        .value_kind:     by_value
      - .offset:         136
        .size:           4
        .value_kind:     by_value
    .group_segment_fixed_size: 1024
    .kernarg_segment_align: 8
    .kernarg_segment_size: 140
    .language:       OpenCL C
    .language_version:
      - 2
      - 0
    .max_flat_workgroup_size: 256
    .name:           _ZN12_GLOBAL__N_127rocblas_gemm_batched_kernelIDF16_Li16ELi16ELi64ELi64ELi4ELi64ELi4ELi4ELi64ELc67ELc78EKPKDF16_S3_KPDF16_EEvlllT_PT11_llS8_llS6_PT12_llPT13_lli
    .private_segment_fixed_size: 0
    .sgpr_count:     38
    .sgpr_spill_count: 0
    .symbol:         _ZN12_GLOBAL__N_127rocblas_gemm_batched_kernelIDF16_Li16ELi16ELi64ELi64ELi4ELi64ELi4ELi4ELi64ELc67ELc78EKPKDF16_S3_KPDF16_EEvlllT_PT11_llS8_llS6_PT12_llPT13_lli.kd
    .uniform_work_group_size: 1
    .uses_dynamic_stack: false
    .vgpr_count:     36
    .vgpr_spill_count: 0
    .wavefront_size: 32
    .workgroup_processor_mode: 1
  - .args:
      - .offset:         0
        .size:           8
        .value_kind:     by_value
      - .offset:         8
        .size:           8
        .value_kind:     by_value
      - .offset:         16
        .size:           8
        .value_kind:     by_value
      - .offset:         24
        .size:           2
        .value_kind:     by_value
      - .address_space:  global
        .offset:         32
        .size:           8
        .value_kind:     global_buffer
      - .offset:         40
        .size:           8
        .value_kind:     by_value
      - .offset:         48
        .size:           8
        .value_kind:     by_value
      - .address_space:  global
        .offset:         56
        .size:           8
        .value_kind:     global_buffer
      - .offset:         64
        .size:           8
        .value_kind:     by_value
      - .offset:         72
        .size:           8
        .value_kind:     by_value
      - .offset:         80
        .size:           2
        .value_kind:     by_value
      - .address_space:  global
        .offset:         88
        .size:           8
        .value_kind:     global_buffer
      - .offset:         96
        .size:           8
        .value_kind:     by_value
      - .offset:         104
        .size:           8
        .value_kind:     by_value
      - .address_space:  global
        .offset:         112
        .size:           8
        .value_kind:     global_buffer
      - .offset:         120
        .size:           8
        .value_kind:     by_value
      - .offset:         128
        .size:           8
        .value_kind:     by_value
      - .offset:         136
        .size:           4
        .value_kind:     by_value
    .group_segment_fixed_size: 1024
    .kernarg_segment_align: 8
    .kernarg_segment_size: 140
    .language:       OpenCL C
    .language_version:
      - 2
      - 0
    .max_flat_workgroup_size: 256
    .name:           _ZN12_GLOBAL__N_127rocblas_gemm_batched_kernelIDF16_Li16ELi16ELi64ELi64ELi4ELi64ELi4ELi4ELi64ELc67ELc84EKPKDF16_S3_KPDF16_EEvlllT_PT11_llS8_llS6_PT12_llPT13_lli
    .private_segment_fixed_size: 0
    .sgpr_count:     38
    .sgpr_spill_count: 0
    .symbol:         _ZN12_GLOBAL__N_127rocblas_gemm_batched_kernelIDF16_Li16ELi16ELi64ELi64ELi4ELi64ELi4ELi4ELi64ELc67ELc84EKPKDF16_S3_KPDF16_EEvlllT_PT11_llS8_llS6_PT12_llPT13_lli.kd
    .uniform_work_group_size: 1
    .uses_dynamic_stack: false
    .vgpr_count:     36
    .vgpr_spill_count: 0
    .wavefront_size: 32
    .workgroup_processor_mode: 1
  - .args:
      - .offset:         0
        .size:           8
        .value_kind:     by_value
      - .offset:         8
        .size:           8
        .value_kind:     by_value
      - .offset:         16
        .size:           8
        .value_kind:     by_value
      - .offset:         24
        .size:           2
        .value_kind:     by_value
      - .address_space:  global
        .offset:         32
        .size:           8
        .value_kind:     global_buffer
      - .offset:         40
        .size:           8
        .value_kind:     by_value
      - .offset:         48
        .size:           8
        .value_kind:     by_value
      - .address_space:  global
        .offset:         56
        .size:           8
        .value_kind:     global_buffer
      - .offset:         64
        .size:           8
        .value_kind:     by_value
      - .offset:         72
        .size:           8
        .value_kind:     by_value
      - .offset:         80
        .size:           2
        .value_kind:     by_value
      - .address_space:  global
        .offset:         88
        .size:           8
        .value_kind:     global_buffer
      - .offset:         96
        .size:           8
        .value_kind:     by_value
      - .offset:         104
        .size:           8
        .value_kind:     by_value
      - .address_space:  global
        .offset:         112
        .size:           8
        .value_kind:     global_buffer
      - .offset:         120
        .size:           8
        .value_kind:     by_value
      - .offset:         128
        .size:           8
        .value_kind:     by_value
      - .offset:         136
        .size:           4
        .value_kind:     by_value
    .group_segment_fixed_size: 1024
    .kernarg_segment_align: 8
    .kernarg_segment_size: 140
    .language:       OpenCL C
    .language_version:
      - 2
      - 0
    .max_flat_workgroup_size: 256
    .name:           _ZN12_GLOBAL__N_127rocblas_gemm_batched_kernelIDF16_Li16ELi16ELi64ELi64ELi4ELi64ELi4ELi4ELi64ELc78ELc67EKPKDF16_S3_KPDF16_EEvlllT_PT11_llS8_llS6_PT12_llPT13_lli
    .private_segment_fixed_size: 0
    .sgpr_count:     38
    .sgpr_spill_count: 0
    .symbol:         _ZN12_GLOBAL__N_127rocblas_gemm_batched_kernelIDF16_Li16ELi16ELi64ELi64ELi4ELi64ELi4ELi4ELi64ELc78ELc67EKPKDF16_S3_KPDF16_EEvlllT_PT11_llS8_llS6_PT12_llPT13_lli.kd
    .uniform_work_group_size: 1
    .uses_dynamic_stack: false
    .vgpr_count:     36
    .vgpr_spill_count: 0
    .wavefront_size: 32
    .workgroup_processor_mode: 1
  - .args:
      - .offset:         0
        .size:           8
        .value_kind:     by_value
      - .offset:         8
        .size:           8
        .value_kind:     by_value
      - .offset:         16
        .size:           8
        .value_kind:     by_value
      - .offset:         24
        .size:           2
        .value_kind:     by_value
      - .address_space:  global
        .offset:         32
        .size:           8
        .value_kind:     global_buffer
      - .offset:         40
        .size:           8
        .value_kind:     by_value
      - .offset:         48
        .size:           8
        .value_kind:     by_value
      - .address_space:  global
        .offset:         56
        .size:           8
        .value_kind:     global_buffer
      - .offset:         64
        .size:           8
        .value_kind:     by_value
      - .offset:         72
        .size:           8
        .value_kind:     by_value
      - .offset:         80
        .size:           2
        .value_kind:     by_value
      - .address_space:  global
        .offset:         88
        .size:           8
        .value_kind:     global_buffer
      - .offset:         96
        .size:           8
        .value_kind:     by_value
      - .offset:         104
        .size:           8
        .value_kind:     by_value
      - .address_space:  global
        .offset:         112
        .size:           8
        .value_kind:     global_buffer
      - .offset:         120
        .size:           8
        .value_kind:     by_value
      - .offset:         128
        .size:           8
        .value_kind:     by_value
      - .offset:         136
        .size:           4
        .value_kind:     by_value
    .group_segment_fixed_size: 1024
    .kernarg_segment_align: 8
    .kernarg_segment_size: 140
    .language:       OpenCL C
    .language_version:
      - 2
      - 0
    .max_flat_workgroup_size: 256
    .name:           _ZN12_GLOBAL__N_127rocblas_gemm_batched_kernelIDF16_Li16ELi16ELi64ELi64ELi4ELi64ELi4ELi4ELi64ELc84ELc67EKPKDF16_S3_KPDF16_EEvlllT_PT11_llS8_llS6_PT12_llPT13_lli
    .private_segment_fixed_size: 0
    .sgpr_count:     38
    .sgpr_spill_count: 0
    .symbol:         _ZN12_GLOBAL__N_127rocblas_gemm_batched_kernelIDF16_Li16ELi16ELi64ELi64ELi4ELi64ELi4ELi4ELi64ELc84ELc67EKPKDF16_S3_KPDF16_EEvlllT_PT11_llS8_llS6_PT12_llPT13_lli.kd
    .uniform_work_group_size: 1
    .uses_dynamic_stack: false
    .vgpr_count:     36
    .vgpr_spill_count: 0
    .wavefront_size: 32
    .workgroup_processor_mode: 1
  - .args:
      - .offset:         0
        .size:           8
        .value_kind:     by_value
      - .offset:         8
        .size:           8
        .value_kind:     by_value
      - .offset:         16
        .size:           8
        .value_kind:     by_value
      - .offset:         24
        .size:           2
        .value_kind:     by_value
      - .address_space:  global
        .offset:         32
        .size:           8
        .value_kind:     global_buffer
      - .offset:         40
        .size:           8
        .value_kind:     by_value
      - .offset:         48
        .size:           8
        .value_kind:     by_value
      - .address_space:  global
        .offset:         56
        .size:           8
        .value_kind:     global_buffer
      - .offset:         64
        .size:           8
        .value_kind:     by_value
      - .offset:         72
        .size:           8
        .value_kind:     by_value
      - .offset:         80
        .size:           2
        .value_kind:     by_value
      - .address_space:  global
        .offset:         88
        .size:           8
        .value_kind:     global_buffer
      - .offset:         96
        .size:           8
        .value_kind:     by_value
      - .offset:         104
        .size:           8
        .value_kind:     by_value
      - .address_space:  global
        .offset:         112
        .size:           8
        .value_kind:     global_buffer
      - .offset:         120
        .size:           8
        .value_kind:     by_value
      - .offset:         128
        .size:           8
        .value_kind:     by_value
      - .offset:         136
        .size:           4
        .value_kind:     by_value
    .group_segment_fixed_size: 1024
    .kernarg_segment_align: 8
    .kernarg_segment_size: 140
    .language:       OpenCL C
    .language_version:
      - 2
      - 0
    .max_flat_workgroup_size: 256
    .name:           _ZN12_GLOBAL__N_127rocblas_gemm_batched_kernelIDF16_Li16ELi16ELi32ELi32ELi8ELi32ELi8ELi8ELi32ELc78ELc78EKPKDF16_S3_KPDF16_EEvlllT_PT11_llS8_llS6_PT12_llPT13_lli
    .private_segment_fixed_size: 0
    .sgpr_count:     38
    .sgpr_spill_count: 0
    .symbol:         _ZN12_GLOBAL__N_127rocblas_gemm_batched_kernelIDF16_Li16ELi16ELi32ELi32ELi8ELi32ELi8ELi8ELi32ELc78ELc78EKPKDF16_S3_KPDF16_EEvlllT_PT11_llS8_llS6_PT12_llPT13_lli.kd
    .uniform_work_group_size: 1
    .uses_dynamic_stack: false
    .vgpr_count:     28
    .vgpr_spill_count: 0
    .wavefront_size: 32
    .workgroup_processor_mode: 1
  - .args:
      - .offset:         0
        .size:           8
        .value_kind:     by_value
      - .offset:         8
        .size:           8
        .value_kind:     by_value
      - .offset:         16
        .size:           8
        .value_kind:     by_value
      - .offset:         24
        .size:           2
        .value_kind:     by_value
      - .address_space:  global
        .offset:         32
        .size:           8
        .value_kind:     global_buffer
      - .offset:         40
        .size:           8
        .value_kind:     by_value
      - .offset:         48
        .size:           8
        .value_kind:     by_value
      - .address_space:  global
        .offset:         56
        .size:           8
        .value_kind:     global_buffer
      - .offset:         64
        .size:           8
        .value_kind:     by_value
      - .offset:         72
        .size:           8
        .value_kind:     by_value
      - .offset:         80
        .size:           2
        .value_kind:     by_value
      - .address_space:  global
        .offset:         88
        .size:           8
        .value_kind:     global_buffer
      - .offset:         96
        .size:           8
        .value_kind:     by_value
      - .offset:         104
        .size:           8
        .value_kind:     by_value
      - .address_space:  global
        .offset:         112
        .size:           8
        .value_kind:     global_buffer
      - .offset:         120
        .size:           8
        .value_kind:     by_value
      - .offset:         128
        .size:           8
        .value_kind:     by_value
      - .offset:         136
        .size:           4
        .value_kind:     by_value
    .group_segment_fixed_size: 1024
    .kernarg_segment_align: 8
    .kernarg_segment_size: 140
    .language:       OpenCL C
    .language_version:
      - 2
      - 0
    .max_flat_workgroup_size: 256
    .name:           _ZN12_GLOBAL__N_127rocblas_gemm_batched_kernelIDF16_Li16ELi16ELi32ELi32ELi8ELi32ELi8ELi8ELi32ELc84ELc78EKPKDF16_S3_KPDF16_EEvlllT_PT11_llS8_llS6_PT12_llPT13_lli
    .private_segment_fixed_size: 0
    .sgpr_count:     38
    .sgpr_spill_count: 0
    .symbol:         _ZN12_GLOBAL__N_127rocblas_gemm_batched_kernelIDF16_Li16ELi16ELi32ELi32ELi8ELi32ELi8ELi8ELi32ELc84ELc78EKPKDF16_S3_KPDF16_EEvlllT_PT11_llS8_llS6_PT12_llPT13_lli.kd
    .uniform_work_group_size: 1
    .uses_dynamic_stack: false
    .vgpr_count:     28
    .vgpr_spill_count: 0
    .wavefront_size: 32
    .workgroup_processor_mode: 1
  - .args:
      - .offset:         0
        .size:           8
        .value_kind:     by_value
      - .offset:         8
        .size:           8
        .value_kind:     by_value
      - .offset:         16
        .size:           8
        .value_kind:     by_value
      - .offset:         24
        .size:           2
        .value_kind:     by_value
      - .address_space:  global
        .offset:         32
        .size:           8
        .value_kind:     global_buffer
      - .offset:         40
        .size:           8
        .value_kind:     by_value
      - .offset:         48
        .size:           8
        .value_kind:     by_value
      - .address_space:  global
        .offset:         56
        .size:           8
        .value_kind:     global_buffer
      - .offset:         64
        .size:           8
        .value_kind:     by_value
      - .offset:         72
        .size:           8
        .value_kind:     by_value
      - .offset:         80
        .size:           2
        .value_kind:     by_value
      - .address_space:  global
        .offset:         88
        .size:           8
        .value_kind:     global_buffer
      - .offset:         96
        .size:           8
        .value_kind:     by_value
      - .offset:         104
        .size:           8
        .value_kind:     by_value
      - .address_space:  global
        .offset:         112
        .size:           8
        .value_kind:     global_buffer
      - .offset:         120
        .size:           8
        .value_kind:     by_value
      - .offset:         128
        .size:           8
        .value_kind:     by_value
      - .offset:         136
        .size:           4
        .value_kind:     by_value
    .group_segment_fixed_size: 1024
    .kernarg_segment_align: 8
    .kernarg_segment_size: 140
    .language:       OpenCL C
    .language_version:
      - 2
      - 0
    .max_flat_workgroup_size: 256
    .name:           _ZN12_GLOBAL__N_127rocblas_gemm_batched_kernelIDF16_Li16ELi16ELi32ELi32ELi8ELi32ELi8ELi8ELi32ELc78ELc84EKPKDF16_S3_KPDF16_EEvlllT_PT11_llS8_llS6_PT12_llPT13_lli
    .private_segment_fixed_size: 0
    .sgpr_count:     38
    .sgpr_spill_count: 0
    .symbol:         _ZN12_GLOBAL__N_127rocblas_gemm_batched_kernelIDF16_Li16ELi16ELi32ELi32ELi8ELi32ELi8ELi8ELi32ELc78ELc84EKPKDF16_S3_KPDF16_EEvlllT_PT11_llS8_llS6_PT12_llPT13_lli.kd
    .uniform_work_group_size: 1
    .uses_dynamic_stack: false
    .vgpr_count:     28
    .vgpr_spill_count: 0
    .wavefront_size: 32
    .workgroup_processor_mode: 1
  - .args:
      - .offset:         0
        .size:           8
        .value_kind:     by_value
      - .offset:         8
        .size:           8
        .value_kind:     by_value
      - .offset:         16
        .size:           8
        .value_kind:     by_value
      - .offset:         24
        .size:           2
        .value_kind:     by_value
      - .address_space:  global
        .offset:         32
        .size:           8
        .value_kind:     global_buffer
      - .offset:         40
        .size:           8
        .value_kind:     by_value
      - .offset:         48
        .size:           8
        .value_kind:     by_value
      - .address_space:  global
        .offset:         56
        .size:           8
        .value_kind:     global_buffer
      - .offset:         64
        .size:           8
        .value_kind:     by_value
      - .offset:         72
        .size:           8
        .value_kind:     by_value
      - .offset:         80
        .size:           2
        .value_kind:     by_value
      - .address_space:  global
        .offset:         88
        .size:           8
        .value_kind:     global_buffer
      - .offset:         96
        .size:           8
        .value_kind:     by_value
      - .offset:         104
        .size:           8
        .value_kind:     by_value
      - .address_space:  global
        .offset:         112
        .size:           8
        .value_kind:     global_buffer
      - .offset:         120
        .size:           8
        .value_kind:     by_value
      - .offset:         128
        .size:           8
        .value_kind:     by_value
      - .offset:         136
        .size:           4
        .value_kind:     by_value
    .group_segment_fixed_size: 1024
    .kernarg_segment_align: 8
    .kernarg_segment_size: 140
    .language:       OpenCL C
    .language_version:
      - 2
      - 0
    .max_flat_workgroup_size: 256
    .name:           _ZN12_GLOBAL__N_127rocblas_gemm_batched_kernelIDF16_Li16ELi16ELi32ELi32ELi8ELi32ELi8ELi8ELi32ELc84ELc84EKPKDF16_S3_KPDF16_EEvlllT_PT11_llS8_llS6_PT12_llPT13_lli
    .private_segment_fixed_size: 0
    .sgpr_count:     38
    .sgpr_spill_count: 0
    .symbol:         _ZN12_GLOBAL__N_127rocblas_gemm_batched_kernelIDF16_Li16ELi16ELi32ELi32ELi8ELi32ELi8ELi8ELi32ELc84ELc84EKPKDF16_S3_KPDF16_EEvlllT_PT11_llS8_llS6_PT12_llPT13_lli.kd
    .uniform_work_group_size: 1
    .uses_dynamic_stack: false
    .vgpr_count:     28
    .vgpr_spill_count: 0
    .wavefront_size: 32
    .workgroup_processor_mode: 1
  - .args:
      - .offset:         0
        .size:           8
        .value_kind:     by_value
      - .offset:         8
        .size:           8
        .value_kind:     by_value
      - .offset:         16
        .size:           8
        .value_kind:     by_value
      - .offset:         24
        .size:           2
        .value_kind:     by_value
      - .address_space:  global
        .offset:         32
        .size:           8
        .value_kind:     global_buffer
      - .offset:         40
        .size:           8
        .value_kind:     by_value
      - .offset:         48
        .size:           8
        .value_kind:     by_value
      - .address_space:  global
        .offset:         56
        .size:           8
        .value_kind:     global_buffer
      - .offset:         64
        .size:           8
        .value_kind:     by_value
      - .offset:         72
        .size:           8
        .value_kind:     by_value
      - .offset:         80
        .size:           2
        .value_kind:     by_value
      - .address_space:  global
        .offset:         88
        .size:           8
        .value_kind:     global_buffer
      - .offset:         96
        .size:           8
        .value_kind:     by_value
      - .offset:         104
        .size:           8
        .value_kind:     by_value
      - .address_space:  global
        .offset:         112
        .size:           8
        .value_kind:     global_buffer
      - .offset:         120
        .size:           8
        .value_kind:     by_value
      - .offset:         128
        .size:           8
        .value_kind:     by_value
      - .offset:         136
        .size:           4
        .value_kind:     by_value
    .group_segment_fixed_size: 1024
    .kernarg_segment_align: 8
    .kernarg_segment_size: 140
    .language:       OpenCL C
    .language_version:
      - 2
      - 0
    .max_flat_workgroup_size: 256
    .name:           _ZN12_GLOBAL__N_127rocblas_gemm_batched_kernelIDF16_Li16ELi16ELi32ELi32ELi8ELi32ELi8ELi8ELi32ELc67ELc67EKPKDF16_S3_KPDF16_EEvlllT_PT11_llS8_llS6_PT12_llPT13_lli
    .private_segment_fixed_size: 0
    .sgpr_count:     38
    .sgpr_spill_count: 0
    .symbol:         _ZN12_GLOBAL__N_127rocblas_gemm_batched_kernelIDF16_Li16ELi16ELi32ELi32ELi8ELi32ELi8ELi8ELi32ELc67ELc67EKPKDF16_S3_KPDF16_EEvlllT_PT11_llS8_llS6_PT12_llPT13_lli.kd
    .uniform_work_group_size: 1
    .uses_dynamic_stack: false
    .vgpr_count:     28
    .vgpr_spill_count: 0
    .wavefront_size: 32
    .workgroup_processor_mode: 1
  - .args:
      - .offset:         0
        .size:           8
        .value_kind:     by_value
      - .offset:         8
        .size:           8
        .value_kind:     by_value
      - .offset:         16
        .size:           8
        .value_kind:     by_value
      - .offset:         24
        .size:           2
        .value_kind:     by_value
      - .address_space:  global
        .offset:         32
        .size:           8
        .value_kind:     global_buffer
      - .offset:         40
        .size:           8
        .value_kind:     by_value
      - .offset:         48
        .size:           8
        .value_kind:     by_value
      - .address_space:  global
        .offset:         56
        .size:           8
        .value_kind:     global_buffer
      - .offset:         64
        .size:           8
        .value_kind:     by_value
      - .offset:         72
        .size:           8
        .value_kind:     by_value
      - .offset:         80
        .size:           2
        .value_kind:     by_value
      - .address_space:  global
        .offset:         88
        .size:           8
        .value_kind:     global_buffer
      - .offset:         96
        .size:           8
        .value_kind:     by_value
      - .offset:         104
        .size:           8
        .value_kind:     by_value
      - .address_space:  global
        .offset:         112
        .size:           8
        .value_kind:     global_buffer
      - .offset:         120
        .size:           8
        .value_kind:     by_value
      - .offset:         128
        .size:           8
        .value_kind:     by_value
      - .offset:         136
        .size:           4
        .value_kind:     by_value
    .group_segment_fixed_size: 1024
    .kernarg_segment_align: 8
    .kernarg_segment_size: 140
    .language:       OpenCL C
    .language_version:
      - 2
      - 0
    .max_flat_workgroup_size: 256
    .name:           _ZN12_GLOBAL__N_127rocblas_gemm_batched_kernelIDF16_Li16ELi16ELi32ELi32ELi8ELi32ELi8ELi8ELi32ELc67ELc78EKPKDF16_S3_KPDF16_EEvlllT_PT11_llS8_llS6_PT12_llPT13_lli
    .private_segment_fixed_size: 0
    .sgpr_count:     38
    .sgpr_spill_count: 0
    .symbol:         _ZN12_GLOBAL__N_127rocblas_gemm_batched_kernelIDF16_Li16ELi16ELi32ELi32ELi8ELi32ELi8ELi8ELi32ELc67ELc78EKPKDF16_S3_KPDF16_EEvlllT_PT11_llS8_llS6_PT12_llPT13_lli.kd
    .uniform_work_group_size: 1
    .uses_dynamic_stack: false
    .vgpr_count:     28
    .vgpr_spill_count: 0
    .wavefront_size: 32
    .workgroup_processor_mode: 1
  - .args:
      - .offset:         0
        .size:           8
        .value_kind:     by_value
      - .offset:         8
        .size:           8
        .value_kind:     by_value
      - .offset:         16
        .size:           8
        .value_kind:     by_value
      - .offset:         24
        .size:           2
        .value_kind:     by_value
      - .address_space:  global
        .offset:         32
        .size:           8
        .value_kind:     global_buffer
      - .offset:         40
        .size:           8
        .value_kind:     by_value
      - .offset:         48
        .size:           8
        .value_kind:     by_value
      - .address_space:  global
        .offset:         56
        .size:           8
        .value_kind:     global_buffer
      - .offset:         64
        .size:           8
        .value_kind:     by_value
      - .offset:         72
        .size:           8
        .value_kind:     by_value
      - .offset:         80
        .size:           2
        .value_kind:     by_value
      - .address_space:  global
        .offset:         88
        .size:           8
        .value_kind:     global_buffer
      - .offset:         96
        .size:           8
        .value_kind:     by_value
      - .offset:         104
        .size:           8
        .value_kind:     by_value
      - .address_space:  global
        .offset:         112
        .size:           8
        .value_kind:     global_buffer
      - .offset:         120
        .size:           8
        .value_kind:     by_value
      - .offset:         128
        .size:           8
        .value_kind:     by_value
      - .offset:         136
        .size:           4
        .value_kind:     by_value
    .group_segment_fixed_size: 1024
    .kernarg_segment_align: 8
    .kernarg_segment_size: 140
    .language:       OpenCL C
    .language_version:
      - 2
      - 0
    .max_flat_workgroup_size: 256
    .name:           _ZN12_GLOBAL__N_127rocblas_gemm_batched_kernelIDF16_Li16ELi16ELi32ELi32ELi8ELi32ELi8ELi8ELi32ELc67ELc84EKPKDF16_S3_KPDF16_EEvlllT_PT11_llS8_llS6_PT12_llPT13_lli
    .private_segment_fixed_size: 0
    .sgpr_count:     38
    .sgpr_spill_count: 0
    .symbol:         _ZN12_GLOBAL__N_127rocblas_gemm_batched_kernelIDF16_Li16ELi16ELi32ELi32ELi8ELi32ELi8ELi8ELi32ELc67ELc84EKPKDF16_S3_KPDF16_EEvlllT_PT11_llS8_llS6_PT12_llPT13_lli.kd
    .uniform_work_group_size: 1
    .uses_dynamic_stack: false
    .vgpr_count:     28
    .vgpr_spill_count: 0
    .wavefront_size: 32
    .workgroup_processor_mode: 1
  - .args:
      - .offset:         0
        .size:           8
        .value_kind:     by_value
      - .offset:         8
        .size:           8
        .value_kind:     by_value
      - .offset:         16
        .size:           8
        .value_kind:     by_value
      - .offset:         24
        .size:           2
        .value_kind:     by_value
      - .address_space:  global
        .offset:         32
        .size:           8
        .value_kind:     global_buffer
      - .offset:         40
        .size:           8
        .value_kind:     by_value
      - .offset:         48
        .size:           8
        .value_kind:     by_value
      - .address_space:  global
        .offset:         56
        .size:           8
        .value_kind:     global_buffer
      - .offset:         64
        .size:           8
        .value_kind:     by_value
      - .offset:         72
        .size:           8
        .value_kind:     by_value
      - .offset:         80
        .size:           2
        .value_kind:     by_value
      - .address_space:  global
        .offset:         88
        .size:           8
        .value_kind:     global_buffer
      - .offset:         96
        .size:           8
        .value_kind:     by_value
      - .offset:         104
        .size:           8
        .value_kind:     by_value
      - .address_space:  global
        .offset:         112
        .size:           8
        .value_kind:     global_buffer
      - .offset:         120
        .size:           8
        .value_kind:     by_value
      - .offset:         128
        .size:           8
        .value_kind:     by_value
      - .offset:         136
        .size:           4
        .value_kind:     by_value
    .group_segment_fixed_size: 1024
    .kernarg_segment_align: 8
    .kernarg_segment_size: 140
    .language:       OpenCL C
    .language_version:
      - 2
      - 0
    .max_flat_workgroup_size: 256
    .name:           _ZN12_GLOBAL__N_127rocblas_gemm_batched_kernelIDF16_Li16ELi16ELi32ELi32ELi8ELi32ELi8ELi8ELi32ELc78ELc67EKPKDF16_S3_KPDF16_EEvlllT_PT11_llS8_llS6_PT12_llPT13_lli
    .private_segment_fixed_size: 0
    .sgpr_count:     38
    .sgpr_spill_count: 0
    .symbol:         _ZN12_GLOBAL__N_127rocblas_gemm_batched_kernelIDF16_Li16ELi16ELi32ELi32ELi8ELi32ELi8ELi8ELi32ELc78ELc67EKPKDF16_S3_KPDF16_EEvlllT_PT11_llS8_llS6_PT12_llPT13_lli.kd
    .uniform_work_group_size: 1
    .uses_dynamic_stack: false
    .vgpr_count:     28
    .vgpr_spill_count: 0
    .wavefront_size: 32
    .workgroup_processor_mode: 1
  - .args:
      - .offset:         0
        .size:           8
        .value_kind:     by_value
      - .offset:         8
        .size:           8
        .value_kind:     by_value
      - .offset:         16
        .size:           8
        .value_kind:     by_value
      - .offset:         24
        .size:           2
        .value_kind:     by_value
      - .address_space:  global
        .offset:         32
        .size:           8
        .value_kind:     global_buffer
      - .offset:         40
        .size:           8
        .value_kind:     by_value
      - .offset:         48
        .size:           8
        .value_kind:     by_value
      - .address_space:  global
        .offset:         56
        .size:           8
        .value_kind:     global_buffer
      - .offset:         64
        .size:           8
        .value_kind:     by_value
      - .offset:         72
        .size:           8
        .value_kind:     by_value
      - .offset:         80
        .size:           2
        .value_kind:     by_value
      - .address_space:  global
        .offset:         88
        .size:           8
        .value_kind:     global_buffer
      - .offset:         96
        .size:           8
        .value_kind:     by_value
      - .offset:         104
        .size:           8
        .value_kind:     by_value
      - .address_space:  global
        .offset:         112
        .size:           8
        .value_kind:     global_buffer
      - .offset:         120
        .size:           8
        .value_kind:     by_value
      - .offset:         128
        .size:           8
        .value_kind:     by_value
      - .offset:         136
        .size:           4
        .value_kind:     by_value
    .group_segment_fixed_size: 1024
    .kernarg_segment_align: 8
    .kernarg_segment_size: 140
    .language:       OpenCL C
    .language_version:
      - 2
      - 0
    .max_flat_workgroup_size: 256
    .name:           _ZN12_GLOBAL__N_127rocblas_gemm_batched_kernelIDF16_Li16ELi16ELi32ELi32ELi8ELi32ELi8ELi8ELi32ELc84ELc67EKPKDF16_S3_KPDF16_EEvlllT_PT11_llS8_llS6_PT12_llPT13_lli
    .private_segment_fixed_size: 0
    .sgpr_count:     38
    .sgpr_spill_count: 0
    .symbol:         _ZN12_GLOBAL__N_127rocblas_gemm_batched_kernelIDF16_Li16ELi16ELi32ELi32ELi8ELi32ELi8ELi8ELi32ELc84ELc67EKPKDF16_S3_KPDF16_EEvlllT_PT11_llS8_llS6_PT12_llPT13_lli.kd
    .uniform_work_group_size: 1
    .uses_dynamic_stack: false
    .vgpr_count:     28
    .vgpr_spill_count: 0
    .wavefront_size: 32
    .workgroup_processor_mode: 1
  - .args:
      - .offset:         0
        .size:           8
        .value_kind:     by_value
      - .offset:         8
        .size:           8
        .value_kind:     by_value
      - .offset:         16
        .size:           8
        .value_kind:     by_value
      - .offset:         24
        .size:           2
        .value_kind:     by_value
      - .address_space:  global
        .offset:         32
        .size:           8
        .value_kind:     global_buffer
      - .offset:         40
        .size:           8
        .value_kind:     by_value
      - .offset:         48
        .size:           8
        .value_kind:     by_value
      - .address_space:  global
        .offset:         56
        .size:           8
        .value_kind:     global_buffer
      - .offset:         64
        .size:           8
        .value_kind:     by_value
      - .offset:         72
        .size:           8
        .value_kind:     by_value
      - .offset:         80
        .size:           2
        .value_kind:     by_value
      - .address_space:  global
        .offset:         88
        .size:           8
        .value_kind:     global_buffer
      - .offset:         96
        .size:           8
        .value_kind:     by_value
      - .offset:         104
        .size:           8
        .value_kind:     by_value
      - .address_space:  global
        .offset:         112
        .size:           8
        .value_kind:     global_buffer
      - .offset:         120
        .size:           8
        .value_kind:     by_value
      - .offset:         128
        .size:           8
        .value_kind:     by_value
      - .offset:         136
        .size:           4
        .value_kind:     by_value
    .group_segment_fixed_size: 1024
    .kernarg_segment_align: 8
    .kernarg_segment_size: 140
    .language:       OpenCL C
    .language_version:
      - 2
      - 0
    .max_flat_workgroup_size: 256
    .name:           _ZN12_GLOBAL__N_135rocblas_gemm_batched_general_kernelIDF16_Li16ELi16ELi32ELi32ELi8ELi32ELi8ELi8ELi32ELc78ELc78EKPKDF16_S3_KPDF16_EEvlllT_PT11_llS8_llS6_PT12_llPT13_lli
    .private_segment_fixed_size: 0
    .sgpr_count:     46
    .sgpr_spill_count: 0
    .symbol:         _ZN12_GLOBAL__N_135rocblas_gemm_batched_general_kernelIDF16_Li16ELi16ELi32ELi32ELi8ELi32ELi8ELi8ELi32ELc78ELc78EKPKDF16_S3_KPDF16_EEvlllT_PT11_llS8_llS6_PT12_llPT13_lli.kd
    .uniform_work_group_size: 1
    .uses_dynamic_stack: false
    .vgpr_count:     30
    .vgpr_spill_count: 0
    .wavefront_size: 32
    .workgroup_processor_mode: 1
  - .args:
      - .offset:         0
        .size:           8
        .value_kind:     by_value
      - .offset:         8
        .size:           8
        .value_kind:     by_value
      - .offset:         16
        .size:           8
        .value_kind:     by_value
      - .offset:         24
        .size:           2
        .value_kind:     by_value
      - .address_space:  global
        .offset:         32
        .size:           8
        .value_kind:     global_buffer
      - .offset:         40
        .size:           8
        .value_kind:     by_value
      - .offset:         48
        .size:           8
        .value_kind:     by_value
      - .address_space:  global
        .offset:         56
        .size:           8
        .value_kind:     global_buffer
      - .offset:         64
        .size:           8
        .value_kind:     by_value
      - .offset:         72
        .size:           8
        .value_kind:     by_value
      - .offset:         80
        .size:           2
        .value_kind:     by_value
      - .address_space:  global
        .offset:         88
        .size:           8
        .value_kind:     global_buffer
      - .offset:         96
        .size:           8
        .value_kind:     by_value
      - .offset:         104
        .size:           8
        .value_kind:     by_value
      - .address_space:  global
        .offset:         112
        .size:           8
        .value_kind:     global_buffer
      - .offset:         120
        .size:           8
        .value_kind:     by_value
      - .offset:         128
        .size:           8
        .value_kind:     by_value
      - .offset:         136
        .size:           4
        .value_kind:     by_value
    .group_segment_fixed_size: 1024
    .kernarg_segment_align: 8
    .kernarg_segment_size: 140
    .language:       OpenCL C
    .language_version:
      - 2
      - 0
    .max_flat_workgroup_size: 256
    .name:           _ZN12_GLOBAL__N_135rocblas_gemm_batched_general_kernelIDF16_Li16ELi16ELi32ELi32ELi8ELi32ELi8ELi8ELi32ELc84ELc78EKPKDF16_S3_KPDF16_EEvlllT_PT11_llS8_llS6_PT12_llPT13_lli
    .private_segment_fixed_size: 0
    .sgpr_count:     42
    .sgpr_spill_count: 0
    .symbol:         _ZN12_GLOBAL__N_135rocblas_gemm_batched_general_kernelIDF16_Li16ELi16ELi32ELi32ELi8ELi32ELi8ELi8ELi32ELc84ELc78EKPKDF16_S3_KPDF16_EEvlllT_PT11_llS8_llS6_PT12_llPT13_lli.kd
    .uniform_work_group_size: 1
    .uses_dynamic_stack: false
    .vgpr_count:     30
    .vgpr_spill_count: 0
    .wavefront_size: 32
    .workgroup_processor_mode: 1
  - .args:
      - .offset:         0
        .size:           8
        .value_kind:     by_value
      - .offset:         8
        .size:           8
        .value_kind:     by_value
      - .offset:         16
        .size:           8
        .value_kind:     by_value
      - .offset:         24
        .size:           2
        .value_kind:     by_value
      - .address_space:  global
        .offset:         32
        .size:           8
        .value_kind:     global_buffer
      - .offset:         40
        .size:           8
        .value_kind:     by_value
      - .offset:         48
        .size:           8
        .value_kind:     by_value
      - .address_space:  global
        .offset:         56
        .size:           8
        .value_kind:     global_buffer
      - .offset:         64
        .size:           8
        .value_kind:     by_value
      - .offset:         72
        .size:           8
        .value_kind:     by_value
      - .offset:         80
        .size:           2
        .value_kind:     by_value
      - .address_space:  global
        .offset:         88
        .size:           8
        .value_kind:     global_buffer
      - .offset:         96
        .size:           8
        .value_kind:     by_value
      - .offset:         104
        .size:           8
        .value_kind:     by_value
      - .address_space:  global
        .offset:         112
        .size:           8
        .value_kind:     global_buffer
      - .offset:         120
        .size:           8
        .value_kind:     by_value
      - .offset:         128
        .size:           8
        .value_kind:     by_value
      - .offset:         136
        .size:           4
        .value_kind:     by_value
    .group_segment_fixed_size: 1024
    .kernarg_segment_align: 8
    .kernarg_segment_size: 140
    .language:       OpenCL C
    .language_version:
      - 2
      - 0
    .max_flat_workgroup_size: 256
    .name:           _ZN12_GLOBAL__N_135rocblas_gemm_batched_general_kernelIDF16_Li16ELi16ELi32ELi32ELi8ELi32ELi8ELi8ELi32ELc78ELc84EKPKDF16_S3_KPDF16_EEvlllT_PT11_llS8_llS6_PT12_llPT13_lli
    .private_segment_fixed_size: 0
    .sgpr_count:     48
    .sgpr_spill_count: 0
    .symbol:         _ZN12_GLOBAL__N_135rocblas_gemm_batched_general_kernelIDF16_Li16ELi16ELi32ELi32ELi8ELi32ELi8ELi8ELi32ELc78ELc84EKPKDF16_S3_KPDF16_EEvlllT_PT11_llS8_llS6_PT12_llPT13_lli.kd
    .uniform_work_group_size: 1
    .uses_dynamic_stack: false
    .vgpr_count:     30
    .vgpr_spill_count: 0
    .wavefront_size: 32
    .workgroup_processor_mode: 1
  - .args:
      - .offset:         0
        .size:           8
        .value_kind:     by_value
      - .offset:         8
        .size:           8
        .value_kind:     by_value
      - .offset:         16
        .size:           8
        .value_kind:     by_value
      - .offset:         24
        .size:           2
        .value_kind:     by_value
      - .address_space:  global
        .offset:         32
        .size:           8
        .value_kind:     global_buffer
      - .offset:         40
        .size:           8
        .value_kind:     by_value
      - .offset:         48
        .size:           8
        .value_kind:     by_value
      - .address_space:  global
        .offset:         56
        .size:           8
        .value_kind:     global_buffer
      - .offset:         64
        .size:           8
        .value_kind:     by_value
      - .offset:         72
        .size:           8
        .value_kind:     by_value
      - .offset:         80
        .size:           2
        .value_kind:     by_value
      - .address_space:  global
        .offset:         88
        .size:           8
        .value_kind:     global_buffer
      - .offset:         96
        .size:           8
        .value_kind:     by_value
      - .offset:         104
        .size:           8
        .value_kind:     by_value
      - .address_space:  global
        .offset:         112
        .size:           8
        .value_kind:     global_buffer
      - .offset:         120
        .size:           8
        .value_kind:     by_value
      - .offset:         128
        .size:           8
        .value_kind:     by_value
      - .offset:         136
        .size:           4
        .value_kind:     by_value
    .group_segment_fixed_size: 1024
    .kernarg_segment_align: 8
    .kernarg_segment_size: 140
    .language:       OpenCL C
    .language_version:
      - 2
      - 0
    .max_flat_workgroup_size: 256
    .name:           _ZN12_GLOBAL__N_135rocblas_gemm_batched_general_kernelIDF16_Li16ELi16ELi32ELi32ELi8ELi32ELi8ELi8ELi32ELc84ELc84EKPKDF16_S3_KPDF16_EEvlllT_PT11_llS8_llS6_PT12_llPT13_lli
    .private_segment_fixed_size: 0
    .sgpr_count:     46
    .sgpr_spill_count: 0
    .symbol:         _ZN12_GLOBAL__N_135rocblas_gemm_batched_general_kernelIDF16_Li16ELi16ELi32ELi32ELi8ELi32ELi8ELi8ELi32ELc84ELc84EKPKDF16_S3_KPDF16_EEvlllT_PT11_llS8_llS6_PT12_llPT13_lli.kd
    .uniform_work_group_size: 1
    .uses_dynamic_stack: false
    .vgpr_count:     30
    .vgpr_spill_count: 0
    .wavefront_size: 32
    .workgroup_processor_mode: 1
  - .args:
      - .offset:         0
        .size:           8
        .value_kind:     by_value
      - .offset:         8
        .size:           8
        .value_kind:     by_value
      - .offset:         16
        .size:           8
        .value_kind:     by_value
      - .offset:         24
        .size:           2
        .value_kind:     by_value
      - .address_space:  global
        .offset:         32
        .size:           8
        .value_kind:     global_buffer
      - .offset:         40
        .size:           8
        .value_kind:     by_value
      - .offset:         48
        .size:           8
        .value_kind:     by_value
      - .address_space:  global
        .offset:         56
        .size:           8
        .value_kind:     global_buffer
      - .offset:         64
        .size:           8
        .value_kind:     by_value
      - .offset:         72
        .size:           8
        .value_kind:     by_value
      - .offset:         80
        .size:           2
        .value_kind:     by_value
      - .address_space:  global
        .offset:         88
        .size:           8
        .value_kind:     global_buffer
      - .offset:         96
        .size:           8
        .value_kind:     by_value
      - .offset:         104
        .size:           8
        .value_kind:     by_value
      - .address_space:  global
        .offset:         112
        .size:           8
        .value_kind:     global_buffer
      - .offset:         120
        .size:           8
        .value_kind:     by_value
      - .offset:         128
        .size:           8
        .value_kind:     by_value
      - .offset:         136
        .size:           4
        .value_kind:     by_value
    .group_segment_fixed_size: 1024
    .kernarg_segment_align: 8
    .kernarg_segment_size: 140
    .language:       OpenCL C
    .language_version:
      - 2
      - 0
    .max_flat_workgroup_size: 256
    .name:           _ZN12_GLOBAL__N_135rocblas_gemm_batched_general_kernelIDF16_Li16ELi16ELi32ELi32ELi8ELi32ELi8ELi8ELi32ELc67ELc67EKPKDF16_S3_KPDF16_EEvlllT_PT11_llS8_llS6_PT12_llPT13_lli
    .private_segment_fixed_size: 0
    .sgpr_count:     46
    .sgpr_spill_count: 0
    .symbol:         _ZN12_GLOBAL__N_135rocblas_gemm_batched_general_kernelIDF16_Li16ELi16ELi32ELi32ELi8ELi32ELi8ELi8ELi32ELc67ELc67EKPKDF16_S3_KPDF16_EEvlllT_PT11_llS8_llS6_PT12_llPT13_lli.kd
    .uniform_work_group_size: 1
    .uses_dynamic_stack: false
    .vgpr_count:     30
    .vgpr_spill_count: 0
    .wavefront_size: 32
    .workgroup_processor_mode: 1
  - .args:
      - .offset:         0
        .size:           8
        .value_kind:     by_value
      - .offset:         8
        .size:           8
        .value_kind:     by_value
      - .offset:         16
        .size:           8
        .value_kind:     by_value
      - .offset:         24
        .size:           2
        .value_kind:     by_value
      - .address_space:  global
        .offset:         32
        .size:           8
        .value_kind:     global_buffer
      - .offset:         40
        .size:           8
        .value_kind:     by_value
      - .offset:         48
        .size:           8
        .value_kind:     by_value
      - .address_space:  global
        .offset:         56
        .size:           8
        .value_kind:     global_buffer
      - .offset:         64
        .size:           8
        .value_kind:     by_value
      - .offset:         72
        .size:           8
        .value_kind:     by_value
      - .offset:         80
        .size:           2
        .value_kind:     by_value
      - .address_space:  global
        .offset:         88
        .size:           8
        .value_kind:     global_buffer
      - .offset:         96
        .size:           8
        .value_kind:     by_value
      - .offset:         104
        .size:           8
        .value_kind:     by_value
      - .address_space:  global
        .offset:         112
        .size:           8
        .value_kind:     global_buffer
      - .offset:         120
        .size:           8
        .value_kind:     by_value
      - .offset:         128
        .size:           8
        .value_kind:     by_value
      - .offset:         136
        .size:           4
        .value_kind:     by_value
    .group_segment_fixed_size: 1024
    .kernarg_segment_align: 8
    .kernarg_segment_size: 140
    .language:       OpenCL C
    .language_version:
      - 2
      - 0
    .max_flat_workgroup_size: 256
    .name:           _ZN12_GLOBAL__N_135rocblas_gemm_batched_general_kernelIDF16_Li16ELi16ELi32ELi32ELi8ELi32ELi8ELi8ELi32ELc67ELc78EKPKDF16_S3_KPDF16_EEvlllT_PT11_llS8_llS6_PT12_llPT13_lli
    .private_segment_fixed_size: 0
    .sgpr_count:     42
    .sgpr_spill_count: 0
    .symbol:         _ZN12_GLOBAL__N_135rocblas_gemm_batched_general_kernelIDF16_Li16ELi16ELi32ELi32ELi8ELi32ELi8ELi8ELi32ELc67ELc78EKPKDF16_S3_KPDF16_EEvlllT_PT11_llS8_llS6_PT12_llPT13_lli.kd
    .uniform_work_group_size: 1
    .uses_dynamic_stack: false
    .vgpr_count:     30
    .vgpr_spill_count: 0
    .wavefront_size: 32
    .workgroup_processor_mode: 1
  - .args:
      - .offset:         0
        .size:           8
        .value_kind:     by_value
      - .offset:         8
        .size:           8
        .value_kind:     by_value
      - .offset:         16
        .size:           8
        .value_kind:     by_value
      - .offset:         24
        .size:           2
        .value_kind:     by_value
      - .address_space:  global
        .offset:         32
        .size:           8
        .value_kind:     global_buffer
      - .offset:         40
        .size:           8
        .value_kind:     by_value
      - .offset:         48
        .size:           8
        .value_kind:     by_value
      - .address_space:  global
        .offset:         56
        .size:           8
        .value_kind:     global_buffer
      - .offset:         64
        .size:           8
        .value_kind:     by_value
      - .offset:         72
        .size:           8
        .value_kind:     by_value
      - .offset:         80
        .size:           2
        .value_kind:     by_value
      - .address_space:  global
        .offset:         88
        .size:           8
        .value_kind:     global_buffer
      - .offset:         96
        .size:           8
        .value_kind:     by_value
      - .offset:         104
        .size:           8
        .value_kind:     by_value
      - .address_space:  global
        .offset:         112
        .size:           8
        .value_kind:     global_buffer
      - .offset:         120
        .size:           8
        .value_kind:     by_value
      - .offset:         128
        .size:           8
        .value_kind:     by_value
      - .offset:         136
        .size:           4
        .value_kind:     by_value
    .group_segment_fixed_size: 1024
    .kernarg_segment_align: 8
    .kernarg_segment_size: 140
    .language:       OpenCL C
    .language_version:
      - 2
      - 0
    .max_flat_workgroup_size: 256
    .name:           _ZN12_GLOBAL__N_135rocblas_gemm_batched_general_kernelIDF16_Li16ELi16ELi32ELi32ELi8ELi32ELi8ELi8ELi32ELc67ELc84EKPKDF16_S3_KPDF16_EEvlllT_PT11_llS8_llS6_PT12_llPT13_lli
    .private_segment_fixed_size: 0
    .sgpr_count:     46
    .sgpr_spill_count: 0
    .symbol:         _ZN12_GLOBAL__N_135rocblas_gemm_batched_general_kernelIDF16_Li16ELi16ELi32ELi32ELi8ELi32ELi8ELi8ELi32ELc67ELc84EKPKDF16_S3_KPDF16_EEvlllT_PT11_llS8_llS6_PT12_llPT13_lli.kd
    .uniform_work_group_size: 1
    .uses_dynamic_stack: false
    .vgpr_count:     30
    .vgpr_spill_count: 0
    .wavefront_size: 32
    .workgroup_processor_mode: 1
  - .args:
      - .offset:         0
        .size:           8
        .value_kind:     by_value
      - .offset:         8
        .size:           8
        .value_kind:     by_value
      - .offset:         16
        .size:           8
        .value_kind:     by_value
      - .offset:         24
        .size:           2
        .value_kind:     by_value
      - .address_space:  global
        .offset:         32
        .size:           8
        .value_kind:     global_buffer
      - .offset:         40
        .size:           8
        .value_kind:     by_value
      - .offset:         48
        .size:           8
        .value_kind:     by_value
      - .address_space:  global
        .offset:         56
        .size:           8
        .value_kind:     global_buffer
      - .offset:         64
        .size:           8
        .value_kind:     by_value
      - .offset:         72
        .size:           8
        .value_kind:     by_value
      - .offset:         80
        .size:           2
        .value_kind:     by_value
      - .address_space:  global
        .offset:         88
        .size:           8
        .value_kind:     global_buffer
      - .offset:         96
        .size:           8
        .value_kind:     by_value
      - .offset:         104
        .size:           8
        .value_kind:     by_value
      - .address_space:  global
        .offset:         112
        .size:           8
        .value_kind:     global_buffer
      - .offset:         120
        .size:           8
        .value_kind:     by_value
      - .offset:         128
        .size:           8
        .value_kind:     by_value
      - .offset:         136
        .size:           4
        .value_kind:     by_value
    .group_segment_fixed_size: 1024
    .kernarg_segment_align: 8
    .kernarg_segment_size: 140
    .language:       OpenCL C
    .language_version:
      - 2
      - 0
    .max_flat_workgroup_size: 256
    .name:           _ZN12_GLOBAL__N_135rocblas_gemm_batched_general_kernelIDF16_Li16ELi16ELi32ELi32ELi8ELi32ELi8ELi8ELi32ELc78ELc67EKPKDF16_S3_KPDF16_EEvlllT_PT11_llS8_llS6_PT12_llPT13_lli
    .private_segment_fixed_size: 0
    .sgpr_count:     48
    .sgpr_spill_count: 0
    .symbol:         _ZN12_GLOBAL__N_135rocblas_gemm_batched_general_kernelIDF16_Li16ELi16ELi32ELi32ELi8ELi32ELi8ELi8ELi32ELc78ELc67EKPKDF16_S3_KPDF16_EEvlllT_PT11_llS8_llS6_PT12_llPT13_lli.kd
    .uniform_work_group_size: 1
    .uses_dynamic_stack: false
    .vgpr_count:     30
    .vgpr_spill_count: 0
    .wavefront_size: 32
    .workgroup_processor_mode: 1
  - .args:
      - .offset:         0
        .size:           8
        .value_kind:     by_value
      - .offset:         8
        .size:           8
        .value_kind:     by_value
      - .offset:         16
        .size:           8
        .value_kind:     by_value
      - .offset:         24
        .size:           2
        .value_kind:     by_value
      - .address_space:  global
        .offset:         32
        .size:           8
        .value_kind:     global_buffer
      - .offset:         40
        .size:           8
        .value_kind:     by_value
      - .offset:         48
        .size:           8
        .value_kind:     by_value
      - .address_space:  global
        .offset:         56
        .size:           8
        .value_kind:     global_buffer
      - .offset:         64
        .size:           8
        .value_kind:     by_value
      - .offset:         72
        .size:           8
        .value_kind:     by_value
      - .offset:         80
        .size:           2
        .value_kind:     by_value
      - .address_space:  global
        .offset:         88
        .size:           8
        .value_kind:     global_buffer
      - .offset:         96
        .size:           8
        .value_kind:     by_value
      - .offset:         104
        .size:           8
        .value_kind:     by_value
      - .address_space:  global
        .offset:         112
        .size:           8
        .value_kind:     global_buffer
      - .offset:         120
        .size:           8
        .value_kind:     by_value
      - .offset:         128
        .size:           8
        .value_kind:     by_value
      - .offset:         136
        .size:           4
        .value_kind:     by_value
    .group_segment_fixed_size: 1024
    .kernarg_segment_align: 8
    .kernarg_segment_size: 140
    .language:       OpenCL C
    .language_version:
      - 2
      - 0
    .max_flat_workgroup_size: 256
    .name:           _ZN12_GLOBAL__N_135rocblas_gemm_batched_general_kernelIDF16_Li16ELi16ELi32ELi32ELi8ELi32ELi8ELi8ELi32ELc84ELc67EKPKDF16_S3_KPDF16_EEvlllT_PT11_llS8_llS6_PT12_llPT13_lli
    .private_segment_fixed_size: 0
    .sgpr_count:     46
    .sgpr_spill_count: 0
    .symbol:         _ZN12_GLOBAL__N_135rocblas_gemm_batched_general_kernelIDF16_Li16ELi16ELi32ELi32ELi8ELi32ELi8ELi8ELi32ELc84ELc67EKPKDF16_S3_KPDF16_EEvlllT_PT11_llS8_llS6_PT12_llPT13_lli.kd
    .uniform_work_group_size: 1
    .uses_dynamic_stack: false
    .vgpr_count:     30
    .vgpr_spill_count: 0
    .wavefront_size: 32
    .workgroup_processor_mode: 1
  - .args:
      - .offset:         0
        .size:           4
        .value_kind:     by_value
      - .offset:         4
        .size:           4
        .value_kind:     by_value
      - .offset:         8
        .size:           4
        .value_kind:     by_value
      - .address_space:  global
        .offset:         16
        .size:           8
        .value_kind:     global_buffer
      - .offset:         24
        .size:           8
        .value_kind:     by_value
      - .offset:         32
        .size:           8
        .value_kind:     by_value
      - .offset:         40
        .size:           8
        .value_kind:     by_value
      - .offset:         48
        .size:           4
        .value_kind:     by_value
    .group_segment_fixed_size: 0
    .kernarg_segment_align: 8
    .kernarg_segment_size: 52
    .language:       OpenCL C
    .language_version:
      - 2
      - 0
    .max_flat_workgroup_size: 1024
    .name:           _ZN12_GLOBAL__N_125rocblas_gemm_scale_kernelILi32ELi32EfPKPfEEviiT1_T2_llli
    .private_segment_fixed_size: 0
    .sgpr_count:     12
    .sgpr_spill_count: 0
    .symbol:         _ZN12_GLOBAL__N_125rocblas_gemm_scale_kernelILi32ELi32EfPKPfEEviiT1_T2_llli.kd
    .uniform_work_group_size: 1
    .uses_dynamic_stack: false
    .vgpr_count:     6
    .vgpr_spill_count: 0
    .wavefront_size: 32
    .workgroup_processor_mode: 1
  - .args:
      - .offset:         0
        .size:           4
        .value_kind:     by_value
      - .offset:         4
        .size:           4
        .value_kind:     by_value
      - .offset:         8
        .size:           4
        .value_kind:     by_value
      - .address_space:  global
        .offset:         16
        .size:           8
        .value_kind:     global_buffer
      - .offset:         24
        .size:           8
        .value_kind:     by_value
      - .offset:         32
        .size:           8
        .value_kind:     by_value
      - .offset:         40
        .size:           8
        .value_kind:     by_value
      - .address_space:  global
        .offset:         48
        .size:           8
        .value_kind:     global_buffer
      - .offset:         56
        .size:           8
        .value_kind:     by_value
      - .offset:         64
        .size:           8
        .value_kind:     by_value
      - .offset:         72
        .size:           8
        .value_kind:     by_value
      - .offset:         80
        .size:           4
        .value_kind:     by_value
    .group_segment_fixed_size: 0
    .kernarg_segment_align: 8
    .kernarg_segment_size: 84
    .language:       OpenCL C
    .language_version:
      - 2
      - 0
    .max_flat_workgroup_size: 1024
    .name:           _ZN12_GLOBAL__N_120gemm_ex_scale_kernelILi32ELi32EfPKPKfPKPfEEviiT1_T2_lllT3_llli
    .private_segment_fixed_size: 0
    .sgpr_count:     22
    .sgpr_spill_count: 0
    .symbol:         _ZN12_GLOBAL__N_120gemm_ex_scale_kernelILi32ELi32EfPKPKfPKPfEEviiT1_T2_lllT3_llli.kd
    .uniform_work_group_size: 1
    .uses_dynamic_stack: false
    .vgpr_count:     8
    .vgpr_spill_count: 0
    .wavefront_size: 32
    .workgroup_processor_mode: 1
  - .args:
      - .offset:         0
        .size:           8
        .value_kind:     by_value
      - .offset:         8
        .size:           8
        .value_kind:     by_value
      - .offset:         16
        .size:           8
        .value_kind:     by_value
      - .offset:         24
        .size:           4
        .value_kind:     by_value
      - .address_space:  global
        .offset:         32
        .size:           8
        .value_kind:     global_buffer
      - .offset:         40
        .size:           8
        .value_kind:     by_value
      - .offset:         48
        .size:           8
        .value_kind:     by_value
      - .address_space:  global
        .offset:         56
        .size:           8
        .value_kind:     global_buffer
      - .offset:         64
        .size:           8
        .value_kind:     by_value
      - .offset:         72
        .size:           8
        .value_kind:     by_value
      - .offset:         80
        .size:           4
        .value_kind:     by_value
      - .address_space:  global
        .offset:         88
        .size:           8
        .value_kind:     global_buffer
      - .offset:         96
        .size:           8
        .value_kind:     by_value
      - .offset:         104
        .size:           8
        .value_kind:     by_value
      - .address_space:  global
        .offset:         112
        .size:           8
        .value_kind:     global_buffer
      - .offset:         120
        .size:           8
        .value_kind:     by_value
      - .offset:         128
        .size:           8
        .value_kind:     by_value
      - .offset:         136
        .size:           4
        .value_kind:     by_value
    .group_segment_fixed_size: 2048
    .kernarg_segment_align: 8
    .kernarg_segment_size: 140
    .language:       OpenCL C
    .language_version:
      - 2
      - 0
    .max_flat_workgroup_size: 256
    .name:           _ZN12_GLOBAL__N_127rocblas_gemm_batched_kernelIfLi16ELi16ELi64ELi64ELi4ELi64ELi4ELi4ELi64ELc78ELc78EKPKfS3_KPfEEvlllT_PT11_llS8_llS6_PT12_llPT13_lli
    .private_segment_fixed_size: 0
    .sgpr_count:     38
    .sgpr_spill_count: 0
    .symbol:         _ZN12_GLOBAL__N_127rocblas_gemm_batched_kernelIfLi16ELi16ELi64ELi64ELi4ELi64ELi4ELi4ELi64ELc78ELc78EKPKfS3_KPfEEvlllT_PT11_llS8_llS6_PT12_llPT13_lli.kd
    .uniform_work_group_size: 1
    .uses_dynamic_stack: false
    .vgpr_count:     58
    .vgpr_spill_count: 0
    .wavefront_size: 32
    .workgroup_processor_mode: 1
  - .args:
      - .offset:         0
        .size:           8
        .value_kind:     by_value
      - .offset:         8
        .size:           8
        .value_kind:     by_value
      - .offset:         16
        .size:           8
        .value_kind:     by_value
      - .offset:         24
        .size:           4
        .value_kind:     by_value
      - .address_space:  global
        .offset:         32
        .size:           8
        .value_kind:     global_buffer
      - .offset:         40
        .size:           8
        .value_kind:     by_value
      - .offset:         48
        .size:           8
        .value_kind:     by_value
      - .address_space:  global
        .offset:         56
        .size:           8
        .value_kind:     global_buffer
      - .offset:         64
        .size:           8
        .value_kind:     by_value
      - .offset:         72
        .size:           8
        .value_kind:     by_value
      - .offset:         80
        .size:           4
        .value_kind:     by_value
      - .address_space:  global
        .offset:         88
        .size:           8
        .value_kind:     global_buffer
      - .offset:         96
        .size:           8
        .value_kind:     by_value
      - .offset:         104
        .size:           8
        .value_kind:     by_value
      - .address_space:  global
        .offset:         112
        .size:           8
        .value_kind:     global_buffer
      - .offset:         120
        .size:           8
        .value_kind:     by_value
      - .offset:         128
        .size:           8
        .value_kind:     by_value
      - .offset:         136
        .size:           4
        .value_kind:     by_value
    .group_segment_fixed_size: 2048
    .kernarg_segment_align: 8
    .kernarg_segment_size: 140
    .language:       OpenCL C
    .language_version:
      - 2
      - 0
    .max_flat_workgroup_size: 256
    .name:           _ZN12_GLOBAL__N_127rocblas_gemm_batched_kernelIfLi16ELi16ELi64ELi64ELi4ELi64ELi4ELi4ELi64ELc84ELc78EKPKfS3_KPfEEvlllT_PT11_llS8_llS6_PT12_llPT13_lli
    .private_segment_fixed_size: 0
    .sgpr_count:     38
    .sgpr_spill_count: 0
    .symbol:         _ZN12_GLOBAL__N_127rocblas_gemm_batched_kernelIfLi16ELi16ELi64ELi64ELi4ELi64ELi4ELi4ELi64ELc84ELc78EKPKfS3_KPfEEvlllT_PT11_llS8_llS6_PT12_llPT13_lli.kd
    .uniform_work_group_size: 1
    .uses_dynamic_stack: false
    .vgpr_count:     58
    .vgpr_spill_count: 0
    .wavefront_size: 32
    .workgroup_processor_mode: 1
  - .args:
      - .offset:         0
        .size:           8
        .value_kind:     by_value
      - .offset:         8
        .size:           8
        .value_kind:     by_value
      - .offset:         16
        .size:           8
        .value_kind:     by_value
      - .offset:         24
        .size:           4
        .value_kind:     by_value
      - .address_space:  global
        .offset:         32
        .size:           8
        .value_kind:     global_buffer
      - .offset:         40
        .size:           8
        .value_kind:     by_value
      - .offset:         48
        .size:           8
        .value_kind:     by_value
      - .address_space:  global
        .offset:         56
        .size:           8
        .value_kind:     global_buffer
      - .offset:         64
        .size:           8
        .value_kind:     by_value
      - .offset:         72
        .size:           8
        .value_kind:     by_value
      - .offset:         80
        .size:           4
        .value_kind:     by_value
      - .address_space:  global
        .offset:         88
        .size:           8
        .value_kind:     global_buffer
      - .offset:         96
        .size:           8
        .value_kind:     by_value
      - .offset:         104
        .size:           8
        .value_kind:     by_value
      - .address_space:  global
        .offset:         112
        .size:           8
        .value_kind:     global_buffer
      - .offset:         120
        .size:           8
        .value_kind:     by_value
      - .offset:         128
        .size:           8
        .value_kind:     by_value
      - .offset:         136
        .size:           4
        .value_kind:     by_value
    .group_segment_fixed_size: 2048
    .kernarg_segment_align: 8
    .kernarg_segment_size: 140
    .language:       OpenCL C
    .language_version:
      - 2
      - 0
    .max_flat_workgroup_size: 256
    .name:           _ZN12_GLOBAL__N_127rocblas_gemm_batched_kernelIfLi16ELi16ELi64ELi64ELi4ELi64ELi4ELi4ELi64ELc78ELc84EKPKfS3_KPfEEvlllT_PT11_llS8_llS6_PT12_llPT13_lli
    .private_segment_fixed_size: 0
    .sgpr_count:     38
    .sgpr_spill_count: 0
    .symbol:         _ZN12_GLOBAL__N_127rocblas_gemm_batched_kernelIfLi16ELi16ELi64ELi64ELi4ELi64ELi4ELi4ELi64ELc78ELc84EKPKfS3_KPfEEvlllT_PT11_llS8_llS6_PT12_llPT13_lli.kd
    .uniform_work_group_size: 1
    .uses_dynamic_stack: false
    .vgpr_count:     58
    .vgpr_spill_count: 0
    .wavefront_size: 32
    .workgroup_processor_mode: 1
  - .args:
      - .offset:         0
        .size:           8
        .value_kind:     by_value
      - .offset:         8
        .size:           8
        .value_kind:     by_value
      - .offset:         16
        .size:           8
        .value_kind:     by_value
      - .offset:         24
        .size:           4
        .value_kind:     by_value
      - .address_space:  global
        .offset:         32
        .size:           8
        .value_kind:     global_buffer
      - .offset:         40
        .size:           8
        .value_kind:     by_value
      - .offset:         48
        .size:           8
        .value_kind:     by_value
      - .address_space:  global
        .offset:         56
        .size:           8
        .value_kind:     global_buffer
      - .offset:         64
        .size:           8
        .value_kind:     by_value
      - .offset:         72
        .size:           8
        .value_kind:     by_value
      - .offset:         80
        .size:           4
        .value_kind:     by_value
      - .address_space:  global
        .offset:         88
        .size:           8
        .value_kind:     global_buffer
      - .offset:         96
        .size:           8
        .value_kind:     by_value
      - .offset:         104
        .size:           8
        .value_kind:     by_value
      - .address_space:  global
        .offset:         112
        .size:           8
        .value_kind:     global_buffer
      - .offset:         120
        .size:           8
        .value_kind:     by_value
      - .offset:         128
        .size:           8
        .value_kind:     by_value
      - .offset:         136
        .size:           4
        .value_kind:     by_value
    .group_segment_fixed_size: 2048
    .kernarg_segment_align: 8
    .kernarg_segment_size: 140
    .language:       OpenCL C
    .language_version:
      - 2
      - 0
    .max_flat_workgroup_size: 256
    .name:           _ZN12_GLOBAL__N_127rocblas_gemm_batched_kernelIfLi16ELi16ELi64ELi64ELi4ELi64ELi4ELi4ELi64ELc84ELc84EKPKfS3_KPfEEvlllT_PT11_llS8_llS6_PT12_llPT13_lli
    .private_segment_fixed_size: 0
    .sgpr_count:     38
    .sgpr_spill_count: 0
    .symbol:         _ZN12_GLOBAL__N_127rocblas_gemm_batched_kernelIfLi16ELi16ELi64ELi64ELi4ELi64ELi4ELi4ELi64ELc84ELc84EKPKfS3_KPfEEvlllT_PT11_llS8_llS6_PT12_llPT13_lli.kd
    .uniform_work_group_size: 1
    .uses_dynamic_stack: false
    .vgpr_count:     58
    .vgpr_spill_count: 0
    .wavefront_size: 32
    .workgroup_processor_mode: 1
  - .args:
      - .offset:         0
        .size:           8
        .value_kind:     by_value
      - .offset:         8
        .size:           8
        .value_kind:     by_value
      - .offset:         16
        .size:           8
        .value_kind:     by_value
      - .offset:         24
        .size:           4
        .value_kind:     by_value
      - .address_space:  global
        .offset:         32
        .size:           8
        .value_kind:     global_buffer
      - .offset:         40
        .size:           8
        .value_kind:     by_value
      - .offset:         48
        .size:           8
        .value_kind:     by_value
      - .address_space:  global
        .offset:         56
        .size:           8
        .value_kind:     global_buffer
      - .offset:         64
        .size:           8
        .value_kind:     by_value
      - .offset:         72
        .size:           8
        .value_kind:     by_value
      - .offset:         80
        .size:           4
        .value_kind:     by_value
      - .address_space:  global
        .offset:         88
        .size:           8
        .value_kind:     global_buffer
      - .offset:         96
        .size:           8
        .value_kind:     by_value
      - .offset:         104
        .size:           8
        .value_kind:     by_value
      - .address_space:  global
        .offset:         112
        .size:           8
        .value_kind:     global_buffer
      - .offset:         120
        .size:           8
        .value_kind:     by_value
      - .offset:         128
        .size:           8
        .value_kind:     by_value
      - .offset:         136
        .size:           4
        .value_kind:     by_value
    .group_segment_fixed_size: 2048
    .kernarg_segment_align: 8
    .kernarg_segment_size: 140
    .language:       OpenCL C
    .language_version:
      - 2
      - 0
    .max_flat_workgroup_size: 256
    .name:           _ZN12_GLOBAL__N_127rocblas_gemm_batched_kernelIfLi16ELi16ELi64ELi64ELi4ELi64ELi4ELi4ELi64ELc67ELc67EKPKfS3_KPfEEvlllT_PT11_llS8_llS6_PT12_llPT13_lli
    .private_segment_fixed_size: 0
    .sgpr_count:     38
    .sgpr_spill_count: 0
    .symbol:         _ZN12_GLOBAL__N_127rocblas_gemm_batched_kernelIfLi16ELi16ELi64ELi64ELi4ELi64ELi4ELi4ELi64ELc67ELc67EKPKfS3_KPfEEvlllT_PT11_llS8_llS6_PT12_llPT13_lli.kd
    .uniform_work_group_size: 1
    .uses_dynamic_stack: false
    .vgpr_count:     58
    .vgpr_spill_count: 0
    .wavefront_size: 32
    .workgroup_processor_mode: 1
  - .args:
      - .offset:         0
        .size:           8
        .value_kind:     by_value
      - .offset:         8
        .size:           8
        .value_kind:     by_value
      - .offset:         16
        .size:           8
        .value_kind:     by_value
      - .offset:         24
        .size:           4
        .value_kind:     by_value
      - .address_space:  global
        .offset:         32
        .size:           8
        .value_kind:     global_buffer
      - .offset:         40
        .size:           8
        .value_kind:     by_value
      - .offset:         48
        .size:           8
        .value_kind:     by_value
      - .address_space:  global
        .offset:         56
        .size:           8
        .value_kind:     global_buffer
      - .offset:         64
        .size:           8
        .value_kind:     by_value
      - .offset:         72
        .size:           8
        .value_kind:     by_value
      - .offset:         80
        .size:           4
        .value_kind:     by_value
      - .address_space:  global
        .offset:         88
        .size:           8
        .value_kind:     global_buffer
      - .offset:         96
        .size:           8
        .value_kind:     by_value
      - .offset:         104
        .size:           8
        .value_kind:     by_value
      - .address_space:  global
        .offset:         112
        .size:           8
        .value_kind:     global_buffer
      - .offset:         120
        .size:           8
        .value_kind:     by_value
      - .offset:         128
        .size:           8
        .value_kind:     by_value
      - .offset:         136
        .size:           4
        .value_kind:     by_value
    .group_segment_fixed_size: 2048
    .kernarg_segment_align: 8
    .kernarg_segment_size: 140
    .language:       OpenCL C
    .language_version:
      - 2
      - 0
    .max_flat_workgroup_size: 256
    .name:           _ZN12_GLOBAL__N_127rocblas_gemm_batched_kernelIfLi16ELi16ELi64ELi64ELi4ELi64ELi4ELi4ELi64ELc67ELc78EKPKfS3_KPfEEvlllT_PT11_llS8_llS6_PT12_llPT13_lli
    .private_segment_fixed_size: 0
    .sgpr_count:     38
    .sgpr_spill_count: 0
    .symbol:         _ZN12_GLOBAL__N_127rocblas_gemm_batched_kernelIfLi16ELi16ELi64ELi64ELi4ELi64ELi4ELi4ELi64ELc67ELc78EKPKfS3_KPfEEvlllT_PT11_llS8_llS6_PT12_llPT13_lli.kd
    .uniform_work_group_size: 1
    .uses_dynamic_stack: false
    .vgpr_count:     58
    .vgpr_spill_count: 0
    .wavefront_size: 32
    .workgroup_processor_mode: 1
  - .args:
      - .offset:         0
        .size:           8
        .value_kind:     by_value
      - .offset:         8
        .size:           8
        .value_kind:     by_value
      - .offset:         16
        .size:           8
        .value_kind:     by_value
      - .offset:         24
        .size:           4
        .value_kind:     by_value
      - .address_space:  global
        .offset:         32
        .size:           8
        .value_kind:     global_buffer
      - .offset:         40
        .size:           8
        .value_kind:     by_value
      - .offset:         48
        .size:           8
        .value_kind:     by_value
      - .address_space:  global
        .offset:         56
        .size:           8
        .value_kind:     global_buffer
      - .offset:         64
        .size:           8
        .value_kind:     by_value
      - .offset:         72
        .size:           8
        .value_kind:     by_value
      - .offset:         80
        .size:           4
        .value_kind:     by_value
      - .address_space:  global
        .offset:         88
        .size:           8
        .value_kind:     global_buffer
      - .offset:         96
        .size:           8
        .value_kind:     by_value
      - .offset:         104
        .size:           8
        .value_kind:     by_value
      - .address_space:  global
        .offset:         112
        .size:           8
        .value_kind:     global_buffer
      - .offset:         120
        .size:           8
        .value_kind:     by_value
      - .offset:         128
        .size:           8
        .value_kind:     by_value
      - .offset:         136
        .size:           4
        .value_kind:     by_value
    .group_segment_fixed_size: 2048
    .kernarg_segment_align: 8
    .kernarg_segment_size: 140
    .language:       OpenCL C
    .language_version:
      - 2
      - 0
    .max_flat_workgroup_size: 256
    .name:           _ZN12_GLOBAL__N_127rocblas_gemm_batched_kernelIfLi16ELi16ELi64ELi64ELi4ELi64ELi4ELi4ELi64ELc67ELc84EKPKfS3_KPfEEvlllT_PT11_llS8_llS6_PT12_llPT13_lli
    .private_segment_fixed_size: 0
    .sgpr_count:     38
    .sgpr_spill_count: 0
    .symbol:         _ZN12_GLOBAL__N_127rocblas_gemm_batched_kernelIfLi16ELi16ELi64ELi64ELi4ELi64ELi4ELi4ELi64ELc67ELc84EKPKfS3_KPfEEvlllT_PT11_llS8_llS6_PT12_llPT13_lli.kd
    .uniform_work_group_size: 1
    .uses_dynamic_stack: false
    .vgpr_count:     58
    .vgpr_spill_count: 0
    .wavefront_size: 32
    .workgroup_processor_mode: 1
  - .args:
      - .offset:         0
        .size:           8
        .value_kind:     by_value
      - .offset:         8
        .size:           8
        .value_kind:     by_value
      - .offset:         16
        .size:           8
        .value_kind:     by_value
      - .offset:         24
        .size:           4
        .value_kind:     by_value
      - .address_space:  global
        .offset:         32
        .size:           8
        .value_kind:     global_buffer
      - .offset:         40
        .size:           8
        .value_kind:     by_value
      - .offset:         48
        .size:           8
        .value_kind:     by_value
      - .address_space:  global
        .offset:         56
        .size:           8
        .value_kind:     global_buffer
      - .offset:         64
        .size:           8
        .value_kind:     by_value
      - .offset:         72
        .size:           8
        .value_kind:     by_value
      - .offset:         80
        .size:           4
        .value_kind:     by_value
      - .address_space:  global
        .offset:         88
        .size:           8
        .value_kind:     global_buffer
      - .offset:         96
        .size:           8
        .value_kind:     by_value
      - .offset:         104
        .size:           8
        .value_kind:     by_value
      - .address_space:  global
        .offset:         112
        .size:           8
        .value_kind:     global_buffer
      - .offset:         120
        .size:           8
        .value_kind:     by_value
      - .offset:         128
        .size:           8
        .value_kind:     by_value
      - .offset:         136
        .size:           4
        .value_kind:     by_value
    .group_segment_fixed_size: 2048
    .kernarg_segment_align: 8
    .kernarg_segment_size: 140
    .language:       OpenCL C
    .language_version:
      - 2
      - 0
    .max_flat_workgroup_size: 256
    .name:           _ZN12_GLOBAL__N_127rocblas_gemm_batched_kernelIfLi16ELi16ELi64ELi64ELi4ELi64ELi4ELi4ELi64ELc78ELc67EKPKfS3_KPfEEvlllT_PT11_llS8_llS6_PT12_llPT13_lli
    .private_segment_fixed_size: 0
    .sgpr_count:     38
    .sgpr_spill_count: 0
    .symbol:         _ZN12_GLOBAL__N_127rocblas_gemm_batched_kernelIfLi16ELi16ELi64ELi64ELi4ELi64ELi4ELi4ELi64ELc78ELc67EKPKfS3_KPfEEvlllT_PT11_llS8_llS6_PT12_llPT13_lli.kd
    .uniform_work_group_size: 1
    .uses_dynamic_stack: false
    .vgpr_count:     58
    .vgpr_spill_count: 0
    .wavefront_size: 32
    .workgroup_processor_mode: 1
  - .args:
      - .offset:         0
        .size:           8
        .value_kind:     by_value
      - .offset:         8
        .size:           8
        .value_kind:     by_value
      - .offset:         16
        .size:           8
        .value_kind:     by_value
      - .offset:         24
        .size:           4
        .value_kind:     by_value
      - .address_space:  global
        .offset:         32
        .size:           8
        .value_kind:     global_buffer
      - .offset:         40
        .size:           8
        .value_kind:     by_value
      - .offset:         48
        .size:           8
        .value_kind:     by_value
      - .address_space:  global
        .offset:         56
        .size:           8
        .value_kind:     global_buffer
      - .offset:         64
        .size:           8
        .value_kind:     by_value
      - .offset:         72
        .size:           8
        .value_kind:     by_value
      - .offset:         80
        .size:           4
        .value_kind:     by_value
      - .address_space:  global
        .offset:         88
        .size:           8
        .value_kind:     global_buffer
      - .offset:         96
        .size:           8
        .value_kind:     by_value
      - .offset:         104
        .size:           8
        .value_kind:     by_value
      - .address_space:  global
        .offset:         112
        .size:           8
        .value_kind:     global_buffer
      - .offset:         120
        .size:           8
        .value_kind:     by_value
      - .offset:         128
        .size:           8
        .value_kind:     by_value
      - .offset:         136
        .size:           4
        .value_kind:     by_value
    .group_segment_fixed_size: 2048
    .kernarg_segment_align: 8
    .kernarg_segment_size: 140
    .language:       OpenCL C
    .language_version:
      - 2
      - 0
    .max_flat_workgroup_size: 256
    .name:           _ZN12_GLOBAL__N_127rocblas_gemm_batched_kernelIfLi16ELi16ELi64ELi64ELi4ELi64ELi4ELi4ELi64ELc84ELc67EKPKfS3_KPfEEvlllT_PT11_llS8_llS6_PT12_llPT13_lli
    .private_segment_fixed_size: 0
    .sgpr_count:     38
    .sgpr_spill_count: 0
    .symbol:         _ZN12_GLOBAL__N_127rocblas_gemm_batched_kernelIfLi16ELi16ELi64ELi64ELi4ELi64ELi4ELi4ELi64ELc84ELc67EKPKfS3_KPfEEvlllT_PT11_llS8_llS6_PT12_llPT13_lli.kd
    .uniform_work_group_size: 1
    .uses_dynamic_stack: false
    .vgpr_count:     58
    .vgpr_spill_count: 0
    .wavefront_size: 32
    .workgroup_processor_mode: 1
  - .args:
      - .offset:         0
        .size:           8
        .value_kind:     by_value
      - .offset:         8
        .size:           8
        .value_kind:     by_value
      - .offset:         16
        .size:           8
        .value_kind:     by_value
      - .offset:         24
        .size:           4
        .value_kind:     by_value
      - .address_space:  global
        .offset:         32
        .size:           8
        .value_kind:     global_buffer
      - .offset:         40
        .size:           8
        .value_kind:     by_value
      - .offset:         48
        .size:           8
        .value_kind:     by_value
      - .address_space:  global
        .offset:         56
        .size:           8
        .value_kind:     global_buffer
      - .offset:         64
        .size:           8
        .value_kind:     by_value
      - .offset:         72
        .size:           8
        .value_kind:     by_value
      - .offset:         80
        .size:           4
        .value_kind:     by_value
      - .address_space:  global
        .offset:         88
        .size:           8
        .value_kind:     global_buffer
      - .offset:         96
        .size:           8
        .value_kind:     by_value
      - .offset:         104
        .size:           8
        .value_kind:     by_value
      - .address_space:  global
        .offset:         112
        .size:           8
        .value_kind:     global_buffer
      - .offset:         120
        .size:           8
        .value_kind:     by_value
      - .offset:         128
        .size:           8
        .value_kind:     by_value
      - .offset:         136
        .size:           4
        .value_kind:     by_value
    .group_segment_fixed_size: 2048
    .kernarg_segment_align: 8
    .kernarg_segment_size: 140
    .language:       OpenCL C
    .language_version:
      - 2
      - 0
    .max_flat_workgroup_size: 256
    .name:           _ZN12_GLOBAL__N_127rocblas_gemm_batched_kernelIfLi16ELi16ELi32ELi32ELi8ELi32ELi8ELi8ELi32ELc78ELc78EKPKfS3_KPfEEvlllT_PT11_llS8_llS6_PT12_llPT13_lli
    .private_segment_fixed_size: 0
    .sgpr_count:     38
    .sgpr_spill_count: 0
    .symbol:         _ZN12_GLOBAL__N_127rocblas_gemm_batched_kernelIfLi16ELi16ELi32ELi32ELi8ELi32ELi8ELi8ELi32ELc78ELc78EKPKfS3_KPfEEvlllT_PT11_llS8_llS6_PT12_llPT13_lli.kd
    .uniform_work_group_size: 1
    .uses_dynamic_stack: false
    .vgpr_count:     46
    .vgpr_spill_count: 0
    .wavefront_size: 32
    .workgroup_processor_mode: 1
  - .args:
      - .offset:         0
        .size:           8
        .value_kind:     by_value
      - .offset:         8
        .size:           8
        .value_kind:     by_value
      - .offset:         16
        .size:           8
        .value_kind:     by_value
      - .offset:         24
        .size:           4
        .value_kind:     by_value
      - .address_space:  global
        .offset:         32
        .size:           8
        .value_kind:     global_buffer
      - .offset:         40
        .size:           8
        .value_kind:     by_value
      - .offset:         48
        .size:           8
        .value_kind:     by_value
      - .address_space:  global
        .offset:         56
        .size:           8
        .value_kind:     global_buffer
      - .offset:         64
        .size:           8
        .value_kind:     by_value
      - .offset:         72
        .size:           8
        .value_kind:     by_value
      - .offset:         80
        .size:           4
        .value_kind:     by_value
      - .address_space:  global
        .offset:         88
        .size:           8
        .value_kind:     global_buffer
      - .offset:         96
        .size:           8
        .value_kind:     by_value
      - .offset:         104
        .size:           8
        .value_kind:     by_value
      - .address_space:  global
        .offset:         112
        .size:           8
        .value_kind:     global_buffer
      - .offset:         120
        .size:           8
        .value_kind:     by_value
      - .offset:         128
        .size:           8
        .value_kind:     by_value
      - .offset:         136
        .size:           4
        .value_kind:     by_value
    .group_segment_fixed_size: 2048
    .kernarg_segment_align: 8
    .kernarg_segment_size: 140
    .language:       OpenCL C
    .language_version:
      - 2
      - 0
    .max_flat_workgroup_size: 256
    .name:           _ZN12_GLOBAL__N_127rocblas_gemm_batched_kernelIfLi16ELi16ELi32ELi32ELi8ELi32ELi8ELi8ELi32ELc84ELc78EKPKfS3_KPfEEvlllT_PT11_llS8_llS6_PT12_llPT13_lli
    .private_segment_fixed_size: 0
    .sgpr_count:     38
    .sgpr_spill_count: 0
    .symbol:         _ZN12_GLOBAL__N_127rocblas_gemm_batched_kernelIfLi16ELi16ELi32ELi32ELi8ELi32ELi8ELi8ELi32ELc84ELc78EKPKfS3_KPfEEvlllT_PT11_llS8_llS6_PT12_llPT13_lli.kd
    .uniform_work_group_size: 1
    .uses_dynamic_stack: false
    .vgpr_count:     46
    .vgpr_spill_count: 0
    .wavefront_size: 32
    .workgroup_processor_mode: 1
  - .args:
      - .offset:         0
        .size:           8
        .value_kind:     by_value
      - .offset:         8
        .size:           8
        .value_kind:     by_value
      - .offset:         16
        .size:           8
        .value_kind:     by_value
      - .offset:         24
        .size:           4
        .value_kind:     by_value
      - .address_space:  global
        .offset:         32
        .size:           8
        .value_kind:     global_buffer
      - .offset:         40
        .size:           8
        .value_kind:     by_value
      - .offset:         48
        .size:           8
        .value_kind:     by_value
      - .address_space:  global
        .offset:         56
        .size:           8
        .value_kind:     global_buffer
      - .offset:         64
        .size:           8
        .value_kind:     by_value
      - .offset:         72
        .size:           8
        .value_kind:     by_value
      - .offset:         80
        .size:           4
        .value_kind:     by_value
      - .address_space:  global
        .offset:         88
        .size:           8
        .value_kind:     global_buffer
      - .offset:         96
        .size:           8
        .value_kind:     by_value
      - .offset:         104
        .size:           8
        .value_kind:     by_value
      - .address_space:  global
        .offset:         112
        .size:           8
        .value_kind:     global_buffer
      - .offset:         120
        .size:           8
        .value_kind:     by_value
      - .offset:         128
        .size:           8
        .value_kind:     by_value
      - .offset:         136
        .size:           4
        .value_kind:     by_value
    .group_segment_fixed_size: 2048
    .kernarg_segment_align: 8
    .kernarg_segment_size: 140
    .language:       OpenCL C
    .language_version:
      - 2
      - 0
    .max_flat_workgroup_size: 256
    .name:           _ZN12_GLOBAL__N_127rocblas_gemm_batched_kernelIfLi16ELi16ELi32ELi32ELi8ELi32ELi8ELi8ELi32ELc78ELc84EKPKfS3_KPfEEvlllT_PT11_llS8_llS6_PT12_llPT13_lli
    .private_segment_fixed_size: 0
    .sgpr_count:     38
    .sgpr_spill_count: 0
    .symbol:         _ZN12_GLOBAL__N_127rocblas_gemm_batched_kernelIfLi16ELi16ELi32ELi32ELi8ELi32ELi8ELi8ELi32ELc78ELc84EKPKfS3_KPfEEvlllT_PT11_llS8_llS6_PT12_llPT13_lli.kd
    .uniform_work_group_size: 1
    .uses_dynamic_stack: false
    .vgpr_count:     46
    .vgpr_spill_count: 0
    .wavefront_size: 32
    .workgroup_processor_mode: 1
  - .args:
      - .offset:         0
        .size:           8
        .value_kind:     by_value
      - .offset:         8
        .size:           8
        .value_kind:     by_value
      - .offset:         16
        .size:           8
        .value_kind:     by_value
      - .offset:         24
        .size:           4
        .value_kind:     by_value
      - .address_space:  global
        .offset:         32
        .size:           8
        .value_kind:     global_buffer
      - .offset:         40
        .size:           8
        .value_kind:     by_value
      - .offset:         48
        .size:           8
        .value_kind:     by_value
      - .address_space:  global
        .offset:         56
        .size:           8
        .value_kind:     global_buffer
      - .offset:         64
        .size:           8
        .value_kind:     by_value
      - .offset:         72
        .size:           8
        .value_kind:     by_value
      - .offset:         80
        .size:           4
        .value_kind:     by_value
      - .address_space:  global
        .offset:         88
        .size:           8
        .value_kind:     global_buffer
      - .offset:         96
        .size:           8
        .value_kind:     by_value
      - .offset:         104
        .size:           8
        .value_kind:     by_value
      - .address_space:  global
        .offset:         112
        .size:           8
        .value_kind:     global_buffer
      - .offset:         120
        .size:           8
        .value_kind:     by_value
      - .offset:         128
        .size:           8
        .value_kind:     by_value
      - .offset:         136
        .size:           4
        .value_kind:     by_value
    .group_segment_fixed_size: 2048
    .kernarg_segment_align: 8
    .kernarg_segment_size: 140
    .language:       OpenCL C
    .language_version:
      - 2
      - 0
    .max_flat_workgroup_size: 256
    .name:           _ZN12_GLOBAL__N_127rocblas_gemm_batched_kernelIfLi16ELi16ELi32ELi32ELi8ELi32ELi8ELi8ELi32ELc84ELc84EKPKfS3_KPfEEvlllT_PT11_llS8_llS6_PT12_llPT13_lli
    .private_segment_fixed_size: 0
    .sgpr_count:     38
    .sgpr_spill_count: 0
    .symbol:         _ZN12_GLOBAL__N_127rocblas_gemm_batched_kernelIfLi16ELi16ELi32ELi32ELi8ELi32ELi8ELi8ELi32ELc84ELc84EKPKfS3_KPfEEvlllT_PT11_llS8_llS6_PT12_llPT13_lli.kd
    .uniform_work_group_size: 1
    .uses_dynamic_stack: false
    .vgpr_count:     46
    .vgpr_spill_count: 0
    .wavefront_size: 32
    .workgroup_processor_mode: 1
  - .args:
      - .offset:         0
        .size:           8
        .value_kind:     by_value
      - .offset:         8
        .size:           8
        .value_kind:     by_value
      - .offset:         16
        .size:           8
        .value_kind:     by_value
      - .offset:         24
        .size:           4
        .value_kind:     by_value
      - .address_space:  global
        .offset:         32
        .size:           8
        .value_kind:     global_buffer
      - .offset:         40
        .size:           8
        .value_kind:     by_value
      - .offset:         48
        .size:           8
        .value_kind:     by_value
      - .address_space:  global
        .offset:         56
        .size:           8
        .value_kind:     global_buffer
      - .offset:         64
        .size:           8
        .value_kind:     by_value
      - .offset:         72
        .size:           8
        .value_kind:     by_value
      - .offset:         80
        .size:           4
        .value_kind:     by_value
      - .address_space:  global
        .offset:         88
        .size:           8
        .value_kind:     global_buffer
      - .offset:         96
        .size:           8
        .value_kind:     by_value
      - .offset:         104
        .size:           8
        .value_kind:     by_value
      - .address_space:  global
        .offset:         112
        .size:           8
        .value_kind:     global_buffer
      - .offset:         120
        .size:           8
        .value_kind:     by_value
      - .offset:         128
        .size:           8
        .value_kind:     by_value
      - .offset:         136
        .size:           4
        .value_kind:     by_value
    .group_segment_fixed_size: 2048
    .kernarg_segment_align: 8
    .kernarg_segment_size: 140
    .language:       OpenCL C
    .language_version:
      - 2
      - 0
    .max_flat_workgroup_size: 256
    .name:           _ZN12_GLOBAL__N_127rocblas_gemm_batched_kernelIfLi16ELi16ELi32ELi32ELi8ELi32ELi8ELi8ELi32ELc67ELc67EKPKfS3_KPfEEvlllT_PT11_llS8_llS6_PT12_llPT13_lli
    .private_segment_fixed_size: 0
    .sgpr_count:     38
    .sgpr_spill_count: 0
    .symbol:         _ZN12_GLOBAL__N_127rocblas_gemm_batched_kernelIfLi16ELi16ELi32ELi32ELi8ELi32ELi8ELi8ELi32ELc67ELc67EKPKfS3_KPfEEvlllT_PT11_llS8_llS6_PT12_llPT13_lli.kd
    .uniform_work_group_size: 1
    .uses_dynamic_stack: false
    .vgpr_count:     46
    .vgpr_spill_count: 0
    .wavefront_size: 32
    .workgroup_processor_mode: 1
  - .args:
      - .offset:         0
        .size:           8
        .value_kind:     by_value
      - .offset:         8
        .size:           8
        .value_kind:     by_value
      - .offset:         16
        .size:           8
        .value_kind:     by_value
      - .offset:         24
        .size:           4
        .value_kind:     by_value
      - .address_space:  global
        .offset:         32
        .size:           8
        .value_kind:     global_buffer
      - .offset:         40
        .size:           8
        .value_kind:     by_value
      - .offset:         48
        .size:           8
        .value_kind:     by_value
      - .address_space:  global
        .offset:         56
        .size:           8
        .value_kind:     global_buffer
      - .offset:         64
        .size:           8
        .value_kind:     by_value
      - .offset:         72
        .size:           8
        .value_kind:     by_value
      - .offset:         80
        .size:           4
        .value_kind:     by_value
      - .address_space:  global
        .offset:         88
        .size:           8
        .value_kind:     global_buffer
      - .offset:         96
        .size:           8
        .value_kind:     by_value
      - .offset:         104
        .size:           8
        .value_kind:     by_value
      - .address_space:  global
        .offset:         112
        .size:           8
        .value_kind:     global_buffer
      - .offset:         120
        .size:           8
        .value_kind:     by_value
      - .offset:         128
        .size:           8
        .value_kind:     by_value
      - .offset:         136
        .size:           4
        .value_kind:     by_value
    .group_segment_fixed_size: 2048
    .kernarg_segment_align: 8
    .kernarg_segment_size: 140
    .language:       OpenCL C
    .language_version:
      - 2
      - 0
    .max_flat_workgroup_size: 256
    .name:           _ZN12_GLOBAL__N_127rocblas_gemm_batched_kernelIfLi16ELi16ELi32ELi32ELi8ELi32ELi8ELi8ELi32ELc67ELc78EKPKfS3_KPfEEvlllT_PT11_llS8_llS6_PT12_llPT13_lli
    .private_segment_fixed_size: 0
    .sgpr_count:     38
    .sgpr_spill_count: 0
    .symbol:         _ZN12_GLOBAL__N_127rocblas_gemm_batched_kernelIfLi16ELi16ELi32ELi32ELi8ELi32ELi8ELi8ELi32ELc67ELc78EKPKfS3_KPfEEvlllT_PT11_llS8_llS6_PT12_llPT13_lli.kd
    .uniform_work_group_size: 1
    .uses_dynamic_stack: false
    .vgpr_count:     46
    .vgpr_spill_count: 0
    .wavefront_size: 32
    .workgroup_processor_mode: 1
  - .args:
      - .offset:         0
        .size:           8
        .value_kind:     by_value
      - .offset:         8
        .size:           8
        .value_kind:     by_value
      - .offset:         16
        .size:           8
        .value_kind:     by_value
      - .offset:         24
        .size:           4
        .value_kind:     by_value
      - .address_space:  global
        .offset:         32
        .size:           8
        .value_kind:     global_buffer
      - .offset:         40
        .size:           8
        .value_kind:     by_value
      - .offset:         48
        .size:           8
        .value_kind:     by_value
      - .address_space:  global
        .offset:         56
        .size:           8
        .value_kind:     global_buffer
      - .offset:         64
        .size:           8
        .value_kind:     by_value
      - .offset:         72
        .size:           8
        .value_kind:     by_value
      - .offset:         80
        .size:           4
        .value_kind:     by_value
      - .address_space:  global
        .offset:         88
        .size:           8
        .value_kind:     global_buffer
      - .offset:         96
        .size:           8
        .value_kind:     by_value
      - .offset:         104
        .size:           8
        .value_kind:     by_value
      - .address_space:  global
        .offset:         112
        .size:           8
        .value_kind:     global_buffer
      - .offset:         120
        .size:           8
        .value_kind:     by_value
      - .offset:         128
        .size:           8
        .value_kind:     by_value
      - .offset:         136
        .size:           4
        .value_kind:     by_value
    .group_segment_fixed_size: 2048
    .kernarg_segment_align: 8
    .kernarg_segment_size: 140
    .language:       OpenCL C
    .language_version:
      - 2
      - 0
    .max_flat_workgroup_size: 256
    .name:           _ZN12_GLOBAL__N_127rocblas_gemm_batched_kernelIfLi16ELi16ELi32ELi32ELi8ELi32ELi8ELi8ELi32ELc67ELc84EKPKfS3_KPfEEvlllT_PT11_llS8_llS6_PT12_llPT13_lli
    .private_segment_fixed_size: 0
    .sgpr_count:     38
    .sgpr_spill_count: 0
    .symbol:         _ZN12_GLOBAL__N_127rocblas_gemm_batched_kernelIfLi16ELi16ELi32ELi32ELi8ELi32ELi8ELi8ELi32ELc67ELc84EKPKfS3_KPfEEvlllT_PT11_llS8_llS6_PT12_llPT13_lli.kd
    .uniform_work_group_size: 1
    .uses_dynamic_stack: false
    .vgpr_count:     46
    .vgpr_spill_count: 0
    .wavefront_size: 32
    .workgroup_processor_mode: 1
  - .args:
      - .offset:         0
        .size:           8
        .value_kind:     by_value
      - .offset:         8
        .size:           8
        .value_kind:     by_value
      - .offset:         16
        .size:           8
        .value_kind:     by_value
      - .offset:         24
        .size:           4
        .value_kind:     by_value
      - .address_space:  global
        .offset:         32
        .size:           8
        .value_kind:     global_buffer
      - .offset:         40
        .size:           8
        .value_kind:     by_value
      - .offset:         48
        .size:           8
        .value_kind:     by_value
      - .address_space:  global
        .offset:         56
        .size:           8
        .value_kind:     global_buffer
      - .offset:         64
        .size:           8
        .value_kind:     by_value
      - .offset:         72
        .size:           8
        .value_kind:     by_value
      - .offset:         80
        .size:           4
        .value_kind:     by_value
      - .address_space:  global
        .offset:         88
        .size:           8
        .value_kind:     global_buffer
      - .offset:         96
        .size:           8
        .value_kind:     by_value
      - .offset:         104
        .size:           8
        .value_kind:     by_value
      - .address_space:  global
        .offset:         112
        .size:           8
        .value_kind:     global_buffer
      - .offset:         120
        .size:           8
        .value_kind:     by_value
      - .offset:         128
        .size:           8
        .value_kind:     by_value
      - .offset:         136
        .size:           4
        .value_kind:     by_value
    .group_segment_fixed_size: 2048
    .kernarg_segment_align: 8
    .kernarg_segment_size: 140
    .language:       OpenCL C
    .language_version:
      - 2
      - 0
    .max_flat_workgroup_size: 256
    .name:           _ZN12_GLOBAL__N_127rocblas_gemm_batched_kernelIfLi16ELi16ELi32ELi32ELi8ELi32ELi8ELi8ELi32ELc78ELc67EKPKfS3_KPfEEvlllT_PT11_llS8_llS6_PT12_llPT13_lli
    .private_segment_fixed_size: 0
    .sgpr_count:     38
    .sgpr_spill_count: 0
    .symbol:         _ZN12_GLOBAL__N_127rocblas_gemm_batched_kernelIfLi16ELi16ELi32ELi32ELi8ELi32ELi8ELi8ELi32ELc78ELc67EKPKfS3_KPfEEvlllT_PT11_llS8_llS6_PT12_llPT13_lli.kd
    .uniform_work_group_size: 1
    .uses_dynamic_stack: false
    .vgpr_count:     46
    .vgpr_spill_count: 0
    .wavefront_size: 32
    .workgroup_processor_mode: 1
  - .args:
      - .offset:         0
        .size:           8
        .value_kind:     by_value
      - .offset:         8
        .size:           8
        .value_kind:     by_value
      - .offset:         16
        .size:           8
        .value_kind:     by_value
      - .offset:         24
        .size:           4
        .value_kind:     by_value
      - .address_space:  global
        .offset:         32
        .size:           8
        .value_kind:     global_buffer
      - .offset:         40
        .size:           8
        .value_kind:     by_value
      - .offset:         48
        .size:           8
        .value_kind:     by_value
      - .address_space:  global
        .offset:         56
        .size:           8
        .value_kind:     global_buffer
      - .offset:         64
        .size:           8
        .value_kind:     by_value
      - .offset:         72
        .size:           8
        .value_kind:     by_value
      - .offset:         80
        .size:           4
        .value_kind:     by_value
      - .address_space:  global
        .offset:         88
        .size:           8
        .value_kind:     global_buffer
      - .offset:         96
        .size:           8
        .value_kind:     by_value
      - .offset:         104
        .size:           8
        .value_kind:     by_value
      - .address_space:  global
        .offset:         112
        .size:           8
        .value_kind:     global_buffer
      - .offset:         120
        .size:           8
        .value_kind:     by_value
      - .offset:         128
        .size:           8
        .value_kind:     by_value
      - .offset:         136
        .size:           4
        .value_kind:     by_value
    .group_segment_fixed_size: 2048
    .kernarg_segment_align: 8
    .kernarg_segment_size: 140
    .language:       OpenCL C
    .language_version:
      - 2
      - 0
    .max_flat_workgroup_size: 256
    .name:           _ZN12_GLOBAL__N_127rocblas_gemm_batched_kernelIfLi16ELi16ELi32ELi32ELi8ELi32ELi8ELi8ELi32ELc84ELc67EKPKfS3_KPfEEvlllT_PT11_llS8_llS6_PT12_llPT13_lli
    .private_segment_fixed_size: 0
    .sgpr_count:     38
    .sgpr_spill_count: 0
    .symbol:         _ZN12_GLOBAL__N_127rocblas_gemm_batched_kernelIfLi16ELi16ELi32ELi32ELi8ELi32ELi8ELi8ELi32ELc84ELc67EKPKfS3_KPfEEvlllT_PT11_llS8_llS6_PT12_llPT13_lli.kd
    .uniform_work_group_size: 1
    .uses_dynamic_stack: false
    .vgpr_count:     46
    .vgpr_spill_count: 0
    .wavefront_size: 32
    .workgroup_processor_mode: 1
  - .args:
      - .offset:         0
        .size:           8
        .value_kind:     by_value
      - .offset:         8
        .size:           8
        .value_kind:     by_value
      - .offset:         16
        .size:           8
        .value_kind:     by_value
      - .offset:         24
        .size:           4
        .value_kind:     by_value
      - .address_space:  global
        .offset:         32
        .size:           8
        .value_kind:     global_buffer
      - .offset:         40
        .size:           8
        .value_kind:     by_value
      - .offset:         48
        .size:           8
        .value_kind:     by_value
      - .address_space:  global
        .offset:         56
        .size:           8
        .value_kind:     global_buffer
      - .offset:         64
        .size:           8
        .value_kind:     by_value
      - .offset:         72
        .size:           8
        .value_kind:     by_value
      - .offset:         80
        .size:           4
        .value_kind:     by_value
      - .address_space:  global
        .offset:         88
        .size:           8
        .value_kind:     global_buffer
      - .offset:         96
        .size:           8
        .value_kind:     by_value
      - .offset:         104
        .size:           8
        .value_kind:     by_value
      - .address_space:  global
        .offset:         112
        .size:           8
        .value_kind:     global_buffer
      - .offset:         120
        .size:           8
        .value_kind:     by_value
      - .offset:         128
        .size:           8
        .value_kind:     by_value
      - .offset:         136
        .size:           4
        .value_kind:     by_value
    .group_segment_fixed_size: 2048
    .kernarg_segment_align: 8
    .kernarg_segment_size: 140
    .language:       OpenCL C
    .language_version:
      - 2
      - 0
    .max_flat_workgroup_size: 256
    .name:           _ZN12_GLOBAL__N_135rocblas_gemm_batched_general_kernelIfLi16ELi16ELi32ELi32ELi8ELi32ELi8ELi8ELi32ELc78ELc78EKPKfS3_KPfEEvlllT_PT11_llS8_llS6_PT12_llPT13_lli
    .private_segment_fixed_size: 0
    .sgpr_count:     46
    .sgpr_spill_count: 0
    .symbol:         _ZN12_GLOBAL__N_135rocblas_gemm_batched_general_kernelIfLi16ELi16ELi32ELi32ELi8ELi32ELi8ELi8ELi32ELc78ELc78EKPKfS3_KPfEEvlllT_PT11_llS8_llS6_PT12_llPT13_lli.kd
    .uniform_work_group_size: 1
    .uses_dynamic_stack: false
    .vgpr_count:     44
    .vgpr_spill_count: 0
    .wavefront_size: 32
    .workgroup_processor_mode: 1
  - .args:
      - .offset:         0
        .size:           8
        .value_kind:     by_value
      - .offset:         8
        .size:           8
        .value_kind:     by_value
      - .offset:         16
        .size:           8
        .value_kind:     by_value
      - .offset:         24
        .size:           4
        .value_kind:     by_value
      - .address_space:  global
        .offset:         32
        .size:           8
        .value_kind:     global_buffer
      - .offset:         40
        .size:           8
        .value_kind:     by_value
      - .offset:         48
        .size:           8
        .value_kind:     by_value
      - .address_space:  global
        .offset:         56
        .size:           8
        .value_kind:     global_buffer
      - .offset:         64
        .size:           8
        .value_kind:     by_value
      - .offset:         72
        .size:           8
        .value_kind:     by_value
      - .offset:         80
        .size:           4
        .value_kind:     by_value
      - .address_space:  global
        .offset:         88
        .size:           8
        .value_kind:     global_buffer
      - .offset:         96
        .size:           8
        .value_kind:     by_value
      - .offset:         104
        .size:           8
        .value_kind:     by_value
      - .address_space:  global
        .offset:         112
        .size:           8
        .value_kind:     global_buffer
      - .offset:         120
        .size:           8
        .value_kind:     by_value
      - .offset:         128
        .size:           8
        .value_kind:     by_value
      - .offset:         136
        .size:           4
        .value_kind:     by_value
    .group_segment_fixed_size: 2048
    .kernarg_segment_align: 8
    .kernarg_segment_size: 140
    .language:       OpenCL C
    .language_version:
      - 2
      - 0
    .max_flat_workgroup_size: 256
    .name:           _ZN12_GLOBAL__N_135rocblas_gemm_batched_general_kernelIfLi16ELi16ELi32ELi32ELi8ELi32ELi8ELi8ELi32ELc84ELc78EKPKfS3_KPfEEvlllT_PT11_llS8_llS6_PT12_llPT13_lli
    .private_segment_fixed_size: 0
    .sgpr_count:     42
    .sgpr_spill_count: 0
    .symbol:         _ZN12_GLOBAL__N_135rocblas_gemm_batched_general_kernelIfLi16ELi16ELi32ELi32ELi8ELi32ELi8ELi8ELi32ELc84ELc78EKPKfS3_KPfEEvlllT_PT11_llS8_llS6_PT12_llPT13_lli.kd
    .uniform_work_group_size: 1
    .uses_dynamic_stack: false
    .vgpr_count:     44
    .vgpr_spill_count: 0
    .wavefront_size: 32
    .workgroup_processor_mode: 1
  - .args:
      - .offset:         0
        .size:           8
        .value_kind:     by_value
      - .offset:         8
        .size:           8
        .value_kind:     by_value
      - .offset:         16
        .size:           8
        .value_kind:     by_value
      - .offset:         24
        .size:           4
        .value_kind:     by_value
      - .address_space:  global
        .offset:         32
        .size:           8
        .value_kind:     global_buffer
      - .offset:         40
        .size:           8
        .value_kind:     by_value
      - .offset:         48
        .size:           8
        .value_kind:     by_value
      - .address_space:  global
        .offset:         56
        .size:           8
        .value_kind:     global_buffer
      - .offset:         64
        .size:           8
        .value_kind:     by_value
      - .offset:         72
        .size:           8
        .value_kind:     by_value
      - .offset:         80
        .size:           4
        .value_kind:     by_value
      - .address_space:  global
        .offset:         88
        .size:           8
        .value_kind:     global_buffer
      - .offset:         96
        .size:           8
        .value_kind:     by_value
      - .offset:         104
        .size:           8
        .value_kind:     by_value
      - .address_space:  global
        .offset:         112
        .size:           8
        .value_kind:     global_buffer
      - .offset:         120
        .size:           8
        .value_kind:     by_value
      - .offset:         128
        .size:           8
        .value_kind:     by_value
      - .offset:         136
        .size:           4
        .value_kind:     by_value
    .group_segment_fixed_size: 2048
    .kernarg_segment_align: 8
    .kernarg_segment_size: 140
    .language:       OpenCL C
    .language_version:
      - 2
      - 0
    .max_flat_workgroup_size: 256
    .name:           _ZN12_GLOBAL__N_135rocblas_gemm_batched_general_kernelIfLi16ELi16ELi32ELi32ELi8ELi32ELi8ELi8ELi32ELc78ELc84EKPKfS3_KPfEEvlllT_PT11_llS8_llS6_PT12_llPT13_lli
    .private_segment_fixed_size: 0
    .sgpr_count:     48
    .sgpr_spill_count: 0
    .symbol:         _ZN12_GLOBAL__N_135rocblas_gemm_batched_general_kernelIfLi16ELi16ELi32ELi32ELi8ELi32ELi8ELi8ELi32ELc78ELc84EKPKfS3_KPfEEvlllT_PT11_llS8_llS6_PT12_llPT13_lli.kd
    .uniform_work_group_size: 1
    .uses_dynamic_stack: false
    .vgpr_count:     44
    .vgpr_spill_count: 0
    .wavefront_size: 32
    .workgroup_processor_mode: 1
  - .args:
      - .offset:         0
        .size:           8
        .value_kind:     by_value
      - .offset:         8
        .size:           8
        .value_kind:     by_value
      - .offset:         16
        .size:           8
        .value_kind:     by_value
      - .offset:         24
        .size:           4
        .value_kind:     by_value
      - .address_space:  global
        .offset:         32
        .size:           8
        .value_kind:     global_buffer
      - .offset:         40
        .size:           8
        .value_kind:     by_value
      - .offset:         48
        .size:           8
        .value_kind:     by_value
      - .address_space:  global
        .offset:         56
        .size:           8
        .value_kind:     global_buffer
      - .offset:         64
        .size:           8
        .value_kind:     by_value
      - .offset:         72
        .size:           8
        .value_kind:     by_value
      - .offset:         80
        .size:           4
        .value_kind:     by_value
      - .address_space:  global
        .offset:         88
        .size:           8
        .value_kind:     global_buffer
      - .offset:         96
        .size:           8
        .value_kind:     by_value
      - .offset:         104
        .size:           8
        .value_kind:     by_value
      - .address_space:  global
        .offset:         112
        .size:           8
        .value_kind:     global_buffer
      - .offset:         120
        .size:           8
        .value_kind:     by_value
      - .offset:         128
        .size:           8
        .value_kind:     by_value
      - .offset:         136
        .size:           4
        .value_kind:     by_value
    .group_segment_fixed_size: 2048
    .kernarg_segment_align: 8
    .kernarg_segment_size: 140
    .language:       OpenCL C
    .language_version:
      - 2
      - 0
    .max_flat_workgroup_size: 256
    .name:           _ZN12_GLOBAL__N_135rocblas_gemm_batched_general_kernelIfLi16ELi16ELi32ELi32ELi8ELi32ELi8ELi8ELi32ELc84ELc84EKPKfS3_KPfEEvlllT_PT11_llS8_llS6_PT12_llPT13_lli
    .private_segment_fixed_size: 0
    .sgpr_count:     46
    .sgpr_spill_count: 0
    .symbol:         _ZN12_GLOBAL__N_135rocblas_gemm_batched_general_kernelIfLi16ELi16ELi32ELi32ELi8ELi32ELi8ELi8ELi32ELc84ELc84EKPKfS3_KPfEEvlllT_PT11_llS8_llS6_PT12_llPT13_lli.kd
    .uniform_work_group_size: 1
    .uses_dynamic_stack: false
    .vgpr_count:     44
    .vgpr_spill_count: 0
    .wavefront_size: 32
    .workgroup_processor_mode: 1
  - .args:
      - .offset:         0
        .size:           8
        .value_kind:     by_value
      - .offset:         8
        .size:           8
        .value_kind:     by_value
      - .offset:         16
        .size:           8
        .value_kind:     by_value
      - .offset:         24
        .size:           4
        .value_kind:     by_value
      - .address_space:  global
        .offset:         32
        .size:           8
        .value_kind:     global_buffer
      - .offset:         40
        .size:           8
        .value_kind:     by_value
      - .offset:         48
        .size:           8
        .value_kind:     by_value
      - .address_space:  global
        .offset:         56
        .size:           8
        .value_kind:     global_buffer
      - .offset:         64
        .size:           8
        .value_kind:     by_value
      - .offset:         72
        .size:           8
        .value_kind:     by_value
      - .offset:         80
        .size:           4
        .value_kind:     by_value
      - .address_space:  global
        .offset:         88
        .size:           8
        .value_kind:     global_buffer
      - .offset:         96
        .size:           8
        .value_kind:     by_value
      - .offset:         104
        .size:           8
        .value_kind:     by_value
      - .address_space:  global
        .offset:         112
        .size:           8
        .value_kind:     global_buffer
      - .offset:         120
        .size:           8
        .value_kind:     by_value
      - .offset:         128
        .size:           8
        .value_kind:     by_value
      - .offset:         136
        .size:           4
        .value_kind:     by_value
    .group_segment_fixed_size: 2048
    .kernarg_segment_align: 8
    .kernarg_segment_size: 140
    .language:       OpenCL C
    .language_version:
      - 2
      - 0
    .max_flat_workgroup_size: 256
    .name:           _ZN12_GLOBAL__N_135rocblas_gemm_batched_general_kernelIfLi16ELi16ELi32ELi32ELi8ELi32ELi8ELi8ELi32ELc67ELc67EKPKfS3_KPfEEvlllT_PT11_llS8_llS6_PT12_llPT13_lli
    .private_segment_fixed_size: 0
    .sgpr_count:     46
    .sgpr_spill_count: 0
    .symbol:         _ZN12_GLOBAL__N_135rocblas_gemm_batched_general_kernelIfLi16ELi16ELi32ELi32ELi8ELi32ELi8ELi8ELi32ELc67ELc67EKPKfS3_KPfEEvlllT_PT11_llS8_llS6_PT12_llPT13_lli.kd
    .uniform_work_group_size: 1
    .uses_dynamic_stack: false
    .vgpr_count:     44
    .vgpr_spill_count: 0
    .wavefront_size: 32
    .workgroup_processor_mode: 1
  - .args:
      - .offset:         0
        .size:           8
        .value_kind:     by_value
      - .offset:         8
        .size:           8
        .value_kind:     by_value
      - .offset:         16
        .size:           8
        .value_kind:     by_value
      - .offset:         24
        .size:           4
        .value_kind:     by_value
      - .address_space:  global
        .offset:         32
        .size:           8
        .value_kind:     global_buffer
      - .offset:         40
        .size:           8
        .value_kind:     by_value
      - .offset:         48
        .size:           8
        .value_kind:     by_value
      - .address_space:  global
        .offset:         56
        .size:           8
        .value_kind:     global_buffer
      - .offset:         64
        .size:           8
        .value_kind:     by_value
      - .offset:         72
        .size:           8
        .value_kind:     by_value
      - .offset:         80
        .size:           4
        .value_kind:     by_value
      - .address_space:  global
        .offset:         88
        .size:           8
        .value_kind:     global_buffer
      - .offset:         96
        .size:           8
        .value_kind:     by_value
      - .offset:         104
        .size:           8
        .value_kind:     by_value
      - .address_space:  global
        .offset:         112
        .size:           8
        .value_kind:     global_buffer
      - .offset:         120
        .size:           8
        .value_kind:     by_value
      - .offset:         128
        .size:           8
        .value_kind:     by_value
      - .offset:         136
        .size:           4
        .value_kind:     by_value
    .group_segment_fixed_size: 2048
    .kernarg_segment_align: 8
    .kernarg_segment_size: 140
    .language:       OpenCL C
    .language_version:
      - 2
      - 0
    .max_flat_workgroup_size: 256
    .name:           _ZN12_GLOBAL__N_135rocblas_gemm_batched_general_kernelIfLi16ELi16ELi32ELi32ELi8ELi32ELi8ELi8ELi32ELc67ELc78EKPKfS3_KPfEEvlllT_PT11_llS8_llS6_PT12_llPT13_lli
    .private_segment_fixed_size: 0
    .sgpr_count:     42
    .sgpr_spill_count: 0
    .symbol:         _ZN12_GLOBAL__N_135rocblas_gemm_batched_general_kernelIfLi16ELi16ELi32ELi32ELi8ELi32ELi8ELi8ELi32ELc67ELc78EKPKfS3_KPfEEvlllT_PT11_llS8_llS6_PT12_llPT13_lli.kd
    .uniform_work_group_size: 1
    .uses_dynamic_stack: false
    .vgpr_count:     44
    .vgpr_spill_count: 0
    .wavefront_size: 32
    .workgroup_processor_mode: 1
  - .args:
      - .offset:         0
        .size:           8
        .value_kind:     by_value
      - .offset:         8
        .size:           8
        .value_kind:     by_value
      - .offset:         16
        .size:           8
        .value_kind:     by_value
      - .offset:         24
        .size:           4
        .value_kind:     by_value
      - .address_space:  global
        .offset:         32
        .size:           8
        .value_kind:     global_buffer
      - .offset:         40
        .size:           8
        .value_kind:     by_value
      - .offset:         48
        .size:           8
        .value_kind:     by_value
      - .address_space:  global
        .offset:         56
        .size:           8
        .value_kind:     global_buffer
      - .offset:         64
        .size:           8
        .value_kind:     by_value
      - .offset:         72
        .size:           8
        .value_kind:     by_value
      - .offset:         80
        .size:           4
        .value_kind:     by_value
      - .address_space:  global
        .offset:         88
        .size:           8
        .value_kind:     global_buffer
      - .offset:         96
        .size:           8
        .value_kind:     by_value
      - .offset:         104
        .size:           8
        .value_kind:     by_value
      - .address_space:  global
        .offset:         112
        .size:           8
        .value_kind:     global_buffer
      - .offset:         120
        .size:           8
        .value_kind:     by_value
      - .offset:         128
        .size:           8
        .value_kind:     by_value
      - .offset:         136
        .size:           4
        .value_kind:     by_value
    .group_segment_fixed_size: 2048
    .kernarg_segment_align: 8
    .kernarg_segment_size: 140
    .language:       OpenCL C
    .language_version:
      - 2
      - 0
    .max_flat_workgroup_size: 256
    .name:           _ZN12_GLOBAL__N_135rocblas_gemm_batched_general_kernelIfLi16ELi16ELi32ELi32ELi8ELi32ELi8ELi8ELi32ELc67ELc84EKPKfS3_KPfEEvlllT_PT11_llS8_llS6_PT12_llPT13_lli
    .private_segment_fixed_size: 0
    .sgpr_count:     46
    .sgpr_spill_count: 0
    .symbol:         _ZN12_GLOBAL__N_135rocblas_gemm_batched_general_kernelIfLi16ELi16ELi32ELi32ELi8ELi32ELi8ELi8ELi32ELc67ELc84EKPKfS3_KPfEEvlllT_PT11_llS8_llS6_PT12_llPT13_lli.kd
    .uniform_work_group_size: 1
    .uses_dynamic_stack: false
    .vgpr_count:     44
    .vgpr_spill_count: 0
    .wavefront_size: 32
    .workgroup_processor_mode: 1
  - .args:
      - .offset:         0
        .size:           8
        .value_kind:     by_value
      - .offset:         8
        .size:           8
        .value_kind:     by_value
      - .offset:         16
        .size:           8
        .value_kind:     by_value
      - .offset:         24
        .size:           4
        .value_kind:     by_value
      - .address_space:  global
        .offset:         32
        .size:           8
        .value_kind:     global_buffer
      - .offset:         40
        .size:           8
        .value_kind:     by_value
      - .offset:         48
        .size:           8
        .value_kind:     by_value
      - .address_space:  global
        .offset:         56
        .size:           8
        .value_kind:     global_buffer
      - .offset:         64
        .size:           8
        .value_kind:     by_value
      - .offset:         72
        .size:           8
        .value_kind:     by_value
      - .offset:         80
        .size:           4
        .value_kind:     by_value
      - .address_space:  global
        .offset:         88
        .size:           8
        .value_kind:     global_buffer
      - .offset:         96
        .size:           8
        .value_kind:     by_value
      - .offset:         104
        .size:           8
        .value_kind:     by_value
      - .address_space:  global
        .offset:         112
        .size:           8
        .value_kind:     global_buffer
      - .offset:         120
        .size:           8
        .value_kind:     by_value
      - .offset:         128
        .size:           8
        .value_kind:     by_value
      - .offset:         136
        .size:           4
        .value_kind:     by_value
    .group_segment_fixed_size: 2048
    .kernarg_segment_align: 8
    .kernarg_segment_size: 140
    .language:       OpenCL C
    .language_version:
      - 2
      - 0
    .max_flat_workgroup_size: 256
    .name:           _ZN12_GLOBAL__N_135rocblas_gemm_batched_general_kernelIfLi16ELi16ELi32ELi32ELi8ELi32ELi8ELi8ELi32ELc78ELc67EKPKfS3_KPfEEvlllT_PT11_llS8_llS6_PT12_llPT13_lli
    .private_segment_fixed_size: 0
    .sgpr_count:     48
    .sgpr_spill_count: 0
    .symbol:         _ZN12_GLOBAL__N_135rocblas_gemm_batched_general_kernelIfLi16ELi16ELi32ELi32ELi8ELi32ELi8ELi8ELi32ELc78ELc67EKPKfS3_KPfEEvlllT_PT11_llS8_llS6_PT12_llPT13_lli.kd
    .uniform_work_group_size: 1
    .uses_dynamic_stack: false
    .vgpr_count:     44
    .vgpr_spill_count: 0
    .wavefront_size: 32
    .workgroup_processor_mode: 1
  - .args:
      - .offset:         0
        .size:           8
        .value_kind:     by_value
      - .offset:         8
        .size:           8
        .value_kind:     by_value
      - .offset:         16
        .size:           8
        .value_kind:     by_value
      - .offset:         24
        .size:           4
        .value_kind:     by_value
      - .address_space:  global
        .offset:         32
        .size:           8
        .value_kind:     global_buffer
      - .offset:         40
        .size:           8
        .value_kind:     by_value
      - .offset:         48
        .size:           8
        .value_kind:     by_value
      - .address_space:  global
        .offset:         56
        .size:           8
        .value_kind:     global_buffer
      - .offset:         64
        .size:           8
        .value_kind:     by_value
      - .offset:         72
        .size:           8
        .value_kind:     by_value
      - .offset:         80
        .size:           4
        .value_kind:     by_value
      - .address_space:  global
        .offset:         88
        .size:           8
        .value_kind:     global_buffer
      - .offset:         96
        .size:           8
        .value_kind:     by_value
      - .offset:         104
        .size:           8
        .value_kind:     by_value
      - .address_space:  global
        .offset:         112
        .size:           8
        .value_kind:     global_buffer
      - .offset:         120
        .size:           8
        .value_kind:     by_value
      - .offset:         128
        .size:           8
        .value_kind:     by_value
      - .offset:         136
        .size:           4
        .value_kind:     by_value
    .group_segment_fixed_size: 2048
    .kernarg_segment_align: 8
    .kernarg_segment_size: 140
    .language:       OpenCL C
    .language_version:
      - 2
      - 0
    .max_flat_workgroup_size: 256
    .name:           _ZN12_GLOBAL__N_135rocblas_gemm_batched_general_kernelIfLi16ELi16ELi32ELi32ELi8ELi32ELi8ELi8ELi32ELc84ELc67EKPKfS3_KPfEEvlllT_PT11_llS8_llS6_PT12_llPT13_lli
    .private_segment_fixed_size: 0
    .sgpr_count:     46
    .sgpr_spill_count: 0
    .symbol:         _ZN12_GLOBAL__N_135rocblas_gemm_batched_general_kernelIfLi16ELi16ELi32ELi32ELi8ELi32ELi8ELi8ELi32ELc84ELc67EKPKfS3_KPfEEvlllT_PT11_llS8_llS6_PT12_llPT13_lli.kd
    .uniform_work_group_size: 1
    .uses_dynamic_stack: false
    .vgpr_count:     44
    .vgpr_spill_count: 0
    .wavefront_size: 32
    .workgroup_processor_mode: 1
  - .args:
      - .offset:         0
        .size:           4
        .value_kind:     by_value
      - .offset:         4
        .size:           4
        .value_kind:     by_value
      - .offset:         8
        .size:           8
        .value_kind:     by_value
      - .address_space:  global
        .offset:         16
        .size:           8
        .value_kind:     global_buffer
      - .offset:         24
        .size:           8
        .value_kind:     by_value
      - .offset:         32
        .size:           8
        .value_kind:     by_value
      - .offset:         40
        .size:           8
        .value_kind:     by_value
      - .offset:         48
        .size:           4
        .value_kind:     by_value
    .group_segment_fixed_size: 0
    .kernarg_segment_align: 8
    .kernarg_segment_size: 52
    .language:       OpenCL C
    .language_version:
      - 2
      - 0
    .max_flat_workgroup_size: 1024
    .name:           _ZN12_GLOBAL__N_125rocblas_gemm_scale_kernelILi32ELi32EdPKPdEEviiT1_T2_llli
    .private_segment_fixed_size: 0
    .sgpr_count:     12
    .sgpr_spill_count: 0
    .symbol:         _ZN12_GLOBAL__N_125rocblas_gemm_scale_kernelILi32ELi32EdPKPdEEviiT1_T2_llli.kd
    .uniform_work_group_size: 1
    .uses_dynamic_stack: false
    .vgpr_count:     6
    .vgpr_spill_count: 0
    .wavefront_size: 32
    .workgroup_processor_mode: 1
  - .args:
      - .offset:         0
        .size:           4
        .value_kind:     by_value
      - .offset:         4
        .size:           4
        .value_kind:     by_value
      - .offset:         8
        .size:           8
        .value_kind:     by_value
      - .address_space:  global
        .offset:         16
        .size:           8
        .value_kind:     global_buffer
      - .offset:         24
        .size:           8
        .value_kind:     by_value
      - .offset:         32
        .size:           8
        .value_kind:     by_value
      - .offset:         40
        .size:           8
        .value_kind:     by_value
      - .address_space:  global
        .offset:         48
        .size:           8
        .value_kind:     global_buffer
      - .offset:         56
        .size:           8
        .value_kind:     by_value
      - .offset:         64
        .size:           8
        .value_kind:     by_value
      - .offset:         72
        .size:           8
        .value_kind:     by_value
      - .offset:         80
        .size:           4
        .value_kind:     by_value
    .group_segment_fixed_size: 0
    .kernarg_segment_align: 8
    .kernarg_segment_size: 84
    .language:       OpenCL C
    .language_version:
      - 2
      - 0
    .max_flat_workgroup_size: 1024
    .name:           _ZN12_GLOBAL__N_120gemm_ex_scale_kernelILi32ELi32EdPKPKdPKPdEEviiT1_T2_lllT3_llli
    .private_segment_fixed_size: 0
    .sgpr_count:     23
    .sgpr_spill_count: 0
    .symbol:         _ZN12_GLOBAL__N_120gemm_ex_scale_kernelILi32ELi32EdPKPKdPKPdEEviiT1_T2_lllT3_llli.kd
    .uniform_work_group_size: 1
    .uses_dynamic_stack: false
    .vgpr_count:     8
    .vgpr_spill_count: 0
    .wavefront_size: 32
    .workgroup_processor_mode: 1
  - .args:
      - .offset:         0
        .size:           8
        .value_kind:     by_value
      - .offset:         8
        .size:           8
        .value_kind:     by_value
      - .offset:         16
        .size:           8
        .value_kind:     by_value
      - .offset:         24
        .size:           8
        .value_kind:     by_value
      - .address_space:  global
        .offset:         32
        .size:           8
        .value_kind:     global_buffer
      - .offset:         40
        .size:           8
        .value_kind:     by_value
      - .offset:         48
        .size:           8
        .value_kind:     by_value
      - .address_space:  global
        .offset:         56
        .size:           8
        .value_kind:     global_buffer
      - .offset:         64
        .size:           8
        .value_kind:     by_value
      - .offset:         72
        .size:           8
        .value_kind:     by_value
      - .offset:         80
        .size:           8
        .value_kind:     by_value
      - .address_space:  global
        .offset:         88
        .size:           8
        .value_kind:     global_buffer
      - .offset:         96
        .size:           8
        .value_kind:     by_value
      - .offset:         104
        .size:           8
        .value_kind:     by_value
      - .address_space:  global
        .offset:         112
        .size:           8
        .value_kind:     global_buffer
      - .offset:         120
        .size:           8
        .value_kind:     by_value
      - .offset:         128
        .size:           8
        .value_kind:     by_value
      - .offset:         136
        .size:           4
        .value_kind:     by_value
    .group_segment_fixed_size: 4096
    .kernarg_segment_align: 8
    .kernarg_segment_size: 140
    .language:       OpenCL C
    .language_version:
      - 2
      - 0
    .max_flat_workgroup_size: 256
    .name:           _ZN12_GLOBAL__N_127rocblas_gemm_batched_kernelIdLi16ELi16ELi64ELi64ELi4ELi64ELi4ELi4ELi64ELc78ELc78EKPKdS3_KPdEEvlllT_PT11_llS8_llS6_PT12_llPT13_lli
    .private_segment_fixed_size: 0
    .sgpr_count:     54
    .sgpr_spill_count: 0
    .symbol:         _ZN12_GLOBAL__N_127rocblas_gemm_batched_kernelIdLi16ELi16ELi64ELi64ELi4ELi64ELi4ELi4ELi64ELc78ELc78EKPKdS3_KPdEEvlllT_PT11_llS8_llS6_PT12_llPT13_lli.kd
    .uniform_work_group_size: 1
    .uses_dynamic_stack: false
    .vgpr_count:     78
    .vgpr_spill_count: 0
    .wavefront_size: 32
    .workgroup_processor_mode: 1
  - .args:
      - .offset:         0
        .size:           8
        .value_kind:     by_value
      - .offset:         8
        .size:           8
        .value_kind:     by_value
      - .offset:         16
        .size:           8
        .value_kind:     by_value
      - .offset:         24
        .size:           8
        .value_kind:     by_value
      - .address_space:  global
        .offset:         32
        .size:           8
        .value_kind:     global_buffer
      - .offset:         40
        .size:           8
        .value_kind:     by_value
      - .offset:         48
        .size:           8
        .value_kind:     by_value
      - .address_space:  global
        .offset:         56
        .size:           8
        .value_kind:     global_buffer
      - .offset:         64
        .size:           8
        .value_kind:     by_value
      - .offset:         72
        .size:           8
        .value_kind:     by_value
      - .offset:         80
        .size:           8
        .value_kind:     by_value
      - .address_space:  global
        .offset:         88
        .size:           8
        .value_kind:     global_buffer
      - .offset:         96
        .size:           8
        .value_kind:     by_value
      - .offset:         104
        .size:           8
        .value_kind:     by_value
      - .address_space:  global
        .offset:         112
        .size:           8
        .value_kind:     global_buffer
      - .offset:         120
        .size:           8
        .value_kind:     by_value
      - .offset:         128
        .size:           8
        .value_kind:     by_value
      - .offset:         136
        .size:           4
        .value_kind:     by_value
    .group_segment_fixed_size: 4096
    .kernarg_segment_align: 8
    .kernarg_segment_size: 140
    .language:       OpenCL C
    .language_version:
      - 2
      - 0
    .max_flat_workgroup_size: 256
    .name:           _ZN12_GLOBAL__N_127rocblas_gemm_batched_kernelIdLi16ELi16ELi64ELi64ELi4ELi64ELi4ELi4ELi64ELc84ELc78EKPKdS3_KPdEEvlllT_PT11_llS8_llS6_PT12_llPT13_lli
    .private_segment_fixed_size: 0
    .sgpr_count:     54
    .sgpr_spill_count: 0
    .symbol:         _ZN12_GLOBAL__N_127rocblas_gemm_batched_kernelIdLi16ELi16ELi64ELi64ELi4ELi64ELi4ELi4ELi64ELc84ELc78EKPKdS3_KPdEEvlllT_PT11_llS8_llS6_PT12_llPT13_lli.kd
    .uniform_work_group_size: 1
    .uses_dynamic_stack: false
    .vgpr_count:     78
    .vgpr_spill_count: 0
    .wavefront_size: 32
    .workgroup_processor_mode: 1
  - .args:
      - .offset:         0
        .size:           8
        .value_kind:     by_value
      - .offset:         8
        .size:           8
        .value_kind:     by_value
      - .offset:         16
        .size:           8
        .value_kind:     by_value
      - .offset:         24
        .size:           8
        .value_kind:     by_value
      - .address_space:  global
        .offset:         32
        .size:           8
        .value_kind:     global_buffer
      - .offset:         40
        .size:           8
        .value_kind:     by_value
      - .offset:         48
        .size:           8
        .value_kind:     by_value
      - .address_space:  global
        .offset:         56
        .size:           8
        .value_kind:     global_buffer
      - .offset:         64
        .size:           8
        .value_kind:     by_value
      - .offset:         72
        .size:           8
        .value_kind:     by_value
      - .offset:         80
        .size:           8
        .value_kind:     by_value
      - .address_space:  global
        .offset:         88
        .size:           8
        .value_kind:     global_buffer
      - .offset:         96
        .size:           8
        .value_kind:     by_value
      - .offset:         104
        .size:           8
        .value_kind:     by_value
      - .address_space:  global
        .offset:         112
        .size:           8
        .value_kind:     global_buffer
      - .offset:         120
        .size:           8
        .value_kind:     by_value
      - .offset:         128
        .size:           8
        .value_kind:     by_value
      - .offset:         136
        .size:           4
        .value_kind:     by_value
    .group_segment_fixed_size: 4096
    .kernarg_segment_align: 8
    .kernarg_segment_size: 140
    .language:       OpenCL C
    .language_version:
      - 2
      - 0
    .max_flat_workgroup_size: 256
    .name:           _ZN12_GLOBAL__N_127rocblas_gemm_batched_kernelIdLi16ELi16ELi64ELi64ELi4ELi64ELi4ELi4ELi64ELc78ELc84EKPKdS3_KPdEEvlllT_PT11_llS8_llS6_PT12_llPT13_lli
    .private_segment_fixed_size: 0
    .sgpr_count:     54
    .sgpr_spill_count: 0
    .symbol:         _ZN12_GLOBAL__N_127rocblas_gemm_batched_kernelIdLi16ELi16ELi64ELi64ELi4ELi64ELi4ELi4ELi64ELc78ELc84EKPKdS3_KPdEEvlllT_PT11_llS8_llS6_PT12_llPT13_lli.kd
    .uniform_work_group_size: 1
    .uses_dynamic_stack: false
    .vgpr_count:     78
    .vgpr_spill_count: 0
    .wavefront_size: 32
    .workgroup_processor_mode: 1
  - .args:
      - .offset:         0
        .size:           8
        .value_kind:     by_value
      - .offset:         8
        .size:           8
        .value_kind:     by_value
      - .offset:         16
        .size:           8
        .value_kind:     by_value
      - .offset:         24
        .size:           8
        .value_kind:     by_value
      - .address_space:  global
        .offset:         32
        .size:           8
        .value_kind:     global_buffer
      - .offset:         40
        .size:           8
        .value_kind:     by_value
      - .offset:         48
        .size:           8
        .value_kind:     by_value
      - .address_space:  global
        .offset:         56
        .size:           8
        .value_kind:     global_buffer
      - .offset:         64
        .size:           8
        .value_kind:     by_value
      - .offset:         72
        .size:           8
        .value_kind:     by_value
      - .offset:         80
        .size:           8
        .value_kind:     by_value
      - .address_space:  global
        .offset:         88
        .size:           8
        .value_kind:     global_buffer
      - .offset:         96
        .size:           8
        .value_kind:     by_value
      - .offset:         104
        .size:           8
        .value_kind:     by_value
      - .address_space:  global
        .offset:         112
        .size:           8
        .value_kind:     global_buffer
      - .offset:         120
        .size:           8
        .value_kind:     by_value
      - .offset:         128
        .size:           8
        .value_kind:     by_value
      - .offset:         136
        .size:           4
        .value_kind:     by_value
    .group_segment_fixed_size: 4096
    .kernarg_segment_align: 8
    .kernarg_segment_size: 140
    .language:       OpenCL C
    .language_version:
      - 2
      - 0
    .max_flat_workgroup_size: 256
    .name:           _ZN12_GLOBAL__N_127rocblas_gemm_batched_kernelIdLi16ELi16ELi64ELi64ELi4ELi64ELi4ELi4ELi64ELc84ELc84EKPKdS3_KPdEEvlllT_PT11_llS8_llS6_PT12_llPT13_lli
    .private_segment_fixed_size: 0
    .sgpr_count:     54
    .sgpr_spill_count: 0
    .symbol:         _ZN12_GLOBAL__N_127rocblas_gemm_batched_kernelIdLi16ELi16ELi64ELi64ELi4ELi64ELi4ELi4ELi64ELc84ELc84EKPKdS3_KPdEEvlllT_PT11_llS8_llS6_PT12_llPT13_lli.kd
    .uniform_work_group_size: 1
    .uses_dynamic_stack: false
    .vgpr_count:     78
    .vgpr_spill_count: 0
    .wavefront_size: 32
    .workgroup_processor_mode: 1
  - .args:
      - .offset:         0
        .size:           8
        .value_kind:     by_value
      - .offset:         8
        .size:           8
        .value_kind:     by_value
      - .offset:         16
        .size:           8
        .value_kind:     by_value
      - .offset:         24
        .size:           8
        .value_kind:     by_value
      - .address_space:  global
        .offset:         32
        .size:           8
        .value_kind:     global_buffer
      - .offset:         40
        .size:           8
        .value_kind:     by_value
      - .offset:         48
        .size:           8
        .value_kind:     by_value
      - .address_space:  global
        .offset:         56
        .size:           8
        .value_kind:     global_buffer
      - .offset:         64
        .size:           8
        .value_kind:     by_value
      - .offset:         72
        .size:           8
        .value_kind:     by_value
      - .offset:         80
        .size:           8
        .value_kind:     by_value
      - .address_space:  global
        .offset:         88
        .size:           8
        .value_kind:     global_buffer
      - .offset:         96
        .size:           8
        .value_kind:     by_value
      - .offset:         104
        .size:           8
        .value_kind:     by_value
      - .address_space:  global
        .offset:         112
        .size:           8
        .value_kind:     global_buffer
      - .offset:         120
        .size:           8
        .value_kind:     by_value
      - .offset:         128
        .size:           8
        .value_kind:     by_value
      - .offset:         136
        .size:           4
        .value_kind:     by_value
    .group_segment_fixed_size: 4096
    .kernarg_segment_align: 8
    .kernarg_segment_size: 140
    .language:       OpenCL C
    .language_version:
      - 2
      - 0
    .max_flat_workgroup_size: 256
    .name:           _ZN12_GLOBAL__N_127rocblas_gemm_batched_kernelIdLi16ELi16ELi64ELi64ELi4ELi64ELi4ELi4ELi64ELc67ELc67EKPKdS3_KPdEEvlllT_PT11_llS8_llS6_PT12_llPT13_lli
    .private_segment_fixed_size: 0
    .sgpr_count:     54
    .sgpr_spill_count: 0
    .symbol:         _ZN12_GLOBAL__N_127rocblas_gemm_batched_kernelIdLi16ELi16ELi64ELi64ELi4ELi64ELi4ELi4ELi64ELc67ELc67EKPKdS3_KPdEEvlllT_PT11_llS8_llS6_PT12_llPT13_lli.kd
    .uniform_work_group_size: 1
    .uses_dynamic_stack: false
    .vgpr_count:     78
    .vgpr_spill_count: 0
    .wavefront_size: 32
    .workgroup_processor_mode: 1
  - .args:
      - .offset:         0
        .size:           8
        .value_kind:     by_value
      - .offset:         8
        .size:           8
        .value_kind:     by_value
      - .offset:         16
        .size:           8
        .value_kind:     by_value
      - .offset:         24
        .size:           8
        .value_kind:     by_value
      - .address_space:  global
        .offset:         32
        .size:           8
        .value_kind:     global_buffer
      - .offset:         40
        .size:           8
        .value_kind:     by_value
      - .offset:         48
        .size:           8
        .value_kind:     by_value
      - .address_space:  global
        .offset:         56
        .size:           8
        .value_kind:     global_buffer
      - .offset:         64
        .size:           8
        .value_kind:     by_value
      - .offset:         72
        .size:           8
        .value_kind:     by_value
      - .offset:         80
        .size:           8
        .value_kind:     by_value
      - .address_space:  global
        .offset:         88
        .size:           8
        .value_kind:     global_buffer
      - .offset:         96
        .size:           8
        .value_kind:     by_value
      - .offset:         104
        .size:           8
        .value_kind:     by_value
      - .address_space:  global
        .offset:         112
        .size:           8
        .value_kind:     global_buffer
      - .offset:         120
        .size:           8
        .value_kind:     by_value
      - .offset:         128
        .size:           8
        .value_kind:     by_value
      - .offset:         136
        .size:           4
        .value_kind:     by_value
    .group_segment_fixed_size: 4096
    .kernarg_segment_align: 8
    .kernarg_segment_size: 140
    .language:       OpenCL C
    .language_version:
      - 2
      - 0
    .max_flat_workgroup_size: 256
    .name:           _ZN12_GLOBAL__N_127rocblas_gemm_batched_kernelIdLi16ELi16ELi64ELi64ELi4ELi64ELi4ELi4ELi64ELc67ELc78EKPKdS3_KPdEEvlllT_PT11_llS8_llS6_PT12_llPT13_lli
    .private_segment_fixed_size: 0
    .sgpr_count:     54
    .sgpr_spill_count: 0
    .symbol:         _ZN12_GLOBAL__N_127rocblas_gemm_batched_kernelIdLi16ELi16ELi64ELi64ELi4ELi64ELi4ELi4ELi64ELc67ELc78EKPKdS3_KPdEEvlllT_PT11_llS8_llS6_PT12_llPT13_lli.kd
    .uniform_work_group_size: 1
    .uses_dynamic_stack: false
    .vgpr_count:     78
    .vgpr_spill_count: 0
    .wavefront_size: 32
    .workgroup_processor_mode: 1
  - .args:
      - .offset:         0
        .size:           8
        .value_kind:     by_value
      - .offset:         8
        .size:           8
        .value_kind:     by_value
      - .offset:         16
        .size:           8
        .value_kind:     by_value
      - .offset:         24
        .size:           8
        .value_kind:     by_value
      - .address_space:  global
        .offset:         32
        .size:           8
        .value_kind:     global_buffer
      - .offset:         40
        .size:           8
        .value_kind:     by_value
      - .offset:         48
        .size:           8
        .value_kind:     by_value
      - .address_space:  global
        .offset:         56
        .size:           8
        .value_kind:     global_buffer
      - .offset:         64
        .size:           8
        .value_kind:     by_value
      - .offset:         72
        .size:           8
        .value_kind:     by_value
      - .offset:         80
        .size:           8
        .value_kind:     by_value
      - .address_space:  global
        .offset:         88
        .size:           8
        .value_kind:     global_buffer
      - .offset:         96
        .size:           8
        .value_kind:     by_value
      - .offset:         104
        .size:           8
        .value_kind:     by_value
      - .address_space:  global
        .offset:         112
        .size:           8
        .value_kind:     global_buffer
      - .offset:         120
        .size:           8
        .value_kind:     by_value
      - .offset:         128
        .size:           8
        .value_kind:     by_value
      - .offset:         136
        .size:           4
        .value_kind:     by_value
    .group_segment_fixed_size: 4096
    .kernarg_segment_align: 8
    .kernarg_segment_size: 140
    .language:       OpenCL C
    .language_version:
      - 2
      - 0
    .max_flat_workgroup_size: 256
    .name:           _ZN12_GLOBAL__N_127rocblas_gemm_batched_kernelIdLi16ELi16ELi64ELi64ELi4ELi64ELi4ELi4ELi64ELc67ELc84EKPKdS3_KPdEEvlllT_PT11_llS8_llS6_PT12_llPT13_lli
    .private_segment_fixed_size: 0
    .sgpr_count:     54
    .sgpr_spill_count: 0
    .symbol:         _ZN12_GLOBAL__N_127rocblas_gemm_batched_kernelIdLi16ELi16ELi64ELi64ELi4ELi64ELi4ELi4ELi64ELc67ELc84EKPKdS3_KPdEEvlllT_PT11_llS8_llS6_PT12_llPT13_lli.kd
    .uniform_work_group_size: 1
    .uses_dynamic_stack: false
    .vgpr_count:     78
    .vgpr_spill_count: 0
    .wavefront_size: 32
    .workgroup_processor_mode: 1
  - .args:
      - .offset:         0
        .size:           8
        .value_kind:     by_value
      - .offset:         8
        .size:           8
        .value_kind:     by_value
      - .offset:         16
        .size:           8
        .value_kind:     by_value
      - .offset:         24
        .size:           8
        .value_kind:     by_value
      - .address_space:  global
        .offset:         32
        .size:           8
        .value_kind:     global_buffer
      - .offset:         40
        .size:           8
        .value_kind:     by_value
      - .offset:         48
        .size:           8
        .value_kind:     by_value
      - .address_space:  global
        .offset:         56
        .size:           8
        .value_kind:     global_buffer
      - .offset:         64
        .size:           8
        .value_kind:     by_value
      - .offset:         72
        .size:           8
        .value_kind:     by_value
      - .offset:         80
        .size:           8
        .value_kind:     by_value
      - .address_space:  global
        .offset:         88
        .size:           8
        .value_kind:     global_buffer
      - .offset:         96
        .size:           8
        .value_kind:     by_value
      - .offset:         104
        .size:           8
        .value_kind:     by_value
      - .address_space:  global
        .offset:         112
        .size:           8
        .value_kind:     global_buffer
      - .offset:         120
        .size:           8
        .value_kind:     by_value
      - .offset:         128
        .size:           8
        .value_kind:     by_value
      - .offset:         136
        .size:           4
        .value_kind:     by_value
    .group_segment_fixed_size: 4096
    .kernarg_segment_align: 8
    .kernarg_segment_size: 140
    .language:       OpenCL C
    .language_version:
      - 2
      - 0
    .max_flat_workgroup_size: 256
    .name:           _ZN12_GLOBAL__N_127rocblas_gemm_batched_kernelIdLi16ELi16ELi64ELi64ELi4ELi64ELi4ELi4ELi64ELc78ELc67EKPKdS3_KPdEEvlllT_PT11_llS8_llS6_PT12_llPT13_lli
    .private_segment_fixed_size: 0
    .sgpr_count:     54
    .sgpr_spill_count: 0
    .symbol:         _ZN12_GLOBAL__N_127rocblas_gemm_batched_kernelIdLi16ELi16ELi64ELi64ELi4ELi64ELi4ELi4ELi64ELc78ELc67EKPKdS3_KPdEEvlllT_PT11_llS8_llS6_PT12_llPT13_lli.kd
    .uniform_work_group_size: 1
    .uses_dynamic_stack: false
    .vgpr_count:     78
    .vgpr_spill_count: 0
    .wavefront_size: 32
    .workgroup_processor_mode: 1
  - .args:
      - .offset:         0
        .size:           8
        .value_kind:     by_value
      - .offset:         8
        .size:           8
        .value_kind:     by_value
      - .offset:         16
        .size:           8
        .value_kind:     by_value
      - .offset:         24
        .size:           8
        .value_kind:     by_value
      - .address_space:  global
        .offset:         32
        .size:           8
        .value_kind:     global_buffer
      - .offset:         40
        .size:           8
        .value_kind:     by_value
      - .offset:         48
        .size:           8
        .value_kind:     by_value
      - .address_space:  global
        .offset:         56
        .size:           8
        .value_kind:     global_buffer
      - .offset:         64
        .size:           8
        .value_kind:     by_value
      - .offset:         72
        .size:           8
        .value_kind:     by_value
      - .offset:         80
        .size:           8
        .value_kind:     by_value
      - .address_space:  global
        .offset:         88
        .size:           8
        .value_kind:     global_buffer
      - .offset:         96
        .size:           8
        .value_kind:     by_value
      - .offset:         104
        .size:           8
        .value_kind:     by_value
      - .address_space:  global
        .offset:         112
        .size:           8
        .value_kind:     global_buffer
      - .offset:         120
        .size:           8
        .value_kind:     by_value
      - .offset:         128
        .size:           8
        .value_kind:     by_value
      - .offset:         136
        .size:           4
        .value_kind:     by_value
    .group_segment_fixed_size: 4096
    .kernarg_segment_align: 8
    .kernarg_segment_size: 140
    .language:       OpenCL C
    .language_version:
      - 2
      - 0
    .max_flat_workgroup_size: 256
    .name:           _ZN12_GLOBAL__N_127rocblas_gemm_batched_kernelIdLi16ELi16ELi64ELi64ELi4ELi64ELi4ELi4ELi64ELc84ELc67EKPKdS3_KPdEEvlllT_PT11_llS8_llS6_PT12_llPT13_lli
    .private_segment_fixed_size: 0
    .sgpr_count:     54
    .sgpr_spill_count: 0
    .symbol:         _ZN12_GLOBAL__N_127rocblas_gemm_batched_kernelIdLi16ELi16ELi64ELi64ELi4ELi64ELi4ELi4ELi64ELc84ELc67EKPKdS3_KPdEEvlllT_PT11_llS8_llS6_PT12_llPT13_lli.kd
    .uniform_work_group_size: 1
    .uses_dynamic_stack: false
    .vgpr_count:     78
    .vgpr_spill_count: 0
    .wavefront_size: 32
    .workgroup_processor_mode: 1
  - .args:
      - .offset:         0
        .size:           8
        .value_kind:     by_value
      - .offset:         8
        .size:           8
        .value_kind:     by_value
      - .offset:         16
        .size:           8
        .value_kind:     by_value
      - .offset:         24
        .size:           8
        .value_kind:     by_value
      - .address_space:  global
        .offset:         32
        .size:           8
        .value_kind:     global_buffer
      - .offset:         40
        .size:           8
        .value_kind:     by_value
      - .offset:         48
        .size:           8
        .value_kind:     by_value
      - .address_space:  global
        .offset:         56
        .size:           8
        .value_kind:     global_buffer
      - .offset:         64
        .size:           8
        .value_kind:     by_value
      - .offset:         72
        .size:           8
        .value_kind:     by_value
      - .offset:         80
        .size:           8
        .value_kind:     by_value
      - .address_space:  global
        .offset:         88
        .size:           8
        .value_kind:     global_buffer
      - .offset:         96
        .size:           8
        .value_kind:     by_value
      - .offset:         104
        .size:           8
        .value_kind:     by_value
      - .address_space:  global
        .offset:         112
        .size:           8
        .value_kind:     global_buffer
      - .offset:         120
        .size:           8
        .value_kind:     by_value
      - .offset:         128
        .size:           8
        .value_kind:     by_value
      - .offset:         136
        .size:           4
        .value_kind:     by_value
    .group_segment_fixed_size: 4096
    .kernarg_segment_align: 8
    .kernarg_segment_size: 140
    .language:       OpenCL C
    .language_version:
      - 2
      - 0
    .max_flat_workgroup_size: 256
    .name:           _ZN12_GLOBAL__N_127rocblas_gemm_batched_kernelIdLi16ELi16ELi32ELi32ELi8ELi32ELi8ELi8ELi32ELc78ELc78EKPKdS3_KPdEEvlllT_PT11_llS8_llS6_PT12_llPT13_lli
    .private_segment_fixed_size: 0
    .sgpr_count:     54
    .sgpr_spill_count: 0
    .symbol:         _ZN12_GLOBAL__N_127rocblas_gemm_batched_kernelIdLi16ELi16ELi32ELi32ELi8ELi32ELi8ELi8ELi32ELc78ELc78EKPKdS3_KPdEEvlllT_PT11_llS8_llS6_PT12_llPT13_lli.kd
    .uniform_work_group_size: 1
    .uses_dynamic_stack: false
    .vgpr_count:     38
    .vgpr_spill_count: 0
    .wavefront_size: 32
    .workgroup_processor_mode: 1
  - .args:
      - .offset:         0
        .size:           8
        .value_kind:     by_value
      - .offset:         8
        .size:           8
        .value_kind:     by_value
      - .offset:         16
        .size:           8
        .value_kind:     by_value
      - .offset:         24
        .size:           8
        .value_kind:     by_value
      - .address_space:  global
        .offset:         32
        .size:           8
        .value_kind:     global_buffer
      - .offset:         40
        .size:           8
        .value_kind:     by_value
      - .offset:         48
        .size:           8
        .value_kind:     by_value
      - .address_space:  global
        .offset:         56
        .size:           8
        .value_kind:     global_buffer
      - .offset:         64
        .size:           8
        .value_kind:     by_value
      - .offset:         72
        .size:           8
        .value_kind:     by_value
      - .offset:         80
        .size:           8
        .value_kind:     by_value
      - .address_space:  global
        .offset:         88
        .size:           8
        .value_kind:     global_buffer
      - .offset:         96
        .size:           8
        .value_kind:     by_value
      - .offset:         104
        .size:           8
        .value_kind:     by_value
      - .address_space:  global
        .offset:         112
        .size:           8
        .value_kind:     global_buffer
      - .offset:         120
        .size:           8
        .value_kind:     by_value
      - .offset:         128
        .size:           8
        .value_kind:     by_value
      - .offset:         136
        .size:           4
        .value_kind:     by_value
    .group_segment_fixed_size: 4096
    .kernarg_segment_align: 8
    .kernarg_segment_size: 140
    .language:       OpenCL C
    .language_version:
      - 2
      - 0
    .max_flat_workgroup_size: 256
    .name:           _ZN12_GLOBAL__N_127rocblas_gemm_batched_kernelIdLi16ELi16ELi32ELi32ELi8ELi32ELi8ELi8ELi32ELc84ELc78EKPKdS3_KPdEEvlllT_PT11_llS8_llS6_PT12_llPT13_lli
    .private_segment_fixed_size: 0
    .sgpr_count:     54
    .sgpr_spill_count: 0
    .symbol:         _ZN12_GLOBAL__N_127rocblas_gemm_batched_kernelIdLi16ELi16ELi32ELi32ELi8ELi32ELi8ELi8ELi32ELc84ELc78EKPKdS3_KPdEEvlllT_PT11_llS8_llS6_PT12_llPT13_lli.kd
    .uniform_work_group_size: 1
    .uses_dynamic_stack: false
    .vgpr_count:     38
    .vgpr_spill_count: 0
    .wavefront_size: 32
    .workgroup_processor_mode: 1
  - .args:
      - .offset:         0
        .size:           8
        .value_kind:     by_value
      - .offset:         8
        .size:           8
        .value_kind:     by_value
      - .offset:         16
        .size:           8
        .value_kind:     by_value
      - .offset:         24
        .size:           8
        .value_kind:     by_value
      - .address_space:  global
        .offset:         32
        .size:           8
        .value_kind:     global_buffer
      - .offset:         40
        .size:           8
        .value_kind:     by_value
      - .offset:         48
        .size:           8
        .value_kind:     by_value
      - .address_space:  global
        .offset:         56
        .size:           8
        .value_kind:     global_buffer
      - .offset:         64
        .size:           8
        .value_kind:     by_value
      - .offset:         72
        .size:           8
        .value_kind:     by_value
      - .offset:         80
        .size:           8
        .value_kind:     by_value
      - .address_space:  global
        .offset:         88
        .size:           8
        .value_kind:     global_buffer
      - .offset:         96
        .size:           8
        .value_kind:     by_value
      - .offset:         104
        .size:           8
        .value_kind:     by_value
      - .address_space:  global
        .offset:         112
        .size:           8
        .value_kind:     global_buffer
      - .offset:         120
        .size:           8
        .value_kind:     by_value
      - .offset:         128
        .size:           8
        .value_kind:     by_value
      - .offset:         136
        .size:           4
        .value_kind:     by_value
    .group_segment_fixed_size: 4096
    .kernarg_segment_align: 8
    .kernarg_segment_size: 140
    .language:       OpenCL C
    .language_version:
      - 2
      - 0
    .max_flat_workgroup_size: 256
    .name:           _ZN12_GLOBAL__N_127rocblas_gemm_batched_kernelIdLi16ELi16ELi32ELi32ELi8ELi32ELi8ELi8ELi32ELc78ELc84EKPKdS3_KPdEEvlllT_PT11_llS8_llS6_PT12_llPT13_lli
    .private_segment_fixed_size: 0
    .sgpr_count:     54
    .sgpr_spill_count: 0
    .symbol:         _ZN12_GLOBAL__N_127rocblas_gemm_batched_kernelIdLi16ELi16ELi32ELi32ELi8ELi32ELi8ELi8ELi32ELc78ELc84EKPKdS3_KPdEEvlllT_PT11_llS8_llS6_PT12_llPT13_lli.kd
    .uniform_work_group_size: 1
    .uses_dynamic_stack: false
    .vgpr_count:     38
    .vgpr_spill_count: 0
    .wavefront_size: 32
    .workgroup_processor_mode: 1
  - .args:
      - .offset:         0
        .size:           8
        .value_kind:     by_value
      - .offset:         8
        .size:           8
        .value_kind:     by_value
      - .offset:         16
        .size:           8
        .value_kind:     by_value
      - .offset:         24
        .size:           8
        .value_kind:     by_value
      - .address_space:  global
        .offset:         32
        .size:           8
        .value_kind:     global_buffer
      - .offset:         40
        .size:           8
        .value_kind:     by_value
      - .offset:         48
        .size:           8
        .value_kind:     by_value
      - .address_space:  global
        .offset:         56
        .size:           8
        .value_kind:     global_buffer
      - .offset:         64
        .size:           8
        .value_kind:     by_value
      - .offset:         72
        .size:           8
        .value_kind:     by_value
      - .offset:         80
        .size:           8
        .value_kind:     by_value
      - .address_space:  global
        .offset:         88
        .size:           8
        .value_kind:     global_buffer
      - .offset:         96
        .size:           8
        .value_kind:     by_value
      - .offset:         104
        .size:           8
        .value_kind:     by_value
      - .address_space:  global
        .offset:         112
        .size:           8
        .value_kind:     global_buffer
      - .offset:         120
        .size:           8
        .value_kind:     by_value
      - .offset:         128
        .size:           8
        .value_kind:     by_value
      - .offset:         136
        .size:           4
        .value_kind:     by_value
    .group_segment_fixed_size: 4096
    .kernarg_segment_align: 8
    .kernarg_segment_size: 140
    .language:       OpenCL C
    .language_version:
      - 2
      - 0
    .max_flat_workgroup_size: 256
    .name:           _ZN12_GLOBAL__N_127rocblas_gemm_batched_kernelIdLi16ELi16ELi32ELi32ELi8ELi32ELi8ELi8ELi32ELc84ELc84EKPKdS3_KPdEEvlllT_PT11_llS8_llS6_PT12_llPT13_lli
    .private_segment_fixed_size: 0
    .sgpr_count:     54
    .sgpr_spill_count: 0
    .symbol:         _ZN12_GLOBAL__N_127rocblas_gemm_batched_kernelIdLi16ELi16ELi32ELi32ELi8ELi32ELi8ELi8ELi32ELc84ELc84EKPKdS3_KPdEEvlllT_PT11_llS8_llS6_PT12_llPT13_lli.kd
    .uniform_work_group_size: 1
    .uses_dynamic_stack: false
    .vgpr_count:     38
    .vgpr_spill_count: 0
    .wavefront_size: 32
    .workgroup_processor_mode: 1
  - .args:
      - .offset:         0
        .size:           8
        .value_kind:     by_value
      - .offset:         8
        .size:           8
        .value_kind:     by_value
      - .offset:         16
        .size:           8
        .value_kind:     by_value
      - .offset:         24
        .size:           8
        .value_kind:     by_value
      - .address_space:  global
        .offset:         32
        .size:           8
        .value_kind:     global_buffer
      - .offset:         40
        .size:           8
        .value_kind:     by_value
      - .offset:         48
        .size:           8
        .value_kind:     by_value
      - .address_space:  global
        .offset:         56
        .size:           8
        .value_kind:     global_buffer
      - .offset:         64
        .size:           8
        .value_kind:     by_value
      - .offset:         72
        .size:           8
        .value_kind:     by_value
      - .offset:         80
        .size:           8
        .value_kind:     by_value
      - .address_space:  global
        .offset:         88
        .size:           8
        .value_kind:     global_buffer
      - .offset:         96
        .size:           8
        .value_kind:     by_value
      - .offset:         104
        .size:           8
        .value_kind:     by_value
      - .address_space:  global
        .offset:         112
        .size:           8
        .value_kind:     global_buffer
      - .offset:         120
        .size:           8
        .value_kind:     by_value
      - .offset:         128
        .size:           8
        .value_kind:     by_value
      - .offset:         136
        .size:           4
        .value_kind:     by_value
    .group_segment_fixed_size: 4096
    .kernarg_segment_align: 8
    .kernarg_segment_size: 140
    .language:       OpenCL C
    .language_version:
      - 2
      - 0
    .max_flat_workgroup_size: 256
    .name:           _ZN12_GLOBAL__N_127rocblas_gemm_batched_kernelIdLi16ELi16ELi32ELi32ELi8ELi32ELi8ELi8ELi32ELc67ELc67EKPKdS3_KPdEEvlllT_PT11_llS8_llS6_PT12_llPT13_lli
    .private_segment_fixed_size: 0
    .sgpr_count:     54
    .sgpr_spill_count: 0
    .symbol:         _ZN12_GLOBAL__N_127rocblas_gemm_batched_kernelIdLi16ELi16ELi32ELi32ELi8ELi32ELi8ELi8ELi32ELc67ELc67EKPKdS3_KPdEEvlllT_PT11_llS8_llS6_PT12_llPT13_lli.kd
    .uniform_work_group_size: 1
    .uses_dynamic_stack: false
    .vgpr_count:     38
    .vgpr_spill_count: 0
    .wavefront_size: 32
    .workgroup_processor_mode: 1
  - .args:
      - .offset:         0
        .size:           8
        .value_kind:     by_value
      - .offset:         8
        .size:           8
        .value_kind:     by_value
      - .offset:         16
        .size:           8
        .value_kind:     by_value
      - .offset:         24
        .size:           8
        .value_kind:     by_value
      - .address_space:  global
        .offset:         32
        .size:           8
        .value_kind:     global_buffer
      - .offset:         40
        .size:           8
        .value_kind:     by_value
      - .offset:         48
        .size:           8
        .value_kind:     by_value
      - .address_space:  global
        .offset:         56
        .size:           8
        .value_kind:     global_buffer
      - .offset:         64
        .size:           8
        .value_kind:     by_value
      - .offset:         72
        .size:           8
        .value_kind:     by_value
      - .offset:         80
        .size:           8
        .value_kind:     by_value
      - .address_space:  global
        .offset:         88
        .size:           8
        .value_kind:     global_buffer
      - .offset:         96
        .size:           8
        .value_kind:     by_value
      - .offset:         104
        .size:           8
        .value_kind:     by_value
      - .address_space:  global
        .offset:         112
        .size:           8
        .value_kind:     global_buffer
      - .offset:         120
        .size:           8
        .value_kind:     by_value
      - .offset:         128
        .size:           8
        .value_kind:     by_value
      - .offset:         136
        .size:           4
        .value_kind:     by_value
    .group_segment_fixed_size: 4096
    .kernarg_segment_align: 8
    .kernarg_segment_size: 140
    .language:       OpenCL C
    .language_version:
      - 2
      - 0
    .max_flat_workgroup_size: 256
    .name:           _ZN12_GLOBAL__N_127rocblas_gemm_batched_kernelIdLi16ELi16ELi32ELi32ELi8ELi32ELi8ELi8ELi32ELc67ELc78EKPKdS3_KPdEEvlllT_PT11_llS8_llS6_PT12_llPT13_lli
    .private_segment_fixed_size: 0
    .sgpr_count:     54
    .sgpr_spill_count: 0
    .symbol:         _ZN12_GLOBAL__N_127rocblas_gemm_batched_kernelIdLi16ELi16ELi32ELi32ELi8ELi32ELi8ELi8ELi32ELc67ELc78EKPKdS3_KPdEEvlllT_PT11_llS8_llS6_PT12_llPT13_lli.kd
    .uniform_work_group_size: 1
    .uses_dynamic_stack: false
    .vgpr_count:     38
    .vgpr_spill_count: 0
    .wavefront_size: 32
    .workgroup_processor_mode: 1
  - .args:
      - .offset:         0
        .size:           8
        .value_kind:     by_value
      - .offset:         8
        .size:           8
        .value_kind:     by_value
      - .offset:         16
        .size:           8
        .value_kind:     by_value
      - .offset:         24
        .size:           8
        .value_kind:     by_value
      - .address_space:  global
        .offset:         32
        .size:           8
        .value_kind:     global_buffer
      - .offset:         40
        .size:           8
        .value_kind:     by_value
      - .offset:         48
        .size:           8
        .value_kind:     by_value
      - .address_space:  global
        .offset:         56
        .size:           8
        .value_kind:     global_buffer
      - .offset:         64
        .size:           8
        .value_kind:     by_value
      - .offset:         72
        .size:           8
        .value_kind:     by_value
      - .offset:         80
        .size:           8
        .value_kind:     by_value
      - .address_space:  global
        .offset:         88
        .size:           8
        .value_kind:     global_buffer
      - .offset:         96
        .size:           8
        .value_kind:     by_value
      - .offset:         104
        .size:           8
        .value_kind:     by_value
      - .address_space:  global
        .offset:         112
        .size:           8
        .value_kind:     global_buffer
      - .offset:         120
        .size:           8
        .value_kind:     by_value
      - .offset:         128
        .size:           8
        .value_kind:     by_value
      - .offset:         136
        .size:           4
        .value_kind:     by_value
    .group_segment_fixed_size: 4096
    .kernarg_segment_align: 8
    .kernarg_segment_size: 140
    .language:       OpenCL C
    .language_version:
      - 2
      - 0
    .max_flat_workgroup_size: 256
    .name:           _ZN12_GLOBAL__N_127rocblas_gemm_batched_kernelIdLi16ELi16ELi32ELi32ELi8ELi32ELi8ELi8ELi32ELc67ELc84EKPKdS3_KPdEEvlllT_PT11_llS8_llS6_PT12_llPT13_lli
    .private_segment_fixed_size: 0
    .sgpr_count:     54
    .sgpr_spill_count: 0
    .symbol:         _ZN12_GLOBAL__N_127rocblas_gemm_batched_kernelIdLi16ELi16ELi32ELi32ELi8ELi32ELi8ELi8ELi32ELc67ELc84EKPKdS3_KPdEEvlllT_PT11_llS8_llS6_PT12_llPT13_lli.kd
    .uniform_work_group_size: 1
    .uses_dynamic_stack: false
    .vgpr_count:     38
    .vgpr_spill_count: 0
    .wavefront_size: 32
    .workgroup_processor_mode: 1
  - .args:
      - .offset:         0
        .size:           8
        .value_kind:     by_value
      - .offset:         8
        .size:           8
        .value_kind:     by_value
      - .offset:         16
        .size:           8
        .value_kind:     by_value
      - .offset:         24
        .size:           8
        .value_kind:     by_value
      - .address_space:  global
        .offset:         32
        .size:           8
        .value_kind:     global_buffer
      - .offset:         40
        .size:           8
        .value_kind:     by_value
      - .offset:         48
        .size:           8
        .value_kind:     by_value
      - .address_space:  global
        .offset:         56
        .size:           8
        .value_kind:     global_buffer
      - .offset:         64
        .size:           8
        .value_kind:     by_value
      - .offset:         72
        .size:           8
        .value_kind:     by_value
      - .offset:         80
        .size:           8
        .value_kind:     by_value
      - .address_space:  global
        .offset:         88
        .size:           8
        .value_kind:     global_buffer
      - .offset:         96
        .size:           8
        .value_kind:     by_value
      - .offset:         104
        .size:           8
        .value_kind:     by_value
      - .address_space:  global
        .offset:         112
        .size:           8
        .value_kind:     global_buffer
      - .offset:         120
        .size:           8
        .value_kind:     by_value
      - .offset:         128
        .size:           8
        .value_kind:     by_value
      - .offset:         136
        .size:           4
        .value_kind:     by_value
    .group_segment_fixed_size: 4096
    .kernarg_segment_align: 8
    .kernarg_segment_size: 140
    .language:       OpenCL C
    .language_version:
      - 2
      - 0
    .max_flat_workgroup_size: 256
    .name:           _ZN12_GLOBAL__N_127rocblas_gemm_batched_kernelIdLi16ELi16ELi32ELi32ELi8ELi32ELi8ELi8ELi32ELc78ELc67EKPKdS3_KPdEEvlllT_PT11_llS8_llS6_PT12_llPT13_lli
    .private_segment_fixed_size: 0
    .sgpr_count:     54
    .sgpr_spill_count: 0
    .symbol:         _ZN12_GLOBAL__N_127rocblas_gemm_batched_kernelIdLi16ELi16ELi32ELi32ELi8ELi32ELi8ELi8ELi32ELc78ELc67EKPKdS3_KPdEEvlllT_PT11_llS8_llS6_PT12_llPT13_lli.kd
    .uniform_work_group_size: 1
    .uses_dynamic_stack: false
    .vgpr_count:     38
    .vgpr_spill_count: 0
    .wavefront_size: 32
    .workgroup_processor_mode: 1
  - .args:
      - .offset:         0
        .size:           8
        .value_kind:     by_value
      - .offset:         8
        .size:           8
        .value_kind:     by_value
      - .offset:         16
        .size:           8
        .value_kind:     by_value
      - .offset:         24
        .size:           8
        .value_kind:     by_value
      - .address_space:  global
        .offset:         32
        .size:           8
        .value_kind:     global_buffer
      - .offset:         40
        .size:           8
        .value_kind:     by_value
      - .offset:         48
        .size:           8
        .value_kind:     by_value
      - .address_space:  global
        .offset:         56
        .size:           8
        .value_kind:     global_buffer
      - .offset:         64
        .size:           8
        .value_kind:     by_value
      - .offset:         72
        .size:           8
        .value_kind:     by_value
      - .offset:         80
        .size:           8
        .value_kind:     by_value
      - .address_space:  global
        .offset:         88
        .size:           8
        .value_kind:     global_buffer
      - .offset:         96
        .size:           8
        .value_kind:     by_value
      - .offset:         104
        .size:           8
        .value_kind:     by_value
      - .address_space:  global
        .offset:         112
        .size:           8
        .value_kind:     global_buffer
      - .offset:         120
        .size:           8
        .value_kind:     by_value
      - .offset:         128
        .size:           8
        .value_kind:     by_value
      - .offset:         136
        .size:           4
        .value_kind:     by_value
    .group_segment_fixed_size: 4096
    .kernarg_segment_align: 8
    .kernarg_segment_size: 140
    .language:       OpenCL C
    .language_version:
      - 2
      - 0
    .max_flat_workgroup_size: 256
    .name:           _ZN12_GLOBAL__N_127rocblas_gemm_batched_kernelIdLi16ELi16ELi32ELi32ELi8ELi32ELi8ELi8ELi32ELc84ELc67EKPKdS3_KPdEEvlllT_PT11_llS8_llS6_PT12_llPT13_lli
    .private_segment_fixed_size: 0
    .sgpr_count:     54
    .sgpr_spill_count: 0
    .symbol:         _ZN12_GLOBAL__N_127rocblas_gemm_batched_kernelIdLi16ELi16ELi32ELi32ELi8ELi32ELi8ELi8ELi32ELc84ELc67EKPKdS3_KPdEEvlllT_PT11_llS8_llS6_PT12_llPT13_lli.kd
    .uniform_work_group_size: 1
    .uses_dynamic_stack: false
    .vgpr_count:     38
    .vgpr_spill_count: 0
    .wavefront_size: 32
    .workgroup_processor_mode: 1
  - .args:
      - .offset:         0
        .size:           8
        .value_kind:     by_value
      - .offset:         8
        .size:           8
        .value_kind:     by_value
      - .offset:         16
        .size:           8
        .value_kind:     by_value
      - .offset:         24
        .size:           8
        .value_kind:     by_value
      - .address_space:  global
        .offset:         32
        .size:           8
        .value_kind:     global_buffer
      - .offset:         40
        .size:           8
        .value_kind:     by_value
      - .offset:         48
        .size:           8
        .value_kind:     by_value
      - .address_space:  global
        .offset:         56
        .size:           8
        .value_kind:     global_buffer
      - .offset:         64
        .size:           8
        .value_kind:     by_value
      - .offset:         72
        .size:           8
        .value_kind:     by_value
      - .offset:         80
        .size:           8
        .value_kind:     by_value
      - .address_space:  global
        .offset:         88
        .size:           8
        .value_kind:     global_buffer
      - .offset:         96
        .size:           8
        .value_kind:     by_value
      - .offset:         104
        .size:           8
        .value_kind:     by_value
      - .address_space:  global
        .offset:         112
        .size:           8
        .value_kind:     global_buffer
      - .offset:         120
        .size:           8
        .value_kind:     by_value
      - .offset:         128
        .size:           8
        .value_kind:     by_value
      - .offset:         136
        .size:           4
        .value_kind:     by_value
    .group_segment_fixed_size: 4096
    .kernarg_segment_align: 8
    .kernarg_segment_size: 140
    .language:       OpenCL C
    .language_version:
      - 2
      - 0
    .max_flat_workgroup_size: 256
    .name:           _ZN12_GLOBAL__N_135rocblas_gemm_batched_general_kernelIdLi16ELi16ELi32ELi32ELi8ELi32ELi8ELi8ELi32ELc78ELc78EKPKdS3_KPdEEvlllT_PT11_llS8_llS6_PT12_llPT13_lli
    .private_segment_fixed_size: 0
    .sgpr_count:     54
    .sgpr_spill_count: 0
    .symbol:         _ZN12_GLOBAL__N_135rocblas_gemm_batched_general_kernelIdLi16ELi16ELi32ELi32ELi8ELi32ELi8ELi8ELi32ELc78ELc78EKPKdS3_KPdEEvlllT_PT11_llS8_llS6_PT12_llPT13_lli.kd
    .uniform_work_group_size: 1
    .uses_dynamic_stack: false
    .vgpr_count:     44
    .vgpr_spill_count: 0
    .wavefront_size: 32
    .workgroup_processor_mode: 1
  - .args:
      - .offset:         0
        .size:           8
        .value_kind:     by_value
      - .offset:         8
        .size:           8
        .value_kind:     by_value
      - .offset:         16
        .size:           8
        .value_kind:     by_value
      - .offset:         24
        .size:           8
        .value_kind:     by_value
      - .address_space:  global
        .offset:         32
        .size:           8
        .value_kind:     global_buffer
      - .offset:         40
        .size:           8
        .value_kind:     by_value
      - .offset:         48
        .size:           8
        .value_kind:     by_value
      - .address_space:  global
        .offset:         56
        .size:           8
        .value_kind:     global_buffer
      - .offset:         64
        .size:           8
        .value_kind:     by_value
      - .offset:         72
        .size:           8
        .value_kind:     by_value
      - .offset:         80
        .size:           8
        .value_kind:     by_value
      - .address_space:  global
        .offset:         88
        .size:           8
        .value_kind:     global_buffer
      - .offset:         96
        .size:           8
        .value_kind:     by_value
      - .offset:         104
        .size:           8
        .value_kind:     by_value
      - .address_space:  global
        .offset:         112
        .size:           8
        .value_kind:     global_buffer
      - .offset:         120
        .size:           8
        .value_kind:     by_value
      - .offset:         128
        .size:           8
        .value_kind:     by_value
      - .offset:         136
        .size:           4
        .value_kind:     by_value
    .group_segment_fixed_size: 4096
    .kernarg_segment_align: 8
    .kernarg_segment_size: 140
    .language:       OpenCL C
    .language_version:
      - 2
      - 0
    .max_flat_workgroup_size: 256
    .name:           _ZN12_GLOBAL__N_135rocblas_gemm_batched_general_kernelIdLi16ELi16ELi32ELi32ELi8ELi32ELi8ELi8ELi32ELc84ELc78EKPKdS3_KPdEEvlllT_PT11_llS8_llS6_PT12_llPT13_lli
    .private_segment_fixed_size: 0
    .sgpr_count:     54
    .sgpr_spill_count: 0
    .symbol:         _ZN12_GLOBAL__N_135rocblas_gemm_batched_general_kernelIdLi16ELi16ELi32ELi32ELi8ELi32ELi8ELi8ELi32ELc84ELc78EKPKdS3_KPdEEvlllT_PT11_llS8_llS6_PT12_llPT13_lli.kd
    .uniform_work_group_size: 1
    .uses_dynamic_stack: false
    .vgpr_count:     44
    .vgpr_spill_count: 0
    .wavefront_size: 32
    .workgroup_processor_mode: 1
  - .args:
      - .offset:         0
        .size:           8
        .value_kind:     by_value
      - .offset:         8
        .size:           8
        .value_kind:     by_value
      - .offset:         16
        .size:           8
        .value_kind:     by_value
      - .offset:         24
        .size:           8
        .value_kind:     by_value
      - .address_space:  global
        .offset:         32
        .size:           8
        .value_kind:     global_buffer
      - .offset:         40
        .size:           8
        .value_kind:     by_value
      - .offset:         48
        .size:           8
        .value_kind:     by_value
      - .address_space:  global
        .offset:         56
        .size:           8
        .value_kind:     global_buffer
      - .offset:         64
        .size:           8
        .value_kind:     by_value
      - .offset:         72
        .size:           8
        .value_kind:     by_value
      - .offset:         80
        .size:           8
        .value_kind:     by_value
      - .address_space:  global
        .offset:         88
        .size:           8
        .value_kind:     global_buffer
      - .offset:         96
        .size:           8
        .value_kind:     by_value
      - .offset:         104
        .size:           8
        .value_kind:     by_value
      - .address_space:  global
        .offset:         112
        .size:           8
        .value_kind:     global_buffer
      - .offset:         120
        .size:           8
        .value_kind:     by_value
      - .offset:         128
        .size:           8
        .value_kind:     by_value
      - .offset:         136
        .size:           4
        .value_kind:     by_value
    .group_segment_fixed_size: 4096
    .kernarg_segment_align: 8
    .kernarg_segment_size: 140
    .language:       OpenCL C
    .language_version:
      - 2
      - 0
    .max_flat_workgroup_size: 256
    .name:           _ZN12_GLOBAL__N_135rocblas_gemm_batched_general_kernelIdLi16ELi16ELi32ELi32ELi8ELi32ELi8ELi8ELi32ELc78ELc84EKPKdS3_KPdEEvlllT_PT11_llS8_llS6_PT12_llPT13_lli
    .private_segment_fixed_size: 0
    .sgpr_count:     54
    .sgpr_spill_count: 0
    .symbol:         _ZN12_GLOBAL__N_135rocblas_gemm_batched_general_kernelIdLi16ELi16ELi32ELi32ELi8ELi32ELi8ELi8ELi32ELc78ELc84EKPKdS3_KPdEEvlllT_PT11_llS8_llS6_PT12_llPT13_lli.kd
    .uniform_work_group_size: 1
    .uses_dynamic_stack: false
    .vgpr_count:     44
    .vgpr_spill_count: 0
    .wavefront_size: 32
    .workgroup_processor_mode: 1
  - .args:
      - .offset:         0
        .size:           8
        .value_kind:     by_value
      - .offset:         8
        .size:           8
        .value_kind:     by_value
      - .offset:         16
        .size:           8
        .value_kind:     by_value
      - .offset:         24
        .size:           8
        .value_kind:     by_value
      - .address_space:  global
        .offset:         32
        .size:           8
        .value_kind:     global_buffer
      - .offset:         40
        .size:           8
        .value_kind:     by_value
      - .offset:         48
        .size:           8
        .value_kind:     by_value
      - .address_space:  global
        .offset:         56
        .size:           8
        .value_kind:     global_buffer
      - .offset:         64
        .size:           8
        .value_kind:     by_value
      - .offset:         72
        .size:           8
        .value_kind:     by_value
      - .offset:         80
        .size:           8
        .value_kind:     by_value
      - .address_space:  global
        .offset:         88
        .size:           8
        .value_kind:     global_buffer
      - .offset:         96
        .size:           8
        .value_kind:     by_value
      - .offset:         104
        .size:           8
        .value_kind:     by_value
      - .address_space:  global
        .offset:         112
        .size:           8
        .value_kind:     global_buffer
      - .offset:         120
        .size:           8
        .value_kind:     by_value
      - .offset:         128
        .size:           8
        .value_kind:     by_value
      - .offset:         136
        .size:           4
        .value_kind:     by_value
    .group_segment_fixed_size: 4096
    .kernarg_segment_align: 8
    .kernarg_segment_size: 140
    .language:       OpenCL C
    .language_version:
      - 2
      - 0
    .max_flat_workgroup_size: 256
    .name:           _ZN12_GLOBAL__N_135rocblas_gemm_batched_general_kernelIdLi16ELi16ELi32ELi32ELi8ELi32ELi8ELi8ELi32ELc84ELc84EKPKdS3_KPdEEvlllT_PT11_llS8_llS6_PT12_llPT13_lli
    .private_segment_fixed_size: 0
    .sgpr_count:     54
    .sgpr_spill_count: 0
    .symbol:         _ZN12_GLOBAL__N_135rocblas_gemm_batched_general_kernelIdLi16ELi16ELi32ELi32ELi8ELi32ELi8ELi8ELi32ELc84ELc84EKPKdS3_KPdEEvlllT_PT11_llS8_llS6_PT12_llPT13_lli.kd
    .uniform_work_group_size: 1
    .uses_dynamic_stack: false
    .vgpr_count:     44
    .vgpr_spill_count: 0
    .wavefront_size: 32
    .workgroup_processor_mode: 1
  - .args:
      - .offset:         0
        .size:           8
        .value_kind:     by_value
      - .offset:         8
        .size:           8
        .value_kind:     by_value
      - .offset:         16
        .size:           8
        .value_kind:     by_value
      - .offset:         24
        .size:           8
        .value_kind:     by_value
      - .address_space:  global
        .offset:         32
        .size:           8
        .value_kind:     global_buffer
      - .offset:         40
        .size:           8
        .value_kind:     by_value
      - .offset:         48
        .size:           8
        .value_kind:     by_value
      - .address_space:  global
        .offset:         56
        .size:           8
        .value_kind:     global_buffer
      - .offset:         64
        .size:           8
        .value_kind:     by_value
      - .offset:         72
        .size:           8
        .value_kind:     by_value
      - .offset:         80
        .size:           8
        .value_kind:     by_value
      - .address_space:  global
        .offset:         88
        .size:           8
        .value_kind:     global_buffer
      - .offset:         96
        .size:           8
        .value_kind:     by_value
      - .offset:         104
        .size:           8
        .value_kind:     by_value
      - .address_space:  global
        .offset:         112
        .size:           8
        .value_kind:     global_buffer
      - .offset:         120
        .size:           8
        .value_kind:     by_value
      - .offset:         128
        .size:           8
        .value_kind:     by_value
      - .offset:         136
        .size:           4
        .value_kind:     by_value
    .group_segment_fixed_size: 4096
    .kernarg_segment_align: 8
    .kernarg_segment_size: 140
    .language:       OpenCL C
    .language_version:
      - 2
      - 0
    .max_flat_workgroup_size: 256
    .name:           _ZN12_GLOBAL__N_135rocblas_gemm_batched_general_kernelIdLi16ELi16ELi32ELi32ELi8ELi32ELi8ELi8ELi32ELc67ELc67EKPKdS3_KPdEEvlllT_PT11_llS8_llS6_PT12_llPT13_lli
    .private_segment_fixed_size: 0
    .sgpr_count:     54
    .sgpr_spill_count: 0
    .symbol:         _ZN12_GLOBAL__N_135rocblas_gemm_batched_general_kernelIdLi16ELi16ELi32ELi32ELi8ELi32ELi8ELi8ELi32ELc67ELc67EKPKdS3_KPdEEvlllT_PT11_llS8_llS6_PT12_llPT13_lli.kd
    .uniform_work_group_size: 1
    .uses_dynamic_stack: false
    .vgpr_count:     44
    .vgpr_spill_count: 0
    .wavefront_size: 32
    .workgroup_processor_mode: 1
  - .args:
      - .offset:         0
        .size:           8
        .value_kind:     by_value
      - .offset:         8
        .size:           8
        .value_kind:     by_value
      - .offset:         16
        .size:           8
        .value_kind:     by_value
      - .offset:         24
        .size:           8
        .value_kind:     by_value
      - .address_space:  global
        .offset:         32
        .size:           8
        .value_kind:     global_buffer
      - .offset:         40
        .size:           8
        .value_kind:     by_value
      - .offset:         48
        .size:           8
        .value_kind:     by_value
      - .address_space:  global
        .offset:         56
        .size:           8
        .value_kind:     global_buffer
      - .offset:         64
        .size:           8
        .value_kind:     by_value
      - .offset:         72
        .size:           8
        .value_kind:     by_value
      - .offset:         80
        .size:           8
        .value_kind:     by_value
      - .address_space:  global
        .offset:         88
        .size:           8
        .value_kind:     global_buffer
      - .offset:         96
        .size:           8
        .value_kind:     by_value
      - .offset:         104
        .size:           8
        .value_kind:     by_value
      - .address_space:  global
        .offset:         112
        .size:           8
        .value_kind:     global_buffer
      - .offset:         120
        .size:           8
        .value_kind:     by_value
      - .offset:         128
        .size:           8
        .value_kind:     by_value
      - .offset:         136
        .size:           4
        .value_kind:     by_value
    .group_segment_fixed_size: 4096
    .kernarg_segment_align: 8
    .kernarg_segment_size: 140
    .language:       OpenCL C
    .language_version:
      - 2
      - 0
    .max_flat_workgroup_size: 256
    .name:           _ZN12_GLOBAL__N_135rocblas_gemm_batched_general_kernelIdLi16ELi16ELi32ELi32ELi8ELi32ELi8ELi8ELi32ELc67ELc78EKPKdS3_KPdEEvlllT_PT11_llS8_llS6_PT12_llPT13_lli
    .private_segment_fixed_size: 0
    .sgpr_count:     54
    .sgpr_spill_count: 0
    .symbol:         _ZN12_GLOBAL__N_135rocblas_gemm_batched_general_kernelIdLi16ELi16ELi32ELi32ELi8ELi32ELi8ELi8ELi32ELc67ELc78EKPKdS3_KPdEEvlllT_PT11_llS8_llS6_PT12_llPT13_lli.kd
    .uniform_work_group_size: 1
    .uses_dynamic_stack: false
    .vgpr_count:     44
    .vgpr_spill_count: 0
    .wavefront_size: 32
    .workgroup_processor_mode: 1
  - .args:
      - .offset:         0
        .size:           8
        .value_kind:     by_value
      - .offset:         8
        .size:           8
        .value_kind:     by_value
      - .offset:         16
        .size:           8
        .value_kind:     by_value
      - .offset:         24
        .size:           8
        .value_kind:     by_value
      - .address_space:  global
        .offset:         32
        .size:           8
        .value_kind:     global_buffer
      - .offset:         40
        .size:           8
        .value_kind:     by_value
      - .offset:         48
        .size:           8
        .value_kind:     by_value
      - .address_space:  global
        .offset:         56
        .size:           8
        .value_kind:     global_buffer
      - .offset:         64
        .size:           8
        .value_kind:     by_value
      - .offset:         72
        .size:           8
        .value_kind:     by_value
      - .offset:         80
        .size:           8
        .value_kind:     by_value
      - .address_space:  global
        .offset:         88
        .size:           8
        .value_kind:     global_buffer
      - .offset:         96
        .size:           8
        .value_kind:     by_value
      - .offset:         104
        .size:           8
        .value_kind:     by_value
      - .address_space:  global
        .offset:         112
        .size:           8
        .value_kind:     global_buffer
      - .offset:         120
        .size:           8
        .value_kind:     by_value
      - .offset:         128
        .size:           8
        .value_kind:     by_value
      - .offset:         136
        .size:           4
        .value_kind:     by_value
    .group_segment_fixed_size: 4096
    .kernarg_segment_align: 8
    .kernarg_segment_size: 140
    .language:       OpenCL C
    .language_version:
      - 2
      - 0
    .max_flat_workgroup_size: 256
    .name:           _ZN12_GLOBAL__N_135rocblas_gemm_batched_general_kernelIdLi16ELi16ELi32ELi32ELi8ELi32ELi8ELi8ELi32ELc67ELc84EKPKdS3_KPdEEvlllT_PT11_llS8_llS6_PT12_llPT13_lli
    .private_segment_fixed_size: 0
    .sgpr_count:     54
    .sgpr_spill_count: 0
    .symbol:         _ZN12_GLOBAL__N_135rocblas_gemm_batched_general_kernelIdLi16ELi16ELi32ELi32ELi8ELi32ELi8ELi8ELi32ELc67ELc84EKPKdS3_KPdEEvlllT_PT11_llS8_llS6_PT12_llPT13_lli.kd
    .uniform_work_group_size: 1
    .uses_dynamic_stack: false
    .vgpr_count:     44
    .vgpr_spill_count: 0
    .wavefront_size: 32
    .workgroup_processor_mode: 1
  - .args:
      - .offset:         0
        .size:           8
        .value_kind:     by_value
      - .offset:         8
        .size:           8
        .value_kind:     by_value
      - .offset:         16
        .size:           8
        .value_kind:     by_value
      - .offset:         24
        .size:           8
        .value_kind:     by_value
      - .address_space:  global
        .offset:         32
        .size:           8
        .value_kind:     global_buffer
      - .offset:         40
        .size:           8
        .value_kind:     by_value
      - .offset:         48
        .size:           8
        .value_kind:     by_value
      - .address_space:  global
        .offset:         56
        .size:           8
        .value_kind:     global_buffer
      - .offset:         64
        .size:           8
        .value_kind:     by_value
      - .offset:         72
        .size:           8
        .value_kind:     by_value
      - .offset:         80
        .size:           8
        .value_kind:     by_value
      - .address_space:  global
        .offset:         88
        .size:           8
        .value_kind:     global_buffer
      - .offset:         96
        .size:           8
        .value_kind:     by_value
      - .offset:         104
        .size:           8
        .value_kind:     by_value
      - .address_space:  global
        .offset:         112
        .size:           8
        .value_kind:     global_buffer
      - .offset:         120
        .size:           8
        .value_kind:     by_value
      - .offset:         128
        .size:           8
        .value_kind:     by_value
      - .offset:         136
        .size:           4
        .value_kind:     by_value
    .group_segment_fixed_size: 4096
    .kernarg_segment_align: 8
    .kernarg_segment_size: 140
    .language:       OpenCL C
    .language_version:
      - 2
      - 0
    .max_flat_workgroup_size: 256
    .name:           _ZN12_GLOBAL__N_135rocblas_gemm_batched_general_kernelIdLi16ELi16ELi32ELi32ELi8ELi32ELi8ELi8ELi32ELc78ELc67EKPKdS3_KPdEEvlllT_PT11_llS8_llS6_PT12_llPT13_lli
    .private_segment_fixed_size: 0
    .sgpr_count:     54
    .sgpr_spill_count: 0
    .symbol:         _ZN12_GLOBAL__N_135rocblas_gemm_batched_general_kernelIdLi16ELi16ELi32ELi32ELi8ELi32ELi8ELi8ELi32ELc78ELc67EKPKdS3_KPdEEvlllT_PT11_llS8_llS6_PT12_llPT13_lli.kd
    .uniform_work_group_size: 1
    .uses_dynamic_stack: false
    .vgpr_count:     44
    .vgpr_spill_count: 0
    .wavefront_size: 32
    .workgroup_processor_mode: 1
  - .args:
      - .offset:         0
        .size:           8
        .value_kind:     by_value
      - .offset:         8
        .size:           8
        .value_kind:     by_value
      - .offset:         16
        .size:           8
        .value_kind:     by_value
      - .offset:         24
        .size:           8
        .value_kind:     by_value
      - .address_space:  global
        .offset:         32
        .size:           8
        .value_kind:     global_buffer
      - .offset:         40
        .size:           8
        .value_kind:     by_value
      - .offset:         48
        .size:           8
        .value_kind:     by_value
      - .address_space:  global
        .offset:         56
        .size:           8
        .value_kind:     global_buffer
      - .offset:         64
        .size:           8
        .value_kind:     by_value
      - .offset:         72
        .size:           8
        .value_kind:     by_value
      - .offset:         80
        .size:           8
        .value_kind:     by_value
      - .address_space:  global
        .offset:         88
        .size:           8
        .value_kind:     global_buffer
      - .offset:         96
        .size:           8
        .value_kind:     by_value
      - .offset:         104
        .size:           8
        .value_kind:     by_value
      - .address_space:  global
        .offset:         112
        .size:           8
        .value_kind:     global_buffer
      - .offset:         120
        .size:           8
        .value_kind:     by_value
      - .offset:         128
        .size:           8
        .value_kind:     by_value
      - .offset:         136
        .size:           4
        .value_kind:     by_value
    .group_segment_fixed_size: 4096
    .kernarg_segment_align: 8
    .kernarg_segment_size: 140
    .language:       OpenCL C
    .language_version:
      - 2
      - 0
    .max_flat_workgroup_size: 256
    .name:           _ZN12_GLOBAL__N_135rocblas_gemm_batched_general_kernelIdLi16ELi16ELi32ELi32ELi8ELi32ELi8ELi8ELi32ELc84ELc67EKPKdS3_KPdEEvlllT_PT11_llS8_llS6_PT12_llPT13_lli
    .private_segment_fixed_size: 0
    .sgpr_count:     54
    .sgpr_spill_count: 0
    .symbol:         _ZN12_GLOBAL__N_135rocblas_gemm_batched_general_kernelIdLi16ELi16ELi32ELi32ELi8ELi32ELi8ELi8ELi32ELc84ELc67EKPKdS3_KPdEEvlllT_PT11_llS8_llS6_PT12_llPT13_lli.kd
    .uniform_work_group_size: 1
    .uses_dynamic_stack: false
    .vgpr_count:     44
    .vgpr_spill_count: 0
    .wavefront_size: 32
    .workgroup_processor_mode: 1
  - .args:
      - .offset:         0
        .size:           4
        .value_kind:     by_value
      - .offset:         4
        .size:           4
        .value_kind:     by_value
      - .offset:         8
        .size:           8
        .value_kind:     by_value
      - .address_space:  global
        .offset:         16
        .size:           8
        .value_kind:     global_buffer
      - .offset:         24
        .size:           8
        .value_kind:     by_value
      - .offset:         32
        .size:           8
        .value_kind:     by_value
      - .offset:         40
        .size:           8
        .value_kind:     by_value
      - .offset:         48
        .size:           4
        .value_kind:     by_value
    .group_segment_fixed_size: 0
    .kernarg_segment_align: 8
    .kernarg_segment_size: 52
    .language:       OpenCL C
    .language_version:
      - 2
      - 0
    .max_flat_workgroup_size: 1024
    .name:           _ZN12_GLOBAL__N_125rocblas_gemm_scale_kernelILi32ELi32E19rocblas_complex_numIfEPKPS2_EEviiT1_T2_llli
    .private_segment_fixed_size: 0
    .sgpr_count:     18
    .sgpr_spill_count: 0
    .symbol:         _ZN12_GLOBAL__N_125rocblas_gemm_scale_kernelILi32ELi32E19rocblas_complex_numIfEPKPS2_EEviiT1_T2_llli.kd
    .uniform_work_group_size: 1
    .uses_dynamic_stack: false
    .vgpr_count:     8
    .vgpr_spill_count: 0
    .wavefront_size: 32
    .workgroup_processor_mode: 1
  - .args:
      - .offset:         0
        .size:           4
        .value_kind:     by_value
      - .offset:         4
        .size:           4
        .value_kind:     by_value
      - .offset:         8
        .size:           8
        .value_kind:     by_value
      - .address_space:  global
        .offset:         16
        .size:           8
        .value_kind:     global_buffer
      - .offset:         24
        .size:           8
        .value_kind:     by_value
      - .offset:         32
        .size:           8
        .value_kind:     by_value
      - .offset:         40
        .size:           8
        .value_kind:     by_value
      - .address_space:  global
        .offset:         48
        .size:           8
        .value_kind:     global_buffer
      - .offset:         56
        .size:           8
        .value_kind:     by_value
      - .offset:         64
        .size:           8
        .value_kind:     by_value
      - .offset:         72
        .size:           8
        .value_kind:     by_value
      - .offset:         80
        .size:           4
        .value_kind:     by_value
    .group_segment_fixed_size: 0
    .kernarg_segment_align: 8
    .kernarg_segment_size: 84
    .language:       OpenCL C
    .language_version:
      - 2
      - 0
    .max_flat_workgroup_size: 1024
    .name:           _ZN12_GLOBAL__N_120gemm_ex_scale_kernelILi32ELi32E19rocblas_complex_numIfEPKPKS2_PKPS2_EEviiT1_T2_lllT3_llli
    .private_segment_fixed_size: 0
    .sgpr_count:     24
    .sgpr_spill_count: 0
    .symbol:         _ZN12_GLOBAL__N_120gemm_ex_scale_kernelILi32ELi32E19rocblas_complex_numIfEPKPKS2_PKPS2_EEviiT1_T2_lllT3_llli.kd
    .uniform_work_group_size: 1
    .uses_dynamic_stack: false
    .vgpr_count:     9
    .vgpr_spill_count: 0
    .wavefront_size: 32
    .workgroup_processor_mode: 1
  - .args:
      - .offset:         0
        .size:           8
        .value_kind:     by_value
      - .offset:         8
        .size:           8
        .value_kind:     by_value
      - .offset:         16
        .size:           8
        .value_kind:     by_value
      - .offset:         24
        .size:           8
        .value_kind:     by_value
      - .address_space:  global
        .offset:         32
        .size:           8
        .value_kind:     global_buffer
      - .offset:         40
        .size:           8
        .value_kind:     by_value
      - .offset:         48
        .size:           8
        .value_kind:     by_value
      - .address_space:  global
        .offset:         56
        .size:           8
        .value_kind:     global_buffer
      - .offset:         64
        .size:           8
        .value_kind:     by_value
      - .offset:         72
        .size:           8
        .value_kind:     by_value
      - .offset:         80
        .size:           8
        .value_kind:     by_value
      - .address_space:  global
        .offset:         88
        .size:           8
        .value_kind:     global_buffer
      - .offset:         96
        .size:           8
        .value_kind:     by_value
      - .offset:         104
        .size:           8
        .value_kind:     by_value
      - .address_space:  global
        .offset:         112
        .size:           8
        .value_kind:     global_buffer
      - .offset:         120
        .size:           8
        .value_kind:     by_value
      - .offset:         128
        .size:           8
        .value_kind:     by_value
      - .offset:         136
        .size:           4
        .value_kind:     by_value
    .group_segment_fixed_size: 4096
    .kernarg_segment_align: 8
    .kernarg_segment_size: 140
    .language:       OpenCL C
    .language_version:
      - 2
      - 0
    .max_flat_workgroup_size: 256
    .name:           _ZN12_GLOBAL__N_127rocblas_gemm_batched_kernelI19rocblas_complex_numIfELi16ELi16ELi64ELi64ELi4ELi64ELi4ELi4ELi64ELc78ELc78EKPKS2_S5_KPS2_EEvlllT_PT11_llSA_llS8_PT12_llPT13_lli
    .private_segment_fixed_size: 0
    .sgpr_count:     46
    .sgpr_spill_count: 0
    .symbol:         _ZN12_GLOBAL__N_127rocblas_gemm_batched_kernelI19rocblas_complex_numIfELi16ELi16ELi64ELi64ELi4ELi64ELi4ELi4ELi64ELc78ELc78EKPKS2_S5_KPS2_EEvlllT_PT11_llSA_llS8_PT12_llPT13_lli.kd
    .uniform_work_group_size: 1
    .uses_dynamic_stack: false
    .vgpr_count:     188
    .vgpr_spill_count: 0
    .wavefront_size: 32
    .workgroup_processor_mode: 1
  - .args:
      - .offset:         0
        .size:           8
        .value_kind:     by_value
      - .offset:         8
        .size:           8
        .value_kind:     by_value
      - .offset:         16
        .size:           8
        .value_kind:     by_value
      - .offset:         24
        .size:           8
        .value_kind:     by_value
      - .address_space:  global
        .offset:         32
        .size:           8
        .value_kind:     global_buffer
      - .offset:         40
        .size:           8
        .value_kind:     by_value
      - .offset:         48
        .size:           8
        .value_kind:     by_value
      - .address_space:  global
        .offset:         56
        .size:           8
        .value_kind:     global_buffer
      - .offset:         64
        .size:           8
        .value_kind:     by_value
      - .offset:         72
        .size:           8
        .value_kind:     by_value
      - .offset:         80
        .size:           8
        .value_kind:     by_value
      - .address_space:  global
        .offset:         88
        .size:           8
        .value_kind:     global_buffer
      - .offset:         96
        .size:           8
        .value_kind:     by_value
      - .offset:         104
        .size:           8
        .value_kind:     by_value
      - .address_space:  global
        .offset:         112
        .size:           8
        .value_kind:     global_buffer
      - .offset:         120
        .size:           8
        .value_kind:     by_value
      - .offset:         128
        .size:           8
        .value_kind:     by_value
      - .offset:         136
        .size:           4
        .value_kind:     by_value
    .group_segment_fixed_size: 4096
    .kernarg_segment_align: 8
    .kernarg_segment_size: 140
    .language:       OpenCL C
    .language_version:
      - 2
      - 0
    .max_flat_workgroup_size: 256
    .name:           _ZN12_GLOBAL__N_127rocblas_gemm_batched_kernelI19rocblas_complex_numIfELi16ELi16ELi64ELi64ELi4ELi64ELi4ELi4ELi64ELc84ELc78EKPKS2_S5_KPS2_EEvlllT_PT11_llSA_llS8_PT12_llPT13_lli
    .private_segment_fixed_size: 0
    .sgpr_count:     46
    .sgpr_spill_count: 0
    .symbol:         _ZN12_GLOBAL__N_127rocblas_gemm_batched_kernelI19rocblas_complex_numIfELi16ELi16ELi64ELi64ELi4ELi64ELi4ELi4ELi64ELc84ELc78EKPKS2_S5_KPS2_EEvlllT_PT11_llSA_llS8_PT12_llPT13_lli.kd
    .uniform_work_group_size: 1
    .uses_dynamic_stack: false
    .vgpr_count:     188
    .vgpr_spill_count: 0
    .wavefront_size: 32
    .workgroup_processor_mode: 1
  - .args:
      - .offset:         0
        .size:           8
        .value_kind:     by_value
      - .offset:         8
        .size:           8
        .value_kind:     by_value
      - .offset:         16
        .size:           8
        .value_kind:     by_value
      - .offset:         24
        .size:           8
        .value_kind:     by_value
      - .address_space:  global
        .offset:         32
        .size:           8
        .value_kind:     global_buffer
      - .offset:         40
        .size:           8
        .value_kind:     by_value
      - .offset:         48
        .size:           8
        .value_kind:     by_value
      - .address_space:  global
        .offset:         56
        .size:           8
        .value_kind:     global_buffer
      - .offset:         64
        .size:           8
        .value_kind:     by_value
      - .offset:         72
        .size:           8
        .value_kind:     by_value
      - .offset:         80
        .size:           8
        .value_kind:     by_value
      - .address_space:  global
        .offset:         88
        .size:           8
        .value_kind:     global_buffer
      - .offset:         96
        .size:           8
        .value_kind:     by_value
      - .offset:         104
        .size:           8
        .value_kind:     by_value
      - .address_space:  global
        .offset:         112
        .size:           8
        .value_kind:     global_buffer
      - .offset:         120
        .size:           8
        .value_kind:     by_value
      - .offset:         128
        .size:           8
        .value_kind:     by_value
      - .offset:         136
        .size:           4
        .value_kind:     by_value
    .group_segment_fixed_size: 4096
    .kernarg_segment_align: 8
    .kernarg_segment_size: 140
    .language:       OpenCL C
    .language_version:
      - 2
      - 0
    .max_flat_workgroup_size: 256
    .name:           _ZN12_GLOBAL__N_127rocblas_gemm_batched_kernelI19rocblas_complex_numIfELi16ELi16ELi64ELi64ELi4ELi64ELi4ELi4ELi64ELc78ELc84EKPKS2_S5_KPS2_EEvlllT_PT11_llSA_llS8_PT12_llPT13_lli
    .private_segment_fixed_size: 0
    .sgpr_count:     46
    .sgpr_spill_count: 0
    .symbol:         _ZN12_GLOBAL__N_127rocblas_gemm_batched_kernelI19rocblas_complex_numIfELi16ELi16ELi64ELi64ELi4ELi64ELi4ELi4ELi64ELc78ELc84EKPKS2_S5_KPS2_EEvlllT_PT11_llSA_llS8_PT12_llPT13_lli.kd
    .uniform_work_group_size: 1
    .uses_dynamic_stack: false
    .vgpr_count:     188
    .vgpr_spill_count: 0
    .wavefront_size: 32
    .workgroup_processor_mode: 1
  - .args:
      - .offset:         0
        .size:           8
        .value_kind:     by_value
      - .offset:         8
        .size:           8
        .value_kind:     by_value
      - .offset:         16
        .size:           8
        .value_kind:     by_value
      - .offset:         24
        .size:           8
        .value_kind:     by_value
      - .address_space:  global
        .offset:         32
        .size:           8
        .value_kind:     global_buffer
      - .offset:         40
        .size:           8
        .value_kind:     by_value
      - .offset:         48
        .size:           8
        .value_kind:     by_value
      - .address_space:  global
        .offset:         56
        .size:           8
        .value_kind:     global_buffer
      - .offset:         64
        .size:           8
        .value_kind:     by_value
      - .offset:         72
        .size:           8
        .value_kind:     by_value
      - .offset:         80
        .size:           8
        .value_kind:     by_value
      - .address_space:  global
        .offset:         88
        .size:           8
        .value_kind:     global_buffer
      - .offset:         96
        .size:           8
        .value_kind:     by_value
      - .offset:         104
        .size:           8
        .value_kind:     by_value
      - .address_space:  global
        .offset:         112
        .size:           8
        .value_kind:     global_buffer
      - .offset:         120
        .size:           8
        .value_kind:     by_value
      - .offset:         128
        .size:           8
        .value_kind:     by_value
      - .offset:         136
        .size:           4
        .value_kind:     by_value
    .group_segment_fixed_size: 4096
    .kernarg_segment_align: 8
    .kernarg_segment_size: 140
    .language:       OpenCL C
    .language_version:
      - 2
      - 0
    .max_flat_workgroup_size: 256
    .name:           _ZN12_GLOBAL__N_127rocblas_gemm_batched_kernelI19rocblas_complex_numIfELi16ELi16ELi64ELi64ELi4ELi64ELi4ELi4ELi64ELc84ELc84EKPKS2_S5_KPS2_EEvlllT_PT11_llSA_llS8_PT12_llPT13_lli
    .private_segment_fixed_size: 0
    .sgpr_count:     46
    .sgpr_spill_count: 0
    .symbol:         _ZN12_GLOBAL__N_127rocblas_gemm_batched_kernelI19rocblas_complex_numIfELi16ELi16ELi64ELi64ELi4ELi64ELi4ELi4ELi64ELc84ELc84EKPKS2_S5_KPS2_EEvlllT_PT11_llSA_llS8_PT12_llPT13_lli.kd
    .uniform_work_group_size: 1
    .uses_dynamic_stack: false
    .vgpr_count:     188
    .vgpr_spill_count: 0
    .wavefront_size: 32
    .workgroup_processor_mode: 1
  - .args:
      - .offset:         0
        .size:           8
        .value_kind:     by_value
      - .offset:         8
        .size:           8
        .value_kind:     by_value
      - .offset:         16
        .size:           8
        .value_kind:     by_value
      - .offset:         24
        .size:           8
        .value_kind:     by_value
      - .address_space:  global
        .offset:         32
        .size:           8
        .value_kind:     global_buffer
      - .offset:         40
        .size:           8
        .value_kind:     by_value
      - .offset:         48
        .size:           8
        .value_kind:     by_value
      - .address_space:  global
        .offset:         56
        .size:           8
        .value_kind:     global_buffer
      - .offset:         64
        .size:           8
        .value_kind:     by_value
      - .offset:         72
        .size:           8
        .value_kind:     by_value
      - .offset:         80
        .size:           8
        .value_kind:     by_value
      - .address_space:  global
        .offset:         88
        .size:           8
        .value_kind:     global_buffer
      - .offset:         96
        .size:           8
        .value_kind:     by_value
      - .offset:         104
        .size:           8
        .value_kind:     by_value
      - .address_space:  global
        .offset:         112
        .size:           8
        .value_kind:     global_buffer
      - .offset:         120
        .size:           8
        .value_kind:     by_value
      - .offset:         128
        .size:           8
        .value_kind:     by_value
      - .offset:         136
        .size:           4
        .value_kind:     by_value
    .group_segment_fixed_size: 4096
    .kernarg_segment_align: 8
    .kernarg_segment_size: 140
    .language:       OpenCL C
    .language_version:
      - 2
      - 0
    .max_flat_workgroup_size: 256
    .name:           _ZN12_GLOBAL__N_127rocblas_gemm_batched_kernelI19rocblas_complex_numIfELi16ELi16ELi64ELi64ELi4ELi64ELi4ELi4ELi64ELc67ELc67EKPKS2_S5_KPS2_EEvlllT_PT11_llSA_llS8_PT12_llPT13_lli
    .private_segment_fixed_size: 0
    .sgpr_count:     46
    .sgpr_spill_count: 0
    .symbol:         _ZN12_GLOBAL__N_127rocblas_gemm_batched_kernelI19rocblas_complex_numIfELi16ELi16ELi64ELi64ELi4ELi64ELi4ELi4ELi64ELc67ELc67EKPKS2_S5_KPS2_EEvlllT_PT11_llSA_llS8_PT12_llPT13_lli.kd
    .uniform_work_group_size: 1
    .uses_dynamic_stack: false
    .vgpr_count:     188
    .vgpr_spill_count: 0
    .wavefront_size: 32
    .workgroup_processor_mode: 1
  - .args:
      - .offset:         0
        .size:           8
        .value_kind:     by_value
      - .offset:         8
        .size:           8
        .value_kind:     by_value
      - .offset:         16
        .size:           8
        .value_kind:     by_value
      - .offset:         24
        .size:           8
        .value_kind:     by_value
      - .address_space:  global
        .offset:         32
        .size:           8
        .value_kind:     global_buffer
      - .offset:         40
        .size:           8
        .value_kind:     by_value
      - .offset:         48
        .size:           8
        .value_kind:     by_value
      - .address_space:  global
        .offset:         56
        .size:           8
        .value_kind:     global_buffer
      - .offset:         64
        .size:           8
        .value_kind:     by_value
      - .offset:         72
        .size:           8
        .value_kind:     by_value
      - .offset:         80
        .size:           8
        .value_kind:     by_value
      - .address_space:  global
        .offset:         88
        .size:           8
        .value_kind:     global_buffer
      - .offset:         96
        .size:           8
        .value_kind:     by_value
      - .offset:         104
        .size:           8
        .value_kind:     by_value
      - .address_space:  global
        .offset:         112
        .size:           8
        .value_kind:     global_buffer
      - .offset:         120
        .size:           8
        .value_kind:     by_value
      - .offset:         128
        .size:           8
        .value_kind:     by_value
      - .offset:         136
        .size:           4
        .value_kind:     by_value
    .group_segment_fixed_size: 4096
    .kernarg_segment_align: 8
    .kernarg_segment_size: 140
    .language:       OpenCL C
    .language_version:
      - 2
      - 0
    .max_flat_workgroup_size: 256
    .name:           _ZN12_GLOBAL__N_127rocblas_gemm_batched_kernelI19rocblas_complex_numIfELi16ELi16ELi64ELi64ELi4ELi64ELi4ELi4ELi64ELc67ELc78EKPKS2_S5_KPS2_EEvlllT_PT11_llSA_llS8_PT12_llPT13_lli
    .private_segment_fixed_size: 0
    .sgpr_count:     46
    .sgpr_spill_count: 0
    .symbol:         _ZN12_GLOBAL__N_127rocblas_gemm_batched_kernelI19rocblas_complex_numIfELi16ELi16ELi64ELi64ELi4ELi64ELi4ELi4ELi64ELc67ELc78EKPKS2_S5_KPS2_EEvlllT_PT11_llSA_llS8_PT12_llPT13_lli.kd
    .uniform_work_group_size: 1
    .uses_dynamic_stack: false
    .vgpr_count:     188
    .vgpr_spill_count: 0
    .wavefront_size: 32
    .workgroup_processor_mode: 1
  - .args:
      - .offset:         0
        .size:           8
        .value_kind:     by_value
      - .offset:         8
        .size:           8
        .value_kind:     by_value
      - .offset:         16
        .size:           8
        .value_kind:     by_value
      - .offset:         24
        .size:           8
        .value_kind:     by_value
      - .address_space:  global
        .offset:         32
        .size:           8
        .value_kind:     global_buffer
      - .offset:         40
        .size:           8
        .value_kind:     by_value
      - .offset:         48
        .size:           8
        .value_kind:     by_value
      - .address_space:  global
        .offset:         56
        .size:           8
        .value_kind:     global_buffer
      - .offset:         64
        .size:           8
        .value_kind:     by_value
      - .offset:         72
        .size:           8
        .value_kind:     by_value
      - .offset:         80
        .size:           8
        .value_kind:     by_value
      - .address_space:  global
        .offset:         88
        .size:           8
        .value_kind:     global_buffer
      - .offset:         96
        .size:           8
        .value_kind:     by_value
      - .offset:         104
        .size:           8
        .value_kind:     by_value
      - .address_space:  global
        .offset:         112
        .size:           8
        .value_kind:     global_buffer
      - .offset:         120
        .size:           8
        .value_kind:     by_value
      - .offset:         128
        .size:           8
        .value_kind:     by_value
      - .offset:         136
        .size:           4
        .value_kind:     by_value
    .group_segment_fixed_size: 4096
    .kernarg_segment_align: 8
    .kernarg_segment_size: 140
    .language:       OpenCL C
    .language_version:
      - 2
      - 0
    .max_flat_workgroup_size: 256
    .name:           _ZN12_GLOBAL__N_127rocblas_gemm_batched_kernelI19rocblas_complex_numIfELi16ELi16ELi64ELi64ELi4ELi64ELi4ELi4ELi64ELc67ELc84EKPKS2_S5_KPS2_EEvlllT_PT11_llSA_llS8_PT12_llPT13_lli
    .private_segment_fixed_size: 0
    .sgpr_count:     46
    .sgpr_spill_count: 0
    .symbol:         _ZN12_GLOBAL__N_127rocblas_gemm_batched_kernelI19rocblas_complex_numIfELi16ELi16ELi64ELi64ELi4ELi64ELi4ELi4ELi64ELc67ELc84EKPKS2_S5_KPS2_EEvlllT_PT11_llSA_llS8_PT12_llPT13_lli.kd
    .uniform_work_group_size: 1
    .uses_dynamic_stack: false
    .vgpr_count:     188
    .vgpr_spill_count: 0
    .wavefront_size: 32
    .workgroup_processor_mode: 1
  - .args:
      - .offset:         0
        .size:           8
        .value_kind:     by_value
      - .offset:         8
        .size:           8
        .value_kind:     by_value
      - .offset:         16
        .size:           8
        .value_kind:     by_value
      - .offset:         24
        .size:           8
        .value_kind:     by_value
      - .address_space:  global
        .offset:         32
        .size:           8
        .value_kind:     global_buffer
      - .offset:         40
        .size:           8
        .value_kind:     by_value
      - .offset:         48
        .size:           8
        .value_kind:     by_value
      - .address_space:  global
        .offset:         56
        .size:           8
        .value_kind:     global_buffer
      - .offset:         64
        .size:           8
        .value_kind:     by_value
      - .offset:         72
        .size:           8
        .value_kind:     by_value
      - .offset:         80
        .size:           8
        .value_kind:     by_value
      - .address_space:  global
        .offset:         88
        .size:           8
        .value_kind:     global_buffer
      - .offset:         96
        .size:           8
        .value_kind:     by_value
      - .offset:         104
        .size:           8
        .value_kind:     by_value
      - .address_space:  global
        .offset:         112
        .size:           8
        .value_kind:     global_buffer
      - .offset:         120
        .size:           8
        .value_kind:     by_value
      - .offset:         128
        .size:           8
        .value_kind:     by_value
      - .offset:         136
        .size:           4
        .value_kind:     by_value
    .group_segment_fixed_size: 4096
    .kernarg_segment_align: 8
    .kernarg_segment_size: 140
    .language:       OpenCL C
    .language_version:
      - 2
      - 0
    .max_flat_workgroup_size: 256
    .name:           _ZN12_GLOBAL__N_127rocblas_gemm_batched_kernelI19rocblas_complex_numIfELi16ELi16ELi64ELi64ELi4ELi64ELi4ELi4ELi64ELc78ELc67EKPKS2_S5_KPS2_EEvlllT_PT11_llSA_llS8_PT12_llPT13_lli
    .private_segment_fixed_size: 0
    .sgpr_count:     46
    .sgpr_spill_count: 0
    .symbol:         _ZN12_GLOBAL__N_127rocblas_gemm_batched_kernelI19rocblas_complex_numIfELi16ELi16ELi64ELi64ELi4ELi64ELi4ELi4ELi64ELc78ELc67EKPKS2_S5_KPS2_EEvlllT_PT11_llSA_llS8_PT12_llPT13_lli.kd
    .uniform_work_group_size: 1
    .uses_dynamic_stack: false
    .vgpr_count:     188
    .vgpr_spill_count: 0
    .wavefront_size: 32
    .workgroup_processor_mode: 1
  - .args:
      - .offset:         0
        .size:           8
        .value_kind:     by_value
      - .offset:         8
        .size:           8
        .value_kind:     by_value
      - .offset:         16
        .size:           8
        .value_kind:     by_value
      - .offset:         24
        .size:           8
        .value_kind:     by_value
      - .address_space:  global
        .offset:         32
        .size:           8
        .value_kind:     global_buffer
      - .offset:         40
        .size:           8
        .value_kind:     by_value
      - .offset:         48
        .size:           8
        .value_kind:     by_value
      - .address_space:  global
        .offset:         56
        .size:           8
        .value_kind:     global_buffer
      - .offset:         64
        .size:           8
        .value_kind:     by_value
      - .offset:         72
        .size:           8
        .value_kind:     by_value
      - .offset:         80
        .size:           8
        .value_kind:     by_value
      - .address_space:  global
        .offset:         88
        .size:           8
        .value_kind:     global_buffer
      - .offset:         96
        .size:           8
        .value_kind:     by_value
      - .offset:         104
        .size:           8
        .value_kind:     by_value
      - .address_space:  global
        .offset:         112
        .size:           8
        .value_kind:     global_buffer
      - .offset:         120
        .size:           8
        .value_kind:     by_value
      - .offset:         128
        .size:           8
        .value_kind:     by_value
      - .offset:         136
        .size:           4
        .value_kind:     by_value
    .group_segment_fixed_size: 4096
    .kernarg_segment_align: 8
    .kernarg_segment_size: 140
    .language:       OpenCL C
    .language_version:
      - 2
      - 0
    .max_flat_workgroup_size: 256
    .name:           _ZN12_GLOBAL__N_127rocblas_gemm_batched_kernelI19rocblas_complex_numIfELi16ELi16ELi64ELi64ELi4ELi64ELi4ELi4ELi64ELc84ELc67EKPKS2_S5_KPS2_EEvlllT_PT11_llSA_llS8_PT12_llPT13_lli
    .private_segment_fixed_size: 0
    .sgpr_count:     46
    .sgpr_spill_count: 0
    .symbol:         _ZN12_GLOBAL__N_127rocblas_gemm_batched_kernelI19rocblas_complex_numIfELi16ELi16ELi64ELi64ELi4ELi64ELi4ELi4ELi64ELc84ELc67EKPKS2_S5_KPS2_EEvlllT_PT11_llSA_llS8_PT12_llPT13_lli.kd
    .uniform_work_group_size: 1
    .uses_dynamic_stack: false
    .vgpr_count:     188
    .vgpr_spill_count: 0
    .wavefront_size: 32
    .workgroup_processor_mode: 1
  - .args:
      - .offset:         0
        .size:           8
        .value_kind:     by_value
      - .offset:         8
        .size:           8
        .value_kind:     by_value
      - .offset:         16
        .size:           8
        .value_kind:     by_value
      - .offset:         24
        .size:           8
        .value_kind:     by_value
      - .address_space:  global
        .offset:         32
        .size:           8
        .value_kind:     global_buffer
      - .offset:         40
        .size:           8
        .value_kind:     by_value
      - .offset:         48
        .size:           8
        .value_kind:     by_value
      - .address_space:  global
        .offset:         56
        .size:           8
        .value_kind:     global_buffer
      - .offset:         64
        .size:           8
        .value_kind:     by_value
      - .offset:         72
        .size:           8
        .value_kind:     by_value
      - .offset:         80
        .size:           8
        .value_kind:     by_value
      - .address_space:  global
        .offset:         88
        .size:           8
        .value_kind:     global_buffer
      - .offset:         96
        .size:           8
        .value_kind:     by_value
      - .offset:         104
        .size:           8
        .value_kind:     by_value
      - .address_space:  global
        .offset:         112
        .size:           8
        .value_kind:     global_buffer
      - .offset:         120
        .size:           8
        .value_kind:     by_value
      - .offset:         128
        .size:           8
        .value_kind:     by_value
      - .offset:         136
        .size:           4
        .value_kind:     by_value
    .group_segment_fixed_size: 4096
    .kernarg_segment_align: 8
    .kernarg_segment_size: 140
    .language:       OpenCL C
    .language_version:
      - 2
      - 0
    .max_flat_workgroup_size: 256
    .name:           _ZN12_GLOBAL__N_127rocblas_gemm_batched_kernelI19rocblas_complex_numIfELi16ELi16ELi32ELi32ELi8ELi32ELi8ELi8ELi32ELc78ELc78EKPKS2_S5_KPS2_EEvlllT_PT11_llSA_llS8_PT12_llPT13_lli
    .private_segment_fixed_size: 0
    .sgpr_count:     46
    .sgpr_spill_count: 0
    .symbol:         _ZN12_GLOBAL__N_127rocblas_gemm_batched_kernelI19rocblas_complex_numIfELi16ELi16ELi32ELi32ELi8ELi32ELi8ELi8ELi32ELc78ELc78EKPKS2_S5_KPS2_EEvlllT_PT11_llSA_llS8_PT12_llPT13_lli.kd
    .uniform_work_group_size: 1
    .uses_dynamic_stack: false
    .vgpr_count:     92
    .vgpr_spill_count: 0
    .wavefront_size: 32
    .workgroup_processor_mode: 1
  - .args:
      - .offset:         0
        .size:           8
        .value_kind:     by_value
      - .offset:         8
        .size:           8
        .value_kind:     by_value
      - .offset:         16
        .size:           8
        .value_kind:     by_value
      - .offset:         24
        .size:           8
        .value_kind:     by_value
      - .address_space:  global
        .offset:         32
        .size:           8
        .value_kind:     global_buffer
      - .offset:         40
        .size:           8
        .value_kind:     by_value
      - .offset:         48
        .size:           8
        .value_kind:     by_value
      - .address_space:  global
        .offset:         56
        .size:           8
        .value_kind:     global_buffer
      - .offset:         64
        .size:           8
        .value_kind:     by_value
      - .offset:         72
        .size:           8
        .value_kind:     by_value
      - .offset:         80
        .size:           8
        .value_kind:     by_value
      - .address_space:  global
        .offset:         88
        .size:           8
        .value_kind:     global_buffer
      - .offset:         96
        .size:           8
        .value_kind:     by_value
      - .offset:         104
        .size:           8
        .value_kind:     by_value
      - .address_space:  global
        .offset:         112
        .size:           8
        .value_kind:     global_buffer
      - .offset:         120
        .size:           8
        .value_kind:     by_value
      - .offset:         128
        .size:           8
        .value_kind:     by_value
      - .offset:         136
        .size:           4
        .value_kind:     by_value
    .group_segment_fixed_size: 4096
    .kernarg_segment_align: 8
    .kernarg_segment_size: 140
    .language:       OpenCL C
    .language_version:
      - 2
      - 0
    .max_flat_workgroup_size: 256
    .name:           _ZN12_GLOBAL__N_127rocblas_gemm_batched_kernelI19rocblas_complex_numIfELi16ELi16ELi32ELi32ELi8ELi32ELi8ELi8ELi32ELc84ELc78EKPKS2_S5_KPS2_EEvlllT_PT11_llSA_llS8_PT12_llPT13_lli
    .private_segment_fixed_size: 0
    .sgpr_count:     46
    .sgpr_spill_count: 0
    .symbol:         _ZN12_GLOBAL__N_127rocblas_gemm_batched_kernelI19rocblas_complex_numIfELi16ELi16ELi32ELi32ELi8ELi32ELi8ELi8ELi32ELc84ELc78EKPKS2_S5_KPS2_EEvlllT_PT11_llSA_llS8_PT12_llPT13_lli.kd
    .uniform_work_group_size: 1
    .uses_dynamic_stack: false
    .vgpr_count:     92
    .vgpr_spill_count: 0
    .wavefront_size: 32
    .workgroup_processor_mode: 1
  - .args:
      - .offset:         0
        .size:           8
        .value_kind:     by_value
      - .offset:         8
        .size:           8
        .value_kind:     by_value
      - .offset:         16
        .size:           8
        .value_kind:     by_value
      - .offset:         24
        .size:           8
        .value_kind:     by_value
      - .address_space:  global
        .offset:         32
        .size:           8
        .value_kind:     global_buffer
      - .offset:         40
        .size:           8
        .value_kind:     by_value
      - .offset:         48
        .size:           8
        .value_kind:     by_value
      - .address_space:  global
        .offset:         56
        .size:           8
        .value_kind:     global_buffer
      - .offset:         64
        .size:           8
        .value_kind:     by_value
      - .offset:         72
        .size:           8
        .value_kind:     by_value
      - .offset:         80
        .size:           8
        .value_kind:     by_value
      - .address_space:  global
        .offset:         88
        .size:           8
        .value_kind:     global_buffer
      - .offset:         96
        .size:           8
        .value_kind:     by_value
      - .offset:         104
        .size:           8
        .value_kind:     by_value
      - .address_space:  global
        .offset:         112
        .size:           8
        .value_kind:     global_buffer
      - .offset:         120
        .size:           8
        .value_kind:     by_value
      - .offset:         128
        .size:           8
        .value_kind:     by_value
      - .offset:         136
        .size:           4
        .value_kind:     by_value
    .group_segment_fixed_size: 4096
    .kernarg_segment_align: 8
    .kernarg_segment_size: 140
    .language:       OpenCL C
    .language_version:
      - 2
      - 0
    .max_flat_workgroup_size: 256
    .name:           _ZN12_GLOBAL__N_127rocblas_gemm_batched_kernelI19rocblas_complex_numIfELi16ELi16ELi32ELi32ELi8ELi32ELi8ELi8ELi32ELc78ELc84EKPKS2_S5_KPS2_EEvlllT_PT11_llSA_llS8_PT12_llPT13_lli
    .private_segment_fixed_size: 0
    .sgpr_count:     46
    .sgpr_spill_count: 0
    .symbol:         _ZN12_GLOBAL__N_127rocblas_gemm_batched_kernelI19rocblas_complex_numIfELi16ELi16ELi32ELi32ELi8ELi32ELi8ELi8ELi32ELc78ELc84EKPKS2_S5_KPS2_EEvlllT_PT11_llSA_llS8_PT12_llPT13_lli.kd
    .uniform_work_group_size: 1
    .uses_dynamic_stack: false
    .vgpr_count:     92
    .vgpr_spill_count: 0
    .wavefront_size: 32
    .workgroup_processor_mode: 1
  - .args:
      - .offset:         0
        .size:           8
        .value_kind:     by_value
      - .offset:         8
        .size:           8
        .value_kind:     by_value
      - .offset:         16
        .size:           8
        .value_kind:     by_value
      - .offset:         24
        .size:           8
        .value_kind:     by_value
      - .address_space:  global
        .offset:         32
        .size:           8
        .value_kind:     global_buffer
      - .offset:         40
        .size:           8
        .value_kind:     by_value
      - .offset:         48
        .size:           8
        .value_kind:     by_value
      - .address_space:  global
        .offset:         56
        .size:           8
        .value_kind:     global_buffer
      - .offset:         64
        .size:           8
        .value_kind:     by_value
      - .offset:         72
        .size:           8
        .value_kind:     by_value
      - .offset:         80
        .size:           8
        .value_kind:     by_value
      - .address_space:  global
        .offset:         88
        .size:           8
        .value_kind:     global_buffer
      - .offset:         96
        .size:           8
        .value_kind:     by_value
      - .offset:         104
        .size:           8
        .value_kind:     by_value
      - .address_space:  global
        .offset:         112
        .size:           8
        .value_kind:     global_buffer
      - .offset:         120
        .size:           8
        .value_kind:     by_value
      - .offset:         128
        .size:           8
        .value_kind:     by_value
      - .offset:         136
        .size:           4
        .value_kind:     by_value
    .group_segment_fixed_size: 4096
    .kernarg_segment_align: 8
    .kernarg_segment_size: 140
    .language:       OpenCL C
    .language_version:
      - 2
      - 0
    .max_flat_workgroup_size: 256
    .name:           _ZN12_GLOBAL__N_127rocblas_gemm_batched_kernelI19rocblas_complex_numIfELi16ELi16ELi32ELi32ELi8ELi32ELi8ELi8ELi32ELc84ELc84EKPKS2_S5_KPS2_EEvlllT_PT11_llSA_llS8_PT12_llPT13_lli
    .private_segment_fixed_size: 0
    .sgpr_count:     46
    .sgpr_spill_count: 0
    .symbol:         _ZN12_GLOBAL__N_127rocblas_gemm_batched_kernelI19rocblas_complex_numIfELi16ELi16ELi32ELi32ELi8ELi32ELi8ELi8ELi32ELc84ELc84EKPKS2_S5_KPS2_EEvlllT_PT11_llSA_llS8_PT12_llPT13_lli.kd
    .uniform_work_group_size: 1
    .uses_dynamic_stack: false
    .vgpr_count:     92
    .vgpr_spill_count: 0
    .wavefront_size: 32
    .workgroup_processor_mode: 1
  - .args:
      - .offset:         0
        .size:           8
        .value_kind:     by_value
      - .offset:         8
        .size:           8
        .value_kind:     by_value
      - .offset:         16
        .size:           8
        .value_kind:     by_value
      - .offset:         24
        .size:           8
        .value_kind:     by_value
      - .address_space:  global
        .offset:         32
        .size:           8
        .value_kind:     global_buffer
      - .offset:         40
        .size:           8
        .value_kind:     by_value
      - .offset:         48
        .size:           8
        .value_kind:     by_value
      - .address_space:  global
        .offset:         56
        .size:           8
        .value_kind:     global_buffer
      - .offset:         64
        .size:           8
        .value_kind:     by_value
      - .offset:         72
        .size:           8
        .value_kind:     by_value
      - .offset:         80
        .size:           8
        .value_kind:     by_value
      - .address_space:  global
        .offset:         88
        .size:           8
        .value_kind:     global_buffer
      - .offset:         96
        .size:           8
        .value_kind:     by_value
      - .offset:         104
        .size:           8
        .value_kind:     by_value
      - .address_space:  global
        .offset:         112
        .size:           8
        .value_kind:     global_buffer
      - .offset:         120
        .size:           8
        .value_kind:     by_value
      - .offset:         128
        .size:           8
        .value_kind:     by_value
      - .offset:         136
        .size:           4
        .value_kind:     by_value
    .group_segment_fixed_size: 4096
    .kernarg_segment_align: 8
    .kernarg_segment_size: 140
    .language:       OpenCL C
    .language_version:
      - 2
      - 0
    .max_flat_workgroup_size: 256
    .name:           _ZN12_GLOBAL__N_127rocblas_gemm_batched_kernelI19rocblas_complex_numIfELi16ELi16ELi32ELi32ELi8ELi32ELi8ELi8ELi32ELc67ELc67EKPKS2_S5_KPS2_EEvlllT_PT11_llSA_llS8_PT12_llPT13_lli
    .private_segment_fixed_size: 0
    .sgpr_count:     46
    .sgpr_spill_count: 0
    .symbol:         _ZN12_GLOBAL__N_127rocblas_gemm_batched_kernelI19rocblas_complex_numIfELi16ELi16ELi32ELi32ELi8ELi32ELi8ELi8ELi32ELc67ELc67EKPKS2_S5_KPS2_EEvlllT_PT11_llSA_llS8_PT12_llPT13_lli.kd
    .uniform_work_group_size: 1
    .uses_dynamic_stack: false
    .vgpr_count:     92
    .vgpr_spill_count: 0
    .wavefront_size: 32
    .workgroup_processor_mode: 1
  - .args:
      - .offset:         0
        .size:           8
        .value_kind:     by_value
      - .offset:         8
        .size:           8
        .value_kind:     by_value
      - .offset:         16
        .size:           8
        .value_kind:     by_value
      - .offset:         24
        .size:           8
        .value_kind:     by_value
      - .address_space:  global
        .offset:         32
        .size:           8
        .value_kind:     global_buffer
      - .offset:         40
        .size:           8
        .value_kind:     by_value
      - .offset:         48
        .size:           8
        .value_kind:     by_value
      - .address_space:  global
        .offset:         56
        .size:           8
        .value_kind:     global_buffer
      - .offset:         64
        .size:           8
        .value_kind:     by_value
      - .offset:         72
        .size:           8
        .value_kind:     by_value
      - .offset:         80
        .size:           8
        .value_kind:     by_value
      - .address_space:  global
        .offset:         88
        .size:           8
        .value_kind:     global_buffer
      - .offset:         96
        .size:           8
        .value_kind:     by_value
      - .offset:         104
        .size:           8
        .value_kind:     by_value
      - .address_space:  global
        .offset:         112
        .size:           8
        .value_kind:     global_buffer
      - .offset:         120
        .size:           8
        .value_kind:     by_value
      - .offset:         128
        .size:           8
        .value_kind:     by_value
      - .offset:         136
        .size:           4
        .value_kind:     by_value
    .group_segment_fixed_size: 4096
    .kernarg_segment_align: 8
    .kernarg_segment_size: 140
    .language:       OpenCL C
    .language_version:
      - 2
      - 0
    .max_flat_workgroup_size: 256
    .name:           _ZN12_GLOBAL__N_127rocblas_gemm_batched_kernelI19rocblas_complex_numIfELi16ELi16ELi32ELi32ELi8ELi32ELi8ELi8ELi32ELc67ELc78EKPKS2_S5_KPS2_EEvlllT_PT11_llSA_llS8_PT12_llPT13_lli
    .private_segment_fixed_size: 0
    .sgpr_count:     46
    .sgpr_spill_count: 0
    .symbol:         _ZN12_GLOBAL__N_127rocblas_gemm_batched_kernelI19rocblas_complex_numIfELi16ELi16ELi32ELi32ELi8ELi32ELi8ELi8ELi32ELc67ELc78EKPKS2_S5_KPS2_EEvlllT_PT11_llSA_llS8_PT12_llPT13_lli.kd
    .uniform_work_group_size: 1
    .uses_dynamic_stack: false
    .vgpr_count:     92
    .vgpr_spill_count: 0
    .wavefront_size: 32
    .workgroup_processor_mode: 1
  - .args:
      - .offset:         0
        .size:           8
        .value_kind:     by_value
      - .offset:         8
        .size:           8
        .value_kind:     by_value
      - .offset:         16
        .size:           8
        .value_kind:     by_value
      - .offset:         24
        .size:           8
        .value_kind:     by_value
      - .address_space:  global
        .offset:         32
        .size:           8
        .value_kind:     global_buffer
      - .offset:         40
        .size:           8
        .value_kind:     by_value
      - .offset:         48
        .size:           8
        .value_kind:     by_value
      - .address_space:  global
        .offset:         56
        .size:           8
        .value_kind:     global_buffer
      - .offset:         64
        .size:           8
        .value_kind:     by_value
      - .offset:         72
        .size:           8
        .value_kind:     by_value
      - .offset:         80
        .size:           8
        .value_kind:     by_value
      - .address_space:  global
        .offset:         88
        .size:           8
        .value_kind:     global_buffer
      - .offset:         96
        .size:           8
        .value_kind:     by_value
      - .offset:         104
        .size:           8
        .value_kind:     by_value
      - .address_space:  global
        .offset:         112
        .size:           8
        .value_kind:     global_buffer
      - .offset:         120
        .size:           8
        .value_kind:     by_value
      - .offset:         128
        .size:           8
        .value_kind:     by_value
      - .offset:         136
        .size:           4
        .value_kind:     by_value
    .group_segment_fixed_size: 4096
    .kernarg_segment_align: 8
    .kernarg_segment_size: 140
    .language:       OpenCL C
    .language_version:
      - 2
      - 0
    .max_flat_workgroup_size: 256
    .name:           _ZN12_GLOBAL__N_127rocblas_gemm_batched_kernelI19rocblas_complex_numIfELi16ELi16ELi32ELi32ELi8ELi32ELi8ELi8ELi32ELc67ELc84EKPKS2_S5_KPS2_EEvlllT_PT11_llSA_llS8_PT12_llPT13_lli
    .private_segment_fixed_size: 0
    .sgpr_count:     46
    .sgpr_spill_count: 0
    .symbol:         _ZN12_GLOBAL__N_127rocblas_gemm_batched_kernelI19rocblas_complex_numIfELi16ELi16ELi32ELi32ELi8ELi32ELi8ELi8ELi32ELc67ELc84EKPKS2_S5_KPS2_EEvlllT_PT11_llSA_llS8_PT12_llPT13_lli.kd
    .uniform_work_group_size: 1
    .uses_dynamic_stack: false
    .vgpr_count:     92
    .vgpr_spill_count: 0
    .wavefront_size: 32
    .workgroup_processor_mode: 1
  - .args:
      - .offset:         0
        .size:           8
        .value_kind:     by_value
      - .offset:         8
        .size:           8
        .value_kind:     by_value
      - .offset:         16
        .size:           8
        .value_kind:     by_value
      - .offset:         24
        .size:           8
        .value_kind:     by_value
      - .address_space:  global
        .offset:         32
        .size:           8
        .value_kind:     global_buffer
      - .offset:         40
        .size:           8
        .value_kind:     by_value
      - .offset:         48
        .size:           8
        .value_kind:     by_value
      - .address_space:  global
        .offset:         56
        .size:           8
        .value_kind:     global_buffer
      - .offset:         64
        .size:           8
        .value_kind:     by_value
      - .offset:         72
        .size:           8
        .value_kind:     by_value
      - .offset:         80
        .size:           8
        .value_kind:     by_value
      - .address_space:  global
        .offset:         88
        .size:           8
        .value_kind:     global_buffer
      - .offset:         96
        .size:           8
        .value_kind:     by_value
      - .offset:         104
        .size:           8
        .value_kind:     by_value
      - .address_space:  global
        .offset:         112
        .size:           8
        .value_kind:     global_buffer
      - .offset:         120
        .size:           8
        .value_kind:     by_value
      - .offset:         128
        .size:           8
        .value_kind:     by_value
      - .offset:         136
        .size:           4
        .value_kind:     by_value
    .group_segment_fixed_size: 4096
    .kernarg_segment_align: 8
    .kernarg_segment_size: 140
    .language:       OpenCL C
    .language_version:
      - 2
      - 0
    .max_flat_workgroup_size: 256
    .name:           _ZN12_GLOBAL__N_127rocblas_gemm_batched_kernelI19rocblas_complex_numIfELi16ELi16ELi32ELi32ELi8ELi32ELi8ELi8ELi32ELc78ELc67EKPKS2_S5_KPS2_EEvlllT_PT11_llSA_llS8_PT12_llPT13_lli
    .private_segment_fixed_size: 0
    .sgpr_count:     46
    .sgpr_spill_count: 0
    .symbol:         _ZN12_GLOBAL__N_127rocblas_gemm_batched_kernelI19rocblas_complex_numIfELi16ELi16ELi32ELi32ELi8ELi32ELi8ELi8ELi32ELc78ELc67EKPKS2_S5_KPS2_EEvlllT_PT11_llSA_llS8_PT12_llPT13_lli.kd
    .uniform_work_group_size: 1
    .uses_dynamic_stack: false
    .vgpr_count:     92
    .vgpr_spill_count: 0
    .wavefront_size: 32
    .workgroup_processor_mode: 1
  - .args:
      - .offset:         0
        .size:           8
        .value_kind:     by_value
      - .offset:         8
        .size:           8
        .value_kind:     by_value
      - .offset:         16
        .size:           8
        .value_kind:     by_value
      - .offset:         24
        .size:           8
        .value_kind:     by_value
      - .address_space:  global
        .offset:         32
        .size:           8
        .value_kind:     global_buffer
      - .offset:         40
        .size:           8
        .value_kind:     by_value
      - .offset:         48
        .size:           8
        .value_kind:     by_value
      - .address_space:  global
        .offset:         56
        .size:           8
        .value_kind:     global_buffer
      - .offset:         64
        .size:           8
        .value_kind:     by_value
      - .offset:         72
        .size:           8
        .value_kind:     by_value
      - .offset:         80
        .size:           8
        .value_kind:     by_value
      - .address_space:  global
        .offset:         88
        .size:           8
        .value_kind:     global_buffer
      - .offset:         96
        .size:           8
        .value_kind:     by_value
      - .offset:         104
        .size:           8
        .value_kind:     by_value
      - .address_space:  global
        .offset:         112
        .size:           8
        .value_kind:     global_buffer
      - .offset:         120
        .size:           8
        .value_kind:     by_value
      - .offset:         128
        .size:           8
        .value_kind:     by_value
      - .offset:         136
        .size:           4
        .value_kind:     by_value
    .group_segment_fixed_size: 4096
    .kernarg_segment_align: 8
    .kernarg_segment_size: 140
    .language:       OpenCL C
    .language_version:
      - 2
      - 0
    .max_flat_workgroup_size: 256
    .name:           _ZN12_GLOBAL__N_127rocblas_gemm_batched_kernelI19rocblas_complex_numIfELi16ELi16ELi32ELi32ELi8ELi32ELi8ELi8ELi32ELc84ELc67EKPKS2_S5_KPS2_EEvlllT_PT11_llSA_llS8_PT12_llPT13_lli
    .private_segment_fixed_size: 0
    .sgpr_count:     46
    .sgpr_spill_count: 0
    .symbol:         _ZN12_GLOBAL__N_127rocblas_gemm_batched_kernelI19rocblas_complex_numIfELi16ELi16ELi32ELi32ELi8ELi32ELi8ELi8ELi32ELc84ELc67EKPKS2_S5_KPS2_EEvlllT_PT11_llSA_llS8_PT12_llPT13_lli.kd
    .uniform_work_group_size: 1
    .uses_dynamic_stack: false
    .vgpr_count:     92
    .vgpr_spill_count: 0
    .wavefront_size: 32
    .workgroup_processor_mode: 1
  - .args:
      - .offset:         0
        .size:           8
        .value_kind:     by_value
      - .offset:         8
        .size:           8
        .value_kind:     by_value
      - .offset:         16
        .size:           8
        .value_kind:     by_value
      - .offset:         24
        .size:           8
        .value_kind:     by_value
      - .address_space:  global
        .offset:         32
        .size:           8
        .value_kind:     global_buffer
      - .offset:         40
        .size:           8
        .value_kind:     by_value
      - .offset:         48
        .size:           8
        .value_kind:     by_value
      - .address_space:  global
        .offset:         56
        .size:           8
        .value_kind:     global_buffer
      - .offset:         64
        .size:           8
        .value_kind:     by_value
      - .offset:         72
        .size:           8
        .value_kind:     by_value
      - .offset:         80
        .size:           8
        .value_kind:     by_value
      - .address_space:  global
        .offset:         88
        .size:           8
        .value_kind:     global_buffer
      - .offset:         96
        .size:           8
        .value_kind:     by_value
      - .offset:         104
        .size:           8
        .value_kind:     by_value
      - .address_space:  global
        .offset:         112
        .size:           8
        .value_kind:     global_buffer
      - .offset:         120
        .size:           8
        .value_kind:     by_value
      - .offset:         128
        .size:           8
        .value_kind:     by_value
      - .offset:         136
        .size:           4
        .value_kind:     by_value
    .group_segment_fixed_size: 4096
    .kernarg_segment_align: 8
    .kernarg_segment_size: 140
    .language:       OpenCL C
    .language_version:
      - 2
      - 0
    .max_flat_workgroup_size: 256
    .name:           _ZN12_GLOBAL__N_135rocblas_gemm_batched_general_kernelI19rocblas_complex_numIfELi16ELi16ELi32ELi32ELi8ELi32ELi8ELi8ELi32ELc78ELc78EKPKS2_S5_KPS2_EEvlllT_PT11_llSA_llS8_PT12_llPT13_lli
    .private_segment_fixed_size: 0
    .sgpr_count:     48
    .sgpr_spill_count: 0
    .symbol:         _ZN12_GLOBAL__N_135rocblas_gemm_batched_general_kernelI19rocblas_complex_numIfELi16ELi16ELi32ELi32ELi8ELi32ELi8ELi8ELi32ELc78ELc78EKPKS2_S5_KPS2_EEvlllT_PT11_llSA_llS8_PT12_llPT13_lli.kd
    .uniform_work_group_size: 1
    .uses_dynamic_stack: false
    .vgpr_count:     59
    .vgpr_spill_count: 0
    .wavefront_size: 32
    .workgroup_processor_mode: 1
  - .args:
      - .offset:         0
        .size:           8
        .value_kind:     by_value
      - .offset:         8
        .size:           8
        .value_kind:     by_value
      - .offset:         16
        .size:           8
        .value_kind:     by_value
      - .offset:         24
        .size:           8
        .value_kind:     by_value
      - .address_space:  global
        .offset:         32
        .size:           8
        .value_kind:     global_buffer
      - .offset:         40
        .size:           8
        .value_kind:     by_value
      - .offset:         48
        .size:           8
        .value_kind:     by_value
      - .address_space:  global
        .offset:         56
        .size:           8
        .value_kind:     global_buffer
      - .offset:         64
        .size:           8
        .value_kind:     by_value
      - .offset:         72
        .size:           8
        .value_kind:     by_value
      - .offset:         80
        .size:           8
        .value_kind:     by_value
      - .address_space:  global
        .offset:         88
        .size:           8
        .value_kind:     global_buffer
      - .offset:         96
        .size:           8
        .value_kind:     by_value
      - .offset:         104
        .size:           8
        .value_kind:     by_value
      - .address_space:  global
        .offset:         112
        .size:           8
        .value_kind:     global_buffer
      - .offset:         120
        .size:           8
        .value_kind:     by_value
      - .offset:         128
        .size:           8
        .value_kind:     by_value
      - .offset:         136
        .size:           4
        .value_kind:     by_value
    .group_segment_fixed_size: 4096
    .kernarg_segment_align: 8
    .kernarg_segment_size: 140
    .language:       OpenCL C
    .language_version:
      - 2
      - 0
    .max_flat_workgroup_size: 256
    .name:           _ZN12_GLOBAL__N_135rocblas_gemm_batched_general_kernelI19rocblas_complex_numIfELi16ELi16ELi32ELi32ELi8ELi32ELi8ELi8ELi32ELc84ELc78EKPKS2_S5_KPS2_EEvlllT_PT11_llSA_llS8_PT12_llPT13_lli
    .private_segment_fixed_size: 0
    .sgpr_count:     48
    .sgpr_spill_count: 0
    .symbol:         _ZN12_GLOBAL__N_135rocblas_gemm_batched_general_kernelI19rocblas_complex_numIfELi16ELi16ELi32ELi32ELi8ELi32ELi8ELi8ELi32ELc84ELc78EKPKS2_S5_KPS2_EEvlllT_PT11_llSA_llS8_PT12_llPT13_lli.kd
    .uniform_work_group_size: 1
    .uses_dynamic_stack: false
    .vgpr_count:     59
    .vgpr_spill_count: 0
    .wavefront_size: 32
    .workgroup_processor_mode: 1
  - .args:
      - .offset:         0
        .size:           8
        .value_kind:     by_value
      - .offset:         8
        .size:           8
        .value_kind:     by_value
      - .offset:         16
        .size:           8
        .value_kind:     by_value
      - .offset:         24
        .size:           8
        .value_kind:     by_value
      - .address_space:  global
        .offset:         32
        .size:           8
        .value_kind:     global_buffer
      - .offset:         40
        .size:           8
        .value_kind:     by_value
      - .offset:         48
        .size:           8
        .value_kind:     by_value
      - .address_space:  global
        .offset:         56
        .size:           8
        .value_kind:     global_buffer
      - .offset:         64
        .size:           8
        .value_kind:     by_value
      - .offset:         72
        .size:           8
        .value_kind:     by_value
      - .offset:         80
        .size:           8
        .value_kind:     by_value
      - .address_space:  global
        .offset:         88
        .size:           8
        .value_kind:     global_buffer
      - .offset:         96
        .size:           8
        .value_kind:     by_value
      - .offset:         104
        .size:           8
        .value_kind:     by_value
      - .address_space:  global
        .offset:         112
        .size:           8
        .value_kind:     global_buffer
      - .offset:         120
        .size:           8
        .value_kind:     by_value
      - .offset:         128
        .size:           8
        .value_kind:     by_value
      - .offset:         136
        .size:           4
        .value_kind:     by_value
    .group_segment_fixed_size: 4096
    .kernarg_segment_align: 8
    .kernarg_segment_size: 140
    .language:       OpenCL C
    .language_version:
      - 2
      - 0
    .max_flat_workgroup_size: 256
    .name:           _ZN12_GLOBAL__N_135rocblas_gemm_batched_general_kernelI19rocblas_complex_numIfELi16ELi16ELi32ELi32ELi8ELi32ELi8ELi8ELi32ELc78ELc84EKPKS2_S5_KPS2_EEvlllT_PT11_llSA_llS8_PT12_llPT13_lli
    .private_segment_fixed_size: 0
    .sgpr_count:     50
    .sgpr_spill_count: 0
    .symbol:         _ZN12_GLOBAL__N_135rocblas_gemm_batched_general_kernelI19rocblas_complex_numIfELi16ELi16ELi32ELi32ELi8ELi32ELi8ELi8ELi32ELc78ELc84EKPKS2_S5_KPS2_EEvlllT_PT11_llSA_llS8_PT12_llPT13_lli.kd
    .uniform_work_group_size: 1
    .uses_dynamic_stack: false
    .vgpr_count:     59
    .vgpr_spill_count: 0
    .wavefront_size: 32
    .workgroup_processor_mode: 1
  - .args:
      - .offset:         0
        .size:           8
        .value_kind:     by_value
      - .offset:         8
        .size:           8
        .value_kind:     by_value
      - .offset:         16
        .size:           8
        .value_kind:     by_value
      - .offset:         24
        .size:           8
        .value_kind:     by_value
      - .address_space:  global
        .offset:         32
        .size:           8
        .value_kind:     global_buffer
      - .offset:         40
        .size:           8
        .value_kind:     by_value
      - .offset:         48
        .size:           8
        .value_kind:     by_value
      - .address_space:  global
        .offset:         56
        .size:           8
        .value_kind:     global_buffer
      - .offset:         64
        .size:           8
        .value_kind:     by_value
      - .offset:         72
        .size:           8
        .value_kind:     by_value
      - .offset:         80
        .size:           8
        .value_kind:     by_value
      - .address_space:  global
        .offset:         88
        .size:           8
        .value_kind:     global_buffer
      - .offset:         96
        .size:           8
        .value_kind:     by_value
      - .offset:         104
        .size:           8
        .value_kind:     by_value
      - .address_space:  global
        .offset:         112
        .size:           8
        .value_kind:     global_buffer
      - .offset:         120
        .size:           8
        .value_kind:     by_value
      - .offset:         128
        .size:           8
        .value_kind:     by_value
      - .offset:         136
        .size:           4
        .value_kind:     by_value
    .group_segment_fixed_size: 4096
    .kernarg_segment_align: 8
    .kernarg_segment_size: 140
    .language:       OpenCL C
    .language_version:
      - 2
      - 0
    .max_flat_workgroup_size: 256
    .name:           _ZN12_GLOBAL__N_135rocblas_gemm_batched_general_kernelI19rocblas_complex_numIfELi16ELi16ELi32ELi32ELi8ELi32ELi8ELi8ELi32ELc84ELc84EKPKS2_S5_KPS2_EEvlllT_PT11_llSA_llS8_PT12_llPT13_lli
    .private_segment_fixed_size: 0
    .sgpr_count:     48
    .sgpr_spill_count: 0
    .symbol:         _ZN12_GLOBAL__N_135rocblas_gemm_batched_general_kernelI19rocblas_complex_numIfELi16ELi16ELi32ELi32ELi8ELi32ELi8ELi8ELi32ELc84ELc84EKPKS2_S5_KPS2_EEvlllT_PT11_llSA_llS8_PT12_llPT13_lli.kd
    .uniform_work_group_size: 1
    .uses_dynamic_stack: false
    .vgpr_count:     59
    .vgpr_spill_count: 0
    .wavefront_size: 32
    .workgroup_processor_mode: 1
  - .args:
      - .offset:         0
        .size:           8
        .value_kind:     by_value
      - .offset:         8
        .size:           8
        .value_kind:     by_value
      - .offset:         16
        .size:           8
        .value_kind:     by_value
      - .offset:         24
        .size:           8
        .value_kind:     by_value
      - .address_space:  global
        .offset:         32
        .size:           8
        .value_kind:     global_buffer
      - .offset:         40
        .size:           8
        .value_kind:     by_value
      - .offset:         48
        .size:           8
        .value_kind:     by_value
      - .address_space:  global
        .offset:         56
        .size:           8
        .value_kind:     global_buffer
      - .offset:         64
        .size:           8
        .value_kind:     by_value
      - .offset:         72
        .size:           8
        .value_kind:     by_value
      - .offset:         80
        .size:           8
        .value_kind:     by_value
      - .address_space:  global
        .offset:         88
        .size:           8
        .value_kind:     global_buffer
      - .offset:         96
        .size:           8
        .value_kind:     by_value
      - .offset:         104
        .size:           8
        .value_kind:     by_value
      - .address_space:  global
        .offset:         112
        .size:           8
        .value_kind:     global_buffer
      - .offset:         120
        .size:           8
        .value_kind:     by_value
      - .offset:         128
        .size:           8
        .value_kind:     by_value
      - .offset:         136
        .size:           4
        .value_kind:     by_value
    .group_segment_fixed_size: 4096
    .kernarg_segment_align: 8
    .kernarg_segment_size: 140
    .language:       OpenCL C
    .language_version:
      - 2
      - 0
    .max_flat_workgroup_size: 256
    .name:           _ZN12_GLOBAL__N_135rocblas_gemm_batched_general_kernelI19rocblas_complex_numIfELi16ELi16ELi32ELi32ELi8ELi32ELi8ELi8ELi32ELc67ELc67EKPKS2_S5_KPS2_EEvlllT_PT11_llSA_llS8_PT12_llPT13_lli
    .private_segment_fixed_size: 0
    .sgpr_count:     48
    .sgpr_spill_count: 0
    .symbol:         _ZN12_GLOBAL__N_135rocblas_gemm_batched_general_kernelI19rocblas_complex_numIfELi16ELi16ELi32ELi32ELi8ELi32ELi8ELi8ELi32ELc67ELc67EKPKS2_S5_KPS2_EEvlllT_PT11_llSA_llS8_PT12_llPT13_lli.kd
    .uniform_work_group_size: 1
    .uses_dynamic_stack: false
    .vgpr_count:     59
    .vgpr_spill_count: 0
    .wavefront_size: 32
    .workgroup_processor_mode: 1
  - .args:
      - .offset:         0
        .size:           8
        .value_kind:     by_value
      - .offset:         8
        .size:           8
        .value_kind:     by_value
      - .offset:         16
        .size:           8
        .value_kind:     by_value
      - .offset:         24
        .size:           8
        .value_kind:     by_value
      - .address_space:  global
        .offset:         32
        .size:           8
        .value_kind:     global_buffer
      - .offset:         40
        .size:           8
        .value_kind:     by_value
      - .offset:         48
        .size:           8
        .value_kind:     by_value
      - .address_space:  global
        .offset:         56
        .size:           8
        .value_kind:     global_buffer
      - .offset:         64
        .size:           8
        .value_kind:     by_value
      - .offset:         72
        .size:           8
        .value_kind:     by_value
      - .offset:         80
        .size:           8
        .value_kind:     by_value
      - .address_space:  global
        .offset:         88
        .size:           8
        .value_kind:     global_buffer
      - .offset:         96
        .size:           8
        .value_kind:     by_value
      - .offset:         104
        .size:           8
        .value_kind:     by_value
      - .address_space:  global
        .offset:         112
        .size:           8
        .value_kind:     global_buffer
      - .offset:         120
        .size:           8
        .value_kind:     by_value
      - .offset:         128
        .size:           8
        .value_kind:     by_value
      - .offset:         136
        .size:           4
        .value_kind:     by_value
    .group_segment_fixed_size: 4096
    .kernarg_segment_align: 8
    .kernarg_segment_size: 140
    .language:       OpenCL C
    .language_version:
      - 2
      - 0
    .max_flat_workgroup_size: 256
    .name:           _ZN12_GLOBAL__N_135rocblas_gemm_batched_general_kernelI19rocblas_complex_numIfELi16ELi16ELi32ELi32ELi8ELi32ELi8ELi8ELi32ELc67ELc78EKPKS2_S5_KPS2_EEvlllT_PT11_llSA_llS8_PT12_llPT13_lli
    .private_segment_fixed_size: 0
    .sgpr_count:     48
    .sgpr_spill_count: 0
    .symbol:         _ZN12_GLOBAL__N_135rocblas_gemm_batched_general_kernelI19rocblas_complex_numIfELi16ELi16ELi32ELi32ELi8ELi32ELi8ELi8ELi32ELc67ELc78EKPKS2_S5_KPS2_EEvlllT_PT11_llSA_llS8_PT12_llPT13_lli.kd
    .uniform_work_group_size: 1
    .uses_dynamic_stack: false
    .vgpr_count:     59
    .vgpr_spill_count: 0
    .wavefront_size: 32
    .workgroup_processor_mode: 1
  - .args:
      - .offset:         0
        .size:           8
        .value_kind:     by_value
      - .offset:         8
        .size:           8
        .value_kind:     by_value
      - .offset:         16
        .size:           8
        .value_kind:     by_value
      - .offset:         24
        .size:           8
        .value_kind:     by_value
      - .address_space:  global
        .offset:         32
        .size:           8
        .value_kind:     global_buffer
      - .offset:         40
        .size:           8
        .value_kind:     by_value
      - .offset:         48
        .size:           8
        .value_kind:     by_value
      - .address_space:  global
        .offset:         56
        .size:           8
        .value_kind:     global_buffer
      - .offset:         64
        .size:           8
        .value_kind:     by_value
      - .offset:         72
        .size:           8
        .value_kind:     by_value
      - .offset:         80
        .size:           8
        .value_kind:     by_value
      - .address_space:  global
        .offset:         88
        .size:           8
        .value_kind:     global_buffer
      - .offset:         96
        .size:           8
        .value_kind:     by_value
      - .offset:         104
        .size:           8
        .value_kind:     by_value
      - .address_space:  global
        .offset:         112
        .size:           8
        .value_kind:     global_buffer
      - .offset:         120
        .size:           8
        .value_kind:     by_value
      - .offset:         128
        .size:           8
        .value_kind:     by_value
      - .offset:         136
        .size:           4
        .value_kind:     by_value
    .group_segment_fixed_size: 4096
    .kernarg_segment_align: 8
    .kernarg_segment_size: 140
    .language:       OpenCL C
    .language_version:
      - 2
      - 0
    .max_flat_workgroup_size: 256
    .name:           _ZN12_GLOBAL__N_135rocblas_gemm_batched_general_kernelI19rocblas_complex_numIfELi16ELi16ELi32ELi32ELi8ELi32ELi8ELi8ELi32ELc67ELc84EKPKS2_S5_KPS2_EEvlllT_PT11_llSA_llS8_PT12_llPT13_lli
    .private_segment_fixed_size: 0
    .sgpr_count:     48
    .sgpr_spill_count: 0
    .symbol:         _ZN12_GLOBAL__N_135rocblas_gemm_batched_general_kernelI19rocblas_complex_numIfELi16ELi16ELi32ELi32ELi8ELi32ELi8ELi8ELi32ELc67ELc84EKPKS2_S5_KPS2_EEvlllT_PT11_llSA_llS8_PT12_llPT13_lli.kd
    .uniform_work_group_size: 1
    .uses_dynamic_stack: false
    .vgpr_count:     59
    .vgpr_spill_count: 0
    .wavefront_size: 32
    .workgroup_processor_mode: 1
  - .args:
      - .offset:         0
        .size:           8
        .value_kind:     by_value
      - .offset:         8
        .size:           8
        .value_kind:     by_value
      - .offset:         16
        .size:           8
        .value_kind:     by_value
      - .offset:         24
        .size:           8
        .value_kind:     by_value
      - .address_space:  global
        .offset:         32
        .size:           8
        .value_kind:     global_buffer
      - .offset:         40
        .size:           8
        .value_kind:     by_value
      - .offset:         48
        .size:           8
        .value_kind:     by_value
      - .address_space:  global
        .offset:         56
        .size:           8
        .value_kind:     global_buffer
      - .offset:         64
        .size:           8
        .value_kind:     by_value
      - .offset:         72
        .size:           8
        .value_kind:     by_value
      - .offset:         80
        .size:           8
        .value_kind:     by_value
      - .address_space:  global
        .offset:         88
        .size:           8
        .value_kind:     global_buffer
      - .offset:         96
        .size:           8
        .value_kind:     by_value
      - .offset:         104
        .size:           8
        .value_kind:     by_value
      - .address_space:  global
        .offset:         112
        .size:           8
        .value_kind:     global_buffer
      - .offset:         120
        .size:           8
        .value_kind:     by_value
      - .offset:         128
        .size:           8
        .value_kind:     by_value
      - .offset:         136
        .size:           4
        .value_kind:     by_value
    .group_segment_fixed_size: 4096
    .kernarg_segment_align: 8
    .kernarg_segment_size: 140
    .language:       OpenCL C
    .language_version:
      - 2
      - 0
    .max_flat_workgroup_size: 256
    .name:           _ZN12_GLOBAL__N_135rocblas_gemm_batched_general_kernelI19rocblas_complex_numIfELi16ELi16ELi32ELi32ELi8ELi32ELi8ELi8ELi32ELc78ELc67EKPKS2_S5_KPS2_EEvlllT_PT11_llSA_llS8_PT12_llPT13_lli
    .private_segment_fixed_size: 0
    .sgpr_count:     50
    .sgpr_spill_count: 0
    .symbol:         _ZN12_GLOBAL__N_135rocblas_gemm_batched_general_kernelI19rocblas_complex_numIfELi16ELi16ELi32ELi32ELi8ELi32ELi8ELi8ELi32ELc78ELc67EKPKS2_S5_KPS2_EEvlllT_PT11_llSA_llS8_PT12_llPT13_lli.kd
    .uniform_work_group_size: 1
    .uses_dynamic_stack: false
    .vgpr_count:     59
    .vgpr_spill_count: 0
    .wavefront_size: 32
    .workgroup_processor_mode: 1
  - .args:
      - .offset:         0
        .size:           8
        .value_kind:     by_value
      - .offset:         8
        .size:           8
        .value_kind:     by_value
      - .offset:         16
        .size:           8
        .value_kind:     by_value
      - .offset:         24
        .size:           8
        .value_kind:     by_value
      - .address_space:  global
        .offset:         32
        .size:           8
        .value_kind:     global_buffer
      - .offset:         40
        .size:           8
        .value_kind:     by_value
      - .offset:         48
        .size:           8
        .value_kind:     by_value
      - .address_space:  global
        .offset:         56
        .size:           8
        .value_kind:     global_buffer
      - .offset:         64
        .size:           8
        .value_kind:     by_value
      - .offset:         72
        .size:           8
        .value_kind:     by_value
      - .offset:         80
        .size:           8
        .value_kind:     by_value
      - .address_space:  global
        .offset:         88
        .size:           8
        .value_kind:     global_buffer
      - .offset:         96
        .size:           8
        .value_kind:     by_value
      - .offset:         104
        .size:           8
        .value_kind:     by_value
      - .address_space:  global
        .offset:         112
        .size:           8
        .value_kind:     global_buffer
      - .offset:         120
        .size:           8
        .value_kind:     by_value
      - .offset:         128
        .size:           8
        .value_kind:     by_value
      - .offset:         136
        .size:           4
        .value_kind:     by_value
    .group_segment_fixed_size: 4096
    .kernarg_segment_align: 8
    .kernarg_segment_size: 140
    .language:       OpenCL C
    .language_version:
      - 2
      - 0
    .max_flat_workgroup_size: 256
    .name:           _ZN12_GLOBAL__N_135rocblas_gemm_batched_general_kernelI19rocblas_complex_numIfELi16ELi16ELi32ELi32ELi8ELi32ELi8ELi8ELi32ELc84ELc67EKPKS2_S5_KPS2_EEvlllT_PT11_llSA_llS8_PT12_llPT13_lli
    .private_segment_fixed_size: 0
    .sgpr_count:     48
    .sgpr_spill_count: 0
    .symbol:         _ZN12_GLOBAL__N_135rocblas_gemm_batched_general_kernelI19rocblas_complex_numIfELi16ELi16ELi32ELi32ELi8ELi32ELi8ELi8ELi32ELc84ELc67EKPKS2_S5_KPS2_EEvlllT_PT11_llSA_llS8_PT12_llPT13_lli.kd
    .uniform_work_group_size: 1
    .uses_dynamic_stack: false
    .vgpr_count:     59
    .vgpr_spill_count: 0
    .wavefront_size: 32
    .workgroup_processor_mode: 1
  - .args:
      - .offset:         0
        .size:           4
        .value_kind:     by_value
      - .offset:         4
        .size:           4
        .value_kind:     by_value
      - .offset:         8
        .size:           16
        .value_kind:     by_value
      - .address_space:  global
        .offset:         24
        .size:           8
        .value_kind:     global_buffer
      - .offset:         32
        .size:           8
        .value_kind:     by_value
      - .offset:         40
        .size:           8
        .value_kind:     by_value
      - .offset:         48
        .size:           8
        .value_kind:     by_value
      - .offset:         56
        .size:           4
        .value_kind:     by_value
    .group_segment_fixed_size: 0
    .kernarg_segment_align: 8
    .kernarg_segment_size: 60
    .language:       OpenCL C
    .language_version:
      - 2
      - 0
    .max_flat_workgroup_size: 1024
    .name:           _ZN12_GLOBAL__N_125rocblas_gemm_scale_kernelILi32ELi32E19rocblas_complex_numIdEPKPS2_EEviiT1_T2_llli
    .private_segment_fixed_size: 0
    .sgpr_count:     22
    .sgpr_spill_count: 0
    .symbol:         _ZN12_GLOBAL__N_125rocblas_gemm_scale_kernelILi32ELi32E19rocblas_complex_numIdEPKPS2_EEviiT1_T2_llli.kd
    .uniform_work_group_size: 1
    .uses_dynamic_stack: false
    .vgpr_count:     12
    .vgpr_spill_count: 0
    .wavefront_size: 32
    .workgroup_processor_mode: 1
  - .args:
      - .offset:         0
        .size:           4
        .value_kind:     by_value
      - .offset:         4
        .size:           4
        .value_kind:     by_value
      - .offset:         8
        .size:           16
        .value_kind:     by_value
      - .address_space:  global
        .offset:         24
        .size:           8
        .value_kind:     global_buffer
      - .offset:         32
        .size:           8
        .value_kind:     by_value
      - .offset:         40
        .size:           8
        .value_kind:     by_value
      - .offset:         48
        .size:           8
        .value_kind:     by_value
      - .address_space:  global
        .offset:         56
        .size:           8
        .value_kind:     global_buffer
      - .offset:         64
        .size:           8
        .value_kind:     by_value
      - .offset:         72
        .size:           8
        .value_kind:     by_value
      - .offset:         80
        .size:           8
        .value_kind:     by_value
      - .offset:         88
        .size:           4
        .value_kind:     by_value
    .group_segment_fixed_size: 0
    .kernarg_segment_align: 8
    .kernarg_segment_size: 92
    .language:       OpenCL C
    .language_version:
      - 2
      - 0
    .max_flat_workgroup_size: 1024
    .name:           _ZN12_GLOBAL__N_120gemm_ex_scale_kernelILi32ELi32E19rocblas_complex_numIdEPKPKS2_PKPS2_EEviiT1_T2_lllT3_llli
    .private_segment_fixed_size: 0
    .sgpr_count:     25
    .sgpr_spill_count: 0
    .symbol:         _ZN12_GLOBAL__N_120gemm_ex_scale_kernelILi32ELi32E19rocblas_complex_numIdEPKPKS2_PKPS2_EEviiT1_T2_lllT3_llli.kd
    .uniform_work_group_size: 1
    .uses_dynamic_stack: false
    .vgpr_count:     11
    .vgpr_spill_count: 0
    .wavefront_size: 32
    .workgroup_processor_mode: 1
  - .args:
      - .offset:         0
        .size:           8
        .value_kind:     by_value
      - .offset:         8
        .size:           8
        .value_kind:     by_value
      - .offset:         16
        .size:           8
        .value_kind:     by_value
      - .offset:         24
        .size:           16
        .value_kind:     by_value
      - .address_space:  global
        .offset:         40
        .size:           8
        .value_kind:     global_buffer
      - .offset:         48
        .size:           8
        .value_kind:     by_value
      - .offset:         56
        .size:           8
        .value_kind:     by_value
      - .address_space:  global
        .offset:         64
        .size:           8
        .value_kind:     global_buffer
      - .offset:         72
        .size:           8
        .value_kind:     by_value
      - .offset:         80
        .size:           8
        .value_kind:     by_value
      - .offset:         88
        .size:           16
        .value_kind:     by_value
      - .address_space:  global
        .offset:         104
        .size:           8
        .value_kind:     global_buffer
      - .offset:         112
        .size:           8
        .value_kind:     by_value
      - .offset:         120
        .size:           8
        .value_kind:     by_value
      - .address_space:  global
        .offset:         128
        .size:           8
        .value_kind:     global_buffer
      - .offset:         136
        .size:           8
        .value_kind:     by_value
      - .offset:         144
        .size:           8
        .value_kind:     by_value
      - .offset:         152
        .size:           4
        .value_kind:     by_value
    .group_segment_fixed_size: 8192
    .kernarg_segment_align: 8
    .kernarg_segment_size: 156
    .language:       OpenCL C
    .language_version:
      - 2
      - 0
    .max_flat_workgroup_size: 256
    .name:           _ZN12_GLOBAL__N_127rocblas_gemm_batched_kernelI19rocblas_complex_numIdELi16ELi16ELi64ELi64ELi4ELi64ELi4ELi4ELi64ELc78ELc78EKPKS2_S5_KPS2_EEvlllT_PT11_llSA_llS8_PT12_llPT13_lli
    .private_segment_fixed_size: 0
    .sgpr_count:     54
    .sgpr_spill_count: 0
    .symbol:         _ZN12_GLOBAL__N_127rocblas_gemm_batched_kernelI19rocblas_complex_numIdELi16ELi16ELi64ELi64ELi4ELi64ELi4ELi4ELi64ELc78ELc78EKPKS2_S5_KPS2_EEvlllT_PT11_llSA_llS8_PT12_llPT13_lli.kd
    .uniform_work_group_size: 1
    .uses_dynamic_stack: false
    .vgpr_count:     138
    .vgpr_spill_count: 0
    .wavefront_size: 32
    .workgroup_processor_mode: 1
  - .args:
      - .offset:         0
        .size:           8
        .value_kind:     by_value
      - .offset:         8
        .size:           8
        .value_kind:     by_value
      - .offset:         16
        .size:           8
        .value_kind:     by_value
      - .offset:         24
        .size:           16
        .value_kind:     by_value
      - .address_space:  global
        .offset:         40
        .size:           8
        .value_kind:     global_buffer
      - .offset:         48
        .size:           8
        .value_kind:     by_value
      - .offset:         56
        .size:           8
        .value_kind:     by_value
      - .address_space:  global
        .offset:         64
        .size:           8
        .value_kind:     global_buffer
      - .offset:         72
        .size:           8
        .value_kind:     by_value
      - .offset:         80
        .size:           8
        .value_kind:     by_value
      - .offset:         88
        .size:           16
        .value_kind:     by_value
      - .address_space:  global
        .offset:         104
        .size:           8
        .value_kind:     global_buffer
      - .offset:         112
        .size:           8
        .value_kind:     by_value
      - .offset:         120
        .size:           8
        .value_kind:     by_value
      - .address_space:  global
        .offset:         128
        .size:           8
        .value_kind:     global_buffer
      - .offset:         136
        .size:           8
        .value_kind:     by_value
      - .offset:         144
        .size:           8
        .value_kind:     by_value
      - .offset:         152
        .size:           4
        .value_kind:     by_value
    .group_segment_fixed_size: 8192
    .kernarg_segment_align: 8
    .kernarg_segment_size: 156
    .language:       OpenCL C
    .language_version:
      - 2
      - 0
    .max_flat_workgroup_size: 256
    .name:           _ZN12_GLOBAL__N_127rocblas_gemm_batched_kernelI19rocblas_complex_numIdELi16ELi16ELi64ELi64ELi4ELi64ELi4ELi4ELi64ELc84ELc78EKPKS2_S5_KPS2_EEvlllT_PT11_llSA_llS8_PT12_llPT13_lli
    .private_segment_fixed_size: 0
    .sgpr_count:     54
    .sgpr_spill_count: 0
    .symbol:         _ZN12_GLOBAL__N_127rocblas_gemm_batched_kernelI19rocblas_complex_numIdELi16ELi16ELi64ELi64ELi4ELi64ELi4ELi4ELi64ELc84ELc78EKPKS2_S5_KPS2_EEvlllT_PT11_llSA_llS8_PT12_llPT13_lli.kd
    .uniform_work_group_size: 1
    .uses_dynamic_stack: false
    .vgpr_count:     138
    .vgpr_spill_count: 0
    .wavefront_size: 32
    .workgroup_processor_mode: 1
  - .args:
      - .offset:         0
        .size:           8
        .value_kind:     by_value
      - .offset:         8
        .size:           8
        .value_kind:     by_value
      - .offset:         16
        .size:           8
        .value_kind:     by_value
      - .offset:         24
        .size:           16
        .value_kind:     by_value
      - .address_space:  global
        .offset:         40
        .size:           8
        .value_kind:     global_buffer
      - .offset:         48
        .size:           8
        .value_kind:     by_value
      - .offset:         56
        .size:           8
        .value_kind:     by_value
      - .address_space:  global
        .offset:         64
        .size:           8
        .value_kind:     global_buffer
      - .offset:         72
        .size:           8
        .value_kind:     by_value
      - .offset:         80
        .size:           8
        .value_kind:     by_value
      - .offset:         88
        .size:           16
        .value_kind:     by_value
      - .address_space:  global
        .offset:         104
        .size:           8
        .value_kind:     global_buffer
      - .offset:         112
        .size:           8
        .value_kind:     by_value
      - .offset:         120
        .size:           8
        .value_kind:     by_value
      - .address_space:  global
        .offset:         128
        .size:           8
        .value_kind:     global_buffer
      - .offset:         136
        .size:           8
        .value_kind:     by_value
      - .offset:         144
        .size:           8
        .value_kind:     by_value
      - .offset:         152
        .size:           4
        .value_kind:     by_value
    .group_segment_fixed_size: 8192
    .kernarg_segment_align: 8
    .kernarg_segment_size: 156
    .language:       OpenCL C
    .language_version:
      - 2
      - 0
    .max_flat_workgroup_size: 256
    .name:           _ZN12_GLOBAL__N_127rocblas_gemm_batched_kernelI19rocblas_complex_numIdELi16ELi16ELi64ELi64ELi4ELi64ELi4ELi4ELi64ELc78ELc84EKPKS2_S5_KPS2_EEvlllT_PT11_llSA_llS8_PT12_llPT13_lli
    .private_segment_fixed_size: 0
    .sgpr_count:     54
    .sgpr_spill_count: 0
    .symbol:         _ZN12_GLOBAL__N_127rocblas_gemm_batched_kernelI19rocblas_complex_numIdELi16ELi16ELi64ELi64ELi4ELi64ELi4ELi4ELi64ELc78ELc84EKPKS2_S5_KPS2_EEvlllT_PT11_llSA_llS8_PT12_llPT13_lli.kd
    .uniform_work_group_size: 1
    .uses_dynamic_stack: false
    .vgpr_count:     138
    .vgpr_spill_count: 0
    .wavefront_size: 32
    .workgroup_processor_mode: 1
  - .args:
      - .offset:         0
        .size:           8
        .value_kind:     by_value
      - .offset:         8
        .size:           8
        .value_kind:     by_value
      - .offset:         16
        .size:           8
        .value_kind:     by_value
      - .offset:         24
        .size:           16
        .value_kind:     by_value
      - .address_space:  global
        .offset:         40
        .size:           8
        .value_kind:     global_buffer
      - .offset:         48
        .size:           8
        .value_kind:     by_value
      - .offset:         56
        .size:           8
        .value_kind:     by_value
      - .address_space:  global
        .offset:         64
        .size:           8
        .value_kind:     global_buffer
      - .offset:         72
        .size:           8
        .value_kind:     by_value
      - .offset:         80
        .size:           8
        .value_kind:     by_value
      - .offset:         88
        .size:           16
        .value_kind:     by_value
      - .address_space:  global
        .offset:         104
        .size:           8
        .value_kind:     global_buffer
      - .offset:         112
        .size:           8
        .value_kind:     by_value
      - .offset:         120
        .size:           8
        .value_kind:     by_value
      - .address_space:  global
        .offset:         128
        .size:           8
        .value_kind:     global_buffer
      - .offset:         136
        .size:           8
        .value_kind:     by_value
      - .offset:         144
        .size:           8
        .value_kind:     by_value
      - .offset:         152
        .size:           4
        .value_kind:     by_value
    .group_segment_fixed_size: 8192
    .kernarg_segment_align: 8
    .kernarg_segment_size: 156
    .language:       OpenCL C
    .language_version:
      - 2
      - 0
    .max_flat_workgroup_size: 256
    .name:           _ZN12_GLOBAL__N_127rocblas_gemm_batched_kernelI19rocblas_complex_numIdELi16ELi16ELi64ELi64ELi4ELi64ELi4ELi4ELi64ELc84ELc84EKPKS2_S5_KPS2_EEvlllT_PT11_llSA_llS8_PT12_llPT13_lli
    .private_segment_fixed_size: 0
    .sgpr_count:     54
    .sgpr_spill_count: 0
    .symbol:         _ZN12_GLOBAL__N_127rocblas_gemm_batched_kernelI19rocblas_complex_numIdELi16ELi16ELi64ELi64ELi4ELi64ELi4ELi4ELi64ELc84ELc84EKPKS2_S5_KPS2_EEvlllT_PT11_llSA_llS8_PT12_llPT13_lli.kd
    .uniform_work_group_size: 1
    .uses_dynamic_stack: false
    .vgpr_count:     138
    .vgpr_spill_count: 0
    .wavefront_size: 32
    .workgroup_processor_mode: 1
  - .args:
      - .offset:         0
        .size:           8
        .value_kind:     by_value
      - .offset:         8
        .size:           8
        .value_kind:     by_value
      - .offset:         16
        .size:           8
        .value_kind:     by_value
      - .offset:         24
        .size:           16
        .value_kind:     by_value
      - .address_space:  global
        .offset:         40
        .size:           8
        .value_kind:     global_buffer
      - .offset:         48
        .size:           8
        .value_kind:     by_value
      - .offset:         56
        .size:           8
        .value_kind:     by_value
      - .address_space:  global
        .offset:         64
        .size:           8
        .value_kind:     global_buffer
      - .offset:         72
        .size:           8
        .value_kind:     by_value
      - .offset:         80
        .size:           8
        .value_kind:     by_value
      - .offset:         88
        .size:           16
        .value_kind:     by_value
      - .address_space:  global
        .offset:         104
        .size:           8
        .value_kind:     global_buffer
      - .offset:         112
        .size:           8
        .value_kind:     by_value
      - .offset:         120
        .size:           8
        .value_kind:     by_value
      - .address_space:  global
        .offset:         128
        .size:           8
        .value_kind:     global_buffer
      - .offset:         136
        .size:           8
        .value_kind:     by_value
      - .offset:         144
        .size:           8
        .value_kind:     by_value
      - .offset:         152
        .size:           4
        .value_kind:     by_value
    .group_segment_fixed_size: 8192
    .kernarg_segment_align: 8
    .kernarg_segment_size: 156
    .language:       OpenCL C
    .language_version:
      - 2
      - 0
    .max_flat_workgroup_size: 256
    .name:           _ZN12_GLOBAL__N_127rocblas_gemm_batched_kernelI19rocblas_complex_numIdELi16ELi16ELi64ELi64ELi4ELi64ELi4ELi4ELi64ELc67ELc67EKPKS2_S5_KPS2_EEvlllT_PT11_llSA_llS8_PT12_llPT13_lli
    .private_segment_fixed_size: 0
    .sgpr_count:     54
    .sgpr_spill_count: 0
    .symbol:         _ZN12_GLOBAL__N_127rocblas_gemm_batched_kernelI19rocblas_complex_numIdELi16ELi16ELi64ELi64ELi4ELi64ELi4ELi4ELi64ELc67ELc67EKPKS2_S5_KPS2_EEvlllT_PT11_llSA_llS8_PT12_llPT13_lli.kd
    .uniform_work_group_size: 1
    .uses_dynamic_stack: false
    .vgpr_count:     138
    .vgpr_spill_count: 0
    .wavefront_size: 32
    .workgroup_processor_mode: 1
  - .args:
      - .offset:         0
        .size:           8
        .value_kind:     by_value
      - .offset:         8
        .size:           8
        .value_kind:     by_value
      - .offset:         16
        .size:           8
        .value_kind:     by_value
      - .offset:         24
        .size:           16
        .value_kind:     by_value
      - .address_space:  global
        .offset:         40
        .size:           8
        .value_kind:     global_buffer
      - .offset:         48
        .size:           8
        .value_kind:     by_value
      - .offset:         56
        .size:           8
        .value_kind:     by_value
      - .address_space:  global
        .offset:         64
        .size:           8
        .value_kind:     global_buffer
      - .offset:         72
        .size:           8
        .value_kind:     by_value
      - .offset:         80
        .size:           8
        .value_kind:     by_value
      - .offset:         88
        .size:           16
        .value_kind:     by_value
      - .address_space:  global
        .offset:         104
        .size:           8
        .value_kind:     global_buffer
      - .offset:         112
        .size:           8
        .value_kind:     by_value
      - .offset:         120
        .size:           8
        .value_kind:     by_value
      - .address_space:  global
        .offset:         128
        .size:           8
        .value_kind:     global_buffer
      - .offset:         136
        .size:           8
        .value_kind:     by_value
      - .offset:         144
        .size:           8
        .value_kind:     by_value
      - .offset:         152
        .size:           4
        .value_kind:     by_value
    .group_segment_fixed_size: 8192
    .kernarg_segment_align: 8
    .kernarg_segment_size: 156
    .language:       OpenCL C
    .language_version:
      - 2
      - 0
    .max_flat_workgroup_size: 256
    .name:           _ZN12_GLOBAL__N_127rocblas_gemm_batched_kernelI19rocblas_complex_numIdELi16ELi16ELi64ELi64ELi4ELi64ELi4ELi4ELi64ELc67ELc78EKPKS2_S5_KPS2_EEvlllT_PT11_llSA_llS8_PT12_llPT13_lli
    .private_segment_fixed_size: 0
    .sgpr_count:     54
    .sgpr_spill_count: 0
    .symbol:         _ZN12_GLOBAL__N_127rocblas_gemm_batched_kernelI19rocblas_complex_numIdELi16ELi16ELi64ELi64ELi4ELi64ELi4ELi4ELi64ELc67ELc78EKPKS2_S5_KPS2_EEvlllT_PT11_llSA_llS8_PT12_llPT13_lli.kd
    .uniform_work_group_size: 1
    .uses_dynamic_stack: false
    .vgpr_count:     138
    .vgpr_spill_count: 0
    .wavefront_size: 32
    .workgroup_processor_mode: 1
  - .args:
      - .offset:         0
        .size:           8
        .value_kind:     by_value
      - .offset:         8
        .size:           8
        .value_kind:     by_value
      - .offset:         16
        .size:           8
        .value_kind:     by_value
      - .offset:         24
        .size:           16
        .value_kind:     by_value
      - .address_space:  global
        .offset:         40
        .size:           8
        .value_kind:     global_buffer
      - .offset:         48
        .size:           8
        .value_kind:     by_value
      - .offset:         56
        .size:           8
        .value_kind:     by_value
      - .address_space:  global
        .offset:         64
        .size:           8
        .value_kind:     global_buffer
      - .offset:         72
        .size:           8
        .value_kind:     by_value
      - .offset:         80
        .size:           8
        .value_kind:     by_value
      - .offset:         88
        .size:           16
        .value_kind:     by_value
      - .address_space:  global
        .offset:         104
        .size:           8
        .value_kind:     global_buffer
      - .offset:         112
        .size:           8
        .value_kind:     by_value
      - .offset:         120
        .size:           8
        .value_kind:     by_value
      - .address_space:  global
        .offset:         128
        .size:           8
        .value_kind:     global_buffer
      - .offset:         136
        .size:           8
        .value_kind:     by_value
      - .offset:         144
        .size:           8
        .value_kind:     by_value
      - .offset:         152
        .size:           4
        .value_kind:     by_value
    .group_segment_fixed_size: 8192
    .kernarg_segment_align: 8
    .kernarg_segment_size: 156
    .language:       OpenCL C
    .language_version:
      - 2
      - 0
    .max_flat_workgroup_size: 256
    .name:           _ZN12_GLOBAL__N_127rocblas_gemm_batched_kernelI19rocblas_complex_numIdELi16ELi16ELi64ELi64ELi4ELi64ELi4ELi4ELi64ELc67ELc84EKPKS2_S5_KPS2_EEvlllT_PT11_llSA_llS8_PT12_llPT13_lli
    .private_segment_fixed_size: 0
    .sgpr_count:     54
    .sgpr_spill_count: 0
    .symbol:         _ZN12_GLOBAL__N_127rocblas_gemm_batched_kernelI19rocblas_complex_numIdELi16ELi16ELi64ELi64ELi4ELi64ELi4ELi4ELi64ELc67ELc84EKPKS2_S5_KPS2_EEvlllT_PT11_llSA_llS8_PT12_llPT13_lli.kd
    .uniform_work_group_size: 1
    .uses_dynamic_stack: false
    .vgpr_count:     138
    .vgpr_spill_count: 0
    .wavefront_size: 32
    .workgroup_processor_mode: 1
  - .args:
      - .offset:         0
        .size:           8
        .value_kind:     by_value
      - .offset:         8
        .size:           8
        .value_kind:     by_value
      - .offset:         16
        .size:           8
        .value_kind:     by_value
      - .offset:         24
        .size:           16
        .value_kind:     by_value
      - .address_space:  global
        .offset:         40
        .size:           8
        .value_kind:     global_buffer
      - .offset:         48
        .size:           8
        .value_kind:     by_value
      - .offset:         56
        .size:           8
        .value_kind:     by_value
      - .address_space:  global
        .offset:         64
        .size:           8
        .value_kind:     global_buffer
      - .offset:         72
        .size:           8
        .value_kind:     by_value
      - .offset:         80
        .size:           8
        .value_kind:     by_value
      - .offset:         88
        .size:           16
        .value_kind:     by_value
      - .address_space:  global
        .offset:         104
        .size:           8
        .value_kind:     global_buffer
      - .offset:         112
        .size:           8
        .value_kind:     by_value
      - .offset:         120
        .size:           8
        .value_kind:     by_value
      - .address_space:  global
        .offset:         128
        .size:           8
        .value_kind:     global_buffer
      - .offset:         136
        .size:           8
        .value_kind:     by_value
      - .offset:         144
        .size:           8
        .value_kind:     by_value
      - .offset:         152
        .size:           4
        .value_kind:     by_value
    .group_segment_fixed_size: 8192
    .kernarg_segment_align: 8
    .kernarg_segment_size: 156
    .language:       OpenCL C
    .language_version:
      - 2
      - 0
    .max_flat_workgroup_size: 256
    .name:           _ZN12_GLOBAL__N_127rocblas_gemm_batched_kernelI19rocblas_complex_numIdELi16ELi16ELi64ELi64ELi4ELi64ELi4ELi4ELi64ELc78ELc67EKPKS2_S5_KPS2_EEvlllT_PT11_llSA_llS8_PT12_llPT13_lli
    .private_segment_fixed_size: 0
    .sgpr_count:     54
    .sgpr_spill_count: 0
    .symbol:         _ZN12_GLOBAL__N_127rocblas_gemm_batched_kernelI19rocblas_complex_numIdELi16ELi16ELi64ELi64ELi4ELi64ELi4ELi4ELi64ELc78ELc67EKPKS2_S5_KPS2_EEvlllT_PT11_llSA_llS8_PT12_llPT13_lli.kd
    .uniform_work_group_size: 1
    .uses_dynamic_stack: false
    .vgpr_count:     138
    .vgpr_spill_count: 0
    .wavefront_size: 32
    .workgroup_processor_mode: 1
  - .args:
      - .offset:         0
        .size:           8
        .value_kind:     by_value
      - .offset:         8
        .size:           8
        .value_kind:     by_value
      - .offset:         16
        .size:           8
        .value_kind:     by_value
      - .offset:         24
        .size:           16
        .value_kind:     by_value
      - .address_space:  global
        .offset:         40
        .size:           8
        .value_kind:     global_buffer
      - .offset:         48
        .size:           8
        .value_kind:     by_value
      - .offset:         56
        .size:           8
        .value_kind:     by_value
      - .address_space:  global
        .offset:         64
        .size:           8
        .value_kind:     global_buffer
      - .offset:         72
        .size:           8
        .value_kind:     by_value
      - .offset:         80
        .size:           8
        .value_kind:     by_value
      - .offset:         88
        .size:           16
        .value_kind:     by_value
      - .address_space:  global
        .offset:         104
        .size:           8
        .value_kind:     global_buffer
      - .offset:         112
        .size:           8
        .value_kind:     by_value
      - .offset:         120
        .size:           8
        .value_kind:     by_value
      - .address_space:  global
        .offset:         128
        .size:           8
        .value_kind:     global_buffer
      - .offset:         136
        .size:           8
        .value_kind:     by_value
      - .offset:         144
        .size:           8
        .value_kind:     by_value
      - .offset:         152
        .size:           4
        .value_kind:     by_value
    .group_segment_fixed_size: 8192
    .kernarg_segment_align: 8
    .kernarg_segment_size: 156
    .language:       OpenCL C
    .language_version:
      - 2
      - 0
    .max_flat_workgroup_size: 256
    .name:           _ZN12_GLOBAL__N_127rocblas_gemm_batched_kernelI19rocblas_complex_numIdELi16ELi16ELi64ELi64ELi4ELi64ELi4ELi4ELi64ELc84ELc67EKPKS2_S5_KPS2_EEvlllT_PT11_llSA_llS8_PT12_llPT13_lli
    .private_segment_fixed_size: 0
    .sgpr_count:     54
    .sgpr_spill_count: 0
    .symbol:         _ZN12_GLOBAL__N_127rocblas_gemm_batched_kernelI19rocblas_complex_numIdELi16ELi16ELi64ELi64ELi4ELi64ELi4ELi4ELi64ELc84ELc67EKPKS2_S5_KPS2_EEvlllT_PT11_llSA_llS8_PT12_llPT13_lli.kd
    .uniform_work_group_size: 1
    .uses_dynamic_stack: false
    .vgpr_count:     138
    .vgpr_spill_count: 0
    .wavefront_size: 32
    .workgroup_processor_mode: 1
  - .args:
      - .offset:         0
        .size:           8
        .value_kind:     by_value
      - .offset:         8
        .size:           8
        .value_kind:     by_value
      - .offset:         16
        .size:           8
        .value_kind:     by_value
      - .offset:         24
        .size:           16
        .value_kind:     by_value
      - .address_space:  global
        .offset:         40
        .size:           8
        .value_kind:     global_buffer
      - .offset:         48
        .size:           8
        .value_kind:     by_value
      - .offset:         56
        .size:           8
        .value_kind:     by_value
      - .address_space:  global
        .offset:         64
        .size:           8
        .value_kind:     global_buffer
      - .offset:         72
        .size:           8
        .value_kind:     by_value
      - .offset:         80
        .size:           8
        .value_kind:     by_value
      - .offset:         88
        .size:           16
        .value_kind:     by_value
      - .address_space:  global
        .offset:         104
        .size:           8
        .value_kind:     global_buffer
      - .offset:         112
        .size:           8
        .value_kind:     by_value
      - .offset:         120
        .size:           8
        .value_kind:     by_value
      - .address_space:  global
        .offset:         128
        .size:           8
        .value_kind:     global_buffer
      - .offset:         136
        .size:           8
        .value_kind:     by_value
      - .offset:         144
        .size:           8
        .value_kind:     by_value
      - .offset:         152
        .size:           4
        .value_kind:     by_value
    .group_segment_fixed_size: 8192
    .kernarg_segment_align: 8
    .kernarg_segment_size: 156
    .language:       OpenCL C
    .language_version:
      - 2
      - 0
    .max_flat_workgroup_size: 256
    .name:           _ZN12_GLOBAL__N_127rocblas_gemm_batched_kernelI19rocblas_complex_numIdELi16ELi16ELi32ELi32ELi8ELi32ELi8ELi8ELi32ELc78ELc78EKPKS2_S5_KPS2_EEvlllT_PT11_llSA_llS8_PT12_llPT13_lli
    .private_segment_fixed_size: 0
    .sgpr_count:     54
    .sgpr_spill_count: 0
    .symbol:         _ZN12_GLOBAL__N_127rocblas_gemm_batched_kernelI19rocblas_complex_numIdELi16ELi16ELi32ELi32ELi8ELi32ELi8ELi8ELi32ELc78ELc78EKPKS2_S5_KPS2_EEvlllT_PT11_llSA_llS8_PT12_llPT13_lli.kd
    .uniform_work_group_size: 1
    .uses_dynamic_stack: false
    .vgpr_count:     162
    .vgpr_spill_count: 0
    .wavefront_size: 32
    .workgroup_processor_mode: 1
  - .args:
      - .offset:         0
        .size:           8
        .value_kind:     by_value
      - .offset:         8
        .size:           8
        .value_kind:     by_value
      - .offset:         16
        .size:           8
        .value_kind:     by_value
      - .offset:         24
        .size:           16
        .value_kind:     by_value
      - .address_space:  global
        .offset:         40
        .size:           8
        .value_kind:     global_buffer
      - .offset:         48
        .size:           8
        .value_kind:     by_value
      - .offset:         56
        .size:           8
        .value_kind:     by_value
      - .address_space:  global
        .offset:         64
        .size:           8
        .value_kind:     global_buffer
      - .offset:         72
        .size:           8
        .value_kind:     by_value
      - .offset:         80
        .size:           8
        .value_kind:     by_value
      - .offset:         88
        .size:           16
        .value_kind:     by_value
      - .address_space:  global
        .offset:         104
        .size:           8
        .value_kind:     global_buffer
      - .offset:         112
        .size:           8
        .value_kind:     by_value
      - .offset:         120
        .size:           8
        .value_kind:     by_value
      - .address_space:  global
        .offset:         128
        .size:           8
        .value_kind:     global_buffer
      - .offset:         136
        .size:           8
        .value_kind:     by_value
      - .offset:         144
        .size:           8
        .value_kind:     by_value
      - .offset:         152
        .size:           4
        .value_kind:     by_value
    .group_segment_fixed_size: 8192
    .kernarg_segment_align: 8
    .kernarg_segment_size: 156
    .language:       OpenCL C
    .language_version:
      - 2
      - 0
    .max_flat_workgroup_size: 256
    .name:           _ZN12_GLOBAL__N_127rocblas_gemm_batched_kernelI19rocblas_complex_numIdELi16ELi16ELi32ELi32ELi8ELi32ELi8ELi8ELi32ELc84ELc78EKPKS2_S5_KPS2_EEvlllT_PT11_llSA_llS8_PT12_llPT13_lli
    .private_segment_fixed_size: 0
    .sgpr_count:     54
    .sgpr_spill_count: 0
    .symbol:         _ZN12_GLOBAL__N_127rocblas_gemm_batched_kernelI19rocblas_complex_numIdELi16ELi16ELi32ELi32ELi8ELi32ELi8ELi8ELi32ELc84ELc78EKPKS2_S5_KPS2_EEvlllT_PT11_llSA_llS8_PT12_llPT13_lli.kd
    .uniform_work_group_size: 1
    .uses_dynamic_stack: false
    .vgpr_count:     162
    .vgpr_spill_count: 0
    .wavefront_size: 32
    .workgroup_processor_mode: 1
  - .args:
      - .offset:         0
        .size:           8
        .value_kind:     by_value
      - .offset:         8
        .size:           8
        .value_kind:     by_value
      - .offset:         16
        .size:           8
        .value_kind:     by_value
      - .offset:         24
        .size:           16
        .value_kind:     by_value
      - .address_space:  global
        .offset:         40
        .size:           8
        .value_kind:     global_buffer
      - .offset:         48
        .size:           8
        .value_kind:     by_value
      - .offset:         56
        .size:           8
        .value_kind:     by_value
      - .address_space:  global
        .offset:         64
        .size:           8
        .value_kind:     global_buffer
      - .offset:         72
        .size:           8
        .value_kind:     by_value
      - .offset:         80
        .size:           8
        .value_kind:     by_value
      - .offset:         88
        .size:           16
        .value_kind:     by_value
      - .address_space:  global
        .offset:         104
        .size:           8
        .value_kind:     global_buffer
      - .offset:         112
        .size:           8
        .value_kind:     by_value
      - .offset:         120
        .size:           8
        .value_kind:     by_value
      - .address_space:  global
        .offset:         128
        .size:           8
        .value_kind:     global_buffer
      - .offset:         136
        .size:           8
        .value_kind:     by_value
      - .offset:         144
        .size:           8
        .value_kind:     by_value
      - .offset:         152
        .size:           4
        .value_kind:     by_value
    .group_segment_fixed_size: 8192
    .kernarg_segment_align: 8
    .kernarg_segment_size: 156
    .language:       OpenCL C
    .language_version:
      - 2
      - 0
    .max_flat_workgroup_size: 256
    .name:           _ZN12_GLOBAL__N_127rocblas_gemm_batched_kernelI19rocblas_complex_numIdELi16ELi16ELi32ELi32ELi8ELi32ELi8ELi8ELi32ELc78ELc84EKPKS2_S5_KPS2_EEvlllT_PT11_llSA_llS8_PT12_llPT13_lli
    .private_segment_fixed_size: 0
    .sgpr_count:     54
    .sgpr_spill_count: 0
    .symbol:         _ZN12_GLOBAL__N_127rocblas_gemm_batched_kernelI19rocblas_complex_numIdELi16ELi16ELi32ELi32ELi8ELi32ELi8ELi8ELi32ELc78ELc84EKPKS2_S5_KPS2_EEvlllT_PT11_llSA_llS8_PT12_llPT13_lli.kd
    .uniform_work_group_size: 1
    .uses_dynamic_stack: false
    .vgpr_count:     162
    .vgpr_spill_count: 0
    .wavefront_size: 32
    .workgroup_processor_mode: 1
  - .args:
      - .offset:         0
        .size:           8
        .value_kind:     by_value
      - .offset:         8
        .size:           8
        .value_kind:     by_value
      - .offset:         16
        .size:           8
        .value_kind:     by_value
      - .offset:         24
        .size:           16
        .value_kind:     by_value
      - .address_space:  global
        .offset:         40
        .size:           8
        .value_kind:     global_buffer
      - .offset:         48
        .size:           8
        .value_kind:     by_value
      - .offset:         56
        .size:           8
        .value_kind:     by_value
      - .address_space:  global
        .offset:         64
        .size:           8
        .value_kind:     global_buffer
      - .offset:         72
        .size:           8
        .value_kind:     by_value
      - .offset:         80
        .size:           8
        .value_kind:     by_value
      - .offset:         88
        .size:           16
        .value_kind:     by_value
      - .address_space:  global
        .offset:         104
        .size:           8
        .value_kind:     global_buffer
      - .offset:         112
        .size:           8
        .value_kind:     by_value
      - .offset:         120
        .size:           8
        .value_kind:     by_value
      - .address_space:  global
        .offset:         128
        .size:           8
        .value_kind:     global_buffer
      - .offset:         136
        .size:           8
        .value_kind:     by_value
      - .offset:         144
        .size:           8
        .value_kind:     by_value
      - .offset:         152
        .size:           4
        .value_kind:     by_value
    .group_segment_fixed_size: 8192
    .kernarg_segment_align: 8
    .kernarg_segment_size: 156
    .language:       OpenCL C
    .language_version:
      - 2
      - 0
    .max_flat_workgroup_size: 256
    .name:           _ZN12_GLOBAL__N_127rocblas_gemm_batched_kernelI19rocblas_complex_numIdELi16ELi16ELi32ELi32ELi8ELi32ELi8ELi8ELi32ELc84ELc84EKPKS2_S5_KPS2_EEvlllT_PT11_llSA_llS8_PT12_llPT13_lli
    .private_segment_fixed_size: 0
    .sgpr_count:     54
    .sgpr_spill_count: 0
    .symbol:         _ZN12_GLOBAL__N_127rocblas_gemm_batched_kernelI19rocblas_complex_numIdELi16ELi16ELi32ELi32ELi8ELi32ELi8ELi8ELi32ELc84ELc84EKPKS2_S5_KPS2_EEvlllT_PT11_llSA_llS8_PT12_llPT13_lli.kd
    .uniform_work_group_size: 1
    .uses_dynamic_stack: false
    .vgpr_count:     162
    .vgpr_spill_count: 0
    .wavefront_size: 32
    .workgroup_processor_mode: 1
  - .args:
      - .offset:         0
        .size:           8
        .value_kind:     by_value
      - .offset:         8
        .size:           8
        .value_kind:     by_value
      - .offset:         16
        .size:           8
        .value_kind:     by_value
      - .offset:         24
        .size:           16
        .value_kind:     by_value
      - .address_space:  global
        .offset:         40
        .size:           8
        .value_kind:     global_buffer
      - .offset:         48
        .size:           8
        .value_kind:     by_value
      - .offset:         56
        .size:           8
        .value_kind:     by_value
      - .address_space:  global
        .offset:         64
        .size:           8
        .value_kind:     global_buffer
      - .offset:         72
        .size:           8
        .value_kind:     by_value
      - .offset:         80
        .size:           8
        .value_kind:     by_value
      - .offset:         88
        .size:           16
        .value_kind:     by_value
      - .address_space:  global
        .offset:         104
        .size:           8
        .value_kind:     global_buffer
      - .offset:         112
        .size:           8
        .value_kind:     by_value
      - .offset:         120
        .size:           8
        .value_kind:     by_value
      - .address_space:  global
        .offset:         128
        .size:           8
        .value_kind:     global_buffer
      - .offset:         136
        .size:           8
        .value_kind:     by_value
      - .offset:         144
        .size:           8
        .value_kind:     by_value
      - .offset:         152
        .size:           4
        .value_kind:     by_value
    .group_segment_fixed_size: 8192
    .kernarg_segment_align: 8
    .kernarg_segment_size: 156
    .language:       OpenCL C
    .language_version:
      - 2
      - 0
    .max_flat_workgroup_size: 256
    .name:           _ZN12_GLOBAL__N_127rocblas_gemm_batched_kernelI19rocblas_complex_numIdELi16ELi16ELi32ELi32ELi8ELi32ELi8ELi8ELi32ELc67ELc67EKPKS2_S5_KPS2_EEvlllT_PT11_llSA_llS8_PT12_llPT13_lli
    .private_segment_fixed_size: 0
    .sgpr_count:     54
    .sgpr_spill_count: 0
    .symbol:         _ZN12_GLOBAL__N_127rocblas_gemm_batched_kernelI19rocblas_complex_numIdELi16ELi16ELi32ELi32ELi8ELi32ELi8ELi8ELi32ELc67ELc67EKPKS2_S5_KPS2_EEvlllT_PT11_llSA_llS8_PT12_llPT13_lli.kd
    .uniform_work_group_size: 1
    .uses_dynamic_stack: false
    .vgpr_count:     162
    .vgpr_spill_count: 0
    .wavefront_size: 32
    .workgroup_processor_mode: 1
  - .args:
      - .offset:         0
        .size:           8
        .value_kind:     by_value
      - .offset:         8
        .size:           8
        .value_kind:     by_value
      - .offset:         16
        .size:           8
        .value_kind:     by_value
      - .offset:         24
        .size:           16
        .value_kind:     by_value
      - .address_space:  global
        .offset:         40
        .size:           8
        .value_kind:     global_buffer
      - .offset:         48
        .size:           8
        .value_kind:     by_value
      - .offset:         56
        .size:           8
        .value_kind:     by_value
      - .address_space:  global
        .offset:         64
        .size:           8
        .value_kind:     global_buffer
      - .offset:         72
        .size:           8
        .value_kind:     by_value
      - .offset:         80
        .size:           8
        .value_kind:     by_value
      - .offset:         88
        .size:           16
        .value_kind:     by_value
      - .address_space:  global
        .offset:         104
        .size:           8
        .value_kind:     global_buffer
      - .offset:         112
        .size:           8
        .value_kind:     by_value
      - .offset:         120
        .size:           8
        .value_kind:     by_value
      - .address_space:  global
        .offset:         128
        .size:           8
        .value_kind:     global_buffer
      - .offset:         136
        .size:           8
        .value_kind:     by_value
      - .offset:         144
        .size:           8
        .value_kind:     by_value
      - .offset:         152
        .size:           4
        .value_kind:     by_value
    .group_segment_fixed_size: 8192
    .kernarg_segment_align: 8
    .kernarg_segment_size: 156
    .language:       OpenCL C
    .language_version:
      - 2
      - 0
    .max_flat_workgroup_size: 256
    .name:           _ZN12_GLOBAL__N_127rocblas_gemm_batched_kernelI19rocblas_complex_numIdELi16ELi16ELi32ELi32ELi8ELi32ELi8ELi8ELi32ELc67ELc78EKPKS2_S5_KPS2_EEvlllT_PT11_llSA_llS8_PT12_llPT13_lli
    .private_segment_fixed_size: 0
    .sgpr_count:     54
    .sgpr_spill_count: 0
    .symbol:         _ZN12_GLOBAL__N_127rocblas_gemm_batched_kernelI19rocblas_complex_numIdELi16ELi16ELi32ELi32ELi8ELi32ELi8ELi8ELi32ELc67ELc78EKPKS2_S5_KPS2_EEvlllT_PT11_llSA_llS8_PT12_llPT13_lli.kd
    .uniform_work_group_size: 1
    .uses_dynamic_stack: false
    .vgpr_count:     162
    .vgpr_spill_count: 0
    .wavefront_size: 32
    .workgroup_processor_mode: 1
  - .args:
      - .offset:         0
        .size:           8
        .value_kind:     by_value
      - .offset:         8
        .size:           8
        .value_kind:     by_value
      - .offset:         16
        .size:           8
        .value_kind:     by_value
      - .offset:         24
        .size:           16
        .value_kind:     by_value
      - .address_space:  global
        .offset:         40
        .size:           8
        .value_kind:     global_buffer
      - .offset:         48
        .size:           8
        .value_kind:     by_value
      - .offset:         56
        .size:           8
        .value_kind:     by_value
      - .address_space:  global
        .offset:         64
        .size:           8
        .value_kind:     global_buffer
      - .offset:         72
        .size:           8
        .value_kind:     by_value
      - .offset:         80
        .size:           8
        .value_kind:     by_value
      - .offset:         88
        .size:           16
        .value_kind:     by_value
      - .address_space:  global
        .offset:         104
        .size:           8
        .value_kind:     global_buffer
      - .offset:         112
        .size:           8
        .value_kind:     by_value
      - .offset:         120
        .size:           8
        .value_kind:     by_value
      - .address_space:  global
        .offset:         128
        .size:           8
        .value_kind:     global_buffer
      - .offset:         136
        .size:           8
        .value_kind:     by_value
      - .offset:         144
        .size:           8
        .value_kind:     by_value
      - .offset:         152
        .size:           4
        .value_kind:     by_value
    .group_segment_fixed_size: 8192
    .kernarg_segment_align: 8
    .kernarg_segment_size: 156
    .language:       OpenCL C
    .language_version:
      - 2
      - 0
    .max_flat_workgroup_size: 256
    .name:           _ZN12_GLOBAL__N_127rocblas_gemm_batched_kernelI19rocblas_complex_numIdELi16ELi16ELi32ELi32ELi8ELi32ELi8ELi8ELi32ELc67ELc84EKPKS2_S5_KPS2_EEvlllT_PT11_llSA_llS8_PT12_llPT13_lli
    .private_segment_fixed_size: 0
    .sgpr_count:     54
    .sgpr_spill_count: 0
    .symbol:         _ZN12_GLOBAL__N_127rocblas_gemm_batched_kernelI19rocblas_complex_numIdELi16ELi16ELi32ELi32ELi8ELi32ELi8ELi8ELi32ELc67ELc84EKPKS2_S5_KPS2_EEvlllT_PT11_llSA_llS8_PT12_llPT13_lli.kd
    .uniform_work_group_size: 1
    .uses_dynamic_stack: false
    .vgpr_count:     162
    .vgpr_spill_count: 0
    .wavefront_size: 32
    .workgroup_processor_mode: 1
  - .args:
      - .offset:         0
        .size:           8
        .value_kind:     by_value
      - .offset:         8
        .size:           8
        .value_kind:     by_value
      - .offset:         16
        .size:           8
        .value_kind:     by_value
      - .offset:         24
        .size:           16
        .value_kind:     by_value
      - .address_space:  global
        .offset:         40
        .size:           8
        .value_kind:     global_buffer
      - .offset:         48
        .size:           8
        .value_kind:     by_value
      - .offset:         56
        .size:           8
        .value_kind:     by_value
      - .address_space:  global
        .offset:         64
        .size:           8
        .value_kind:     global_buffer
      - .offset:         72
        .size:           8
        .value_kind:     by_value
      - .offset:         80
        .size:           8
        .value_kind:     by_value
      - .offset:         88
        .size:           16
        .value_kind:     by_value
      - .address_space:  global
        .offset:         104
        .size:           8
        .value_kind:     global_buffer
      - .offset:         112
        .size:           8
        .value_kind:     by_value
      - .offset:         120
        .size:           8
        .value_kind:     by_value
      - .address_space:  global
        .offset:         128
        .size:           8
        .value_kind:     global_buffer
      - .offset:         136
        .size:           8
        .value_kind:     by_value
      - .offset:         144
        .size:           8
        .value_kind:     by_value
      - .offset:         152
        .size:           4
        .value_kind:     by_value
    .group_segment_fixed_size: 8192
    .kernarg_segment_align: 8
    .kernarg_segment_size: 156
    .language:       OpenCL C
    .language_version:
      - 2
      - 0
    .max_flat_workgroup_size: 256
    .name:           _ZN12_GLOBAL__N_127rocblas_gemm_batched_kernelI19rocblas_complex_numIdELi16ELi16ELi32ELi32ELi8ELi32ELi8ELi8ELi32ELc78ELc67EKPKS2_S5_KPS2_EEvlllT_PT11_llSA_llS8_PT12_llPT13_lli
    .private_segment_fixed_size: 0
    .sgpr_count:     54
    .sgpr_spill_count: 0
    .symbol:         _ZN12_GLOBAL__N_127rocblas_gemm_batched_kernelI19rocblas_complex_numIdELi16ELi16ELi32ELi32ELi8ELi32ELi8ELi8ELi32ELc78ELc67EKPKS2_S5_KPS2_EEvlllT_PT11_llSA_llS8_PT12_llPT13_lli.kd
    .uniform_work_group_size: 1
    .uses_dynamic_stack: false
    .vgpr_count:     162
    .vgpr_spill_count: 0
    .wavefront_size: 32
    .workgroup_processor_mode: 1
  - .args:
      - .offset:         0
        .size:           8
        .value_kind:     by_value
      - .offset:         8
        .size:           8
        .value_kind:     by_value
      - .offset:         16
        .size:           8
        .value_kind:     by_value
      - .offset:         24
        .size:           16
        .value_kind:     by_value
      - .address_space:  global
        .offset:         40
        .size:           8
        .value_kind:     global_buffer
      - .offset:         48
        .size:           8
        .value_kind:     by_value
      - .offset:         56
        .size:           8
        .value_kind:     by_value
      - .address_space:  global
        .offset:         64
        .size:           8
        .value_kind:     global_buffer
      - .offset:         72
        .size:           8
        .value_kind:     by_value
      - .offset:         80
        .size:           8
        .value_kind:     by_value
      - .offset:         88
        .size:           16
        .value_kind:     by_value
      - .address_space:  global
        .offset:         104
        .size:           8
        .value_kind:     global_buffer
      - .offset:         112
        .size:           8
        .value_kind:     by_value
      - .offset:         120
        .size:           8
        .value_kind:     by_value
      - .address_space:  global
        .offset:         128
        .size:           8
        .value_kind:     global_buffer
      - .offset:         136
        .size:           8
        .value_kind:     by_value
      - .offset:         144
        .size:           8
        .value_kind:     by_value
      - .offset:         152
        .size:           4
        .value_kind:     by_value
    .group_segment_fixed_size: 8192
    .kernarg_segment_align: 8
    .kernarg_segment_size: 156
    .language:       OpenCL C
    .language_version:
      - 2
      - 0
    .max_flat_workgroup_size: 256
    .name:           _ZN12_GLOBAL__N_127rocblas_gemm_batched_kernelI19rocblas_complex_numIdELi16ELi16ELi32ELi32ELi8ELi32ELi8ELi8ELi32ELc84ELc67EKPKS2_S5_KPS2_EEvlllT_PT11_llSA_llS8_PT12_llPT13_lli
    .private_segment_fixed_size: 0
    .sgpr_count:     54
    .sgpr_spill_count: 0
    .symbol:         _ZN12_GLOBAL__N_127rocblas_gemm_batched_kernelI19rocblas_complex_numIdELi16ELi16ELi32ELi32ELi8ELi32ELi8ELi8ELi32ELc84ELc67EKPKS2_S5_KPS2_EEvlllT_PT11_llSA_llS8_PT12_llPT13_lli.kd
    .uniform_work_group_size: 1
    .uses_dynamic_stack: false
    .vgpr_count:     162
    .vgpr_spill_count: 0
    .wavefront_size: 32
    .workgroup_processor_mode: 1
  - .args:
      - .offset:         0
        .size:           8
        .value_kind:     by_value
      - .offset:         8
        .size:           8
        .value_kind:     by_value
      - .offset:         16
        .size:           8
        .value_kind:     by_value
      - .offset:         24
        .size:           16
        .value_kind:     by_value
      - .address_space:  global
        .offset:         40
        .size:           8
        .value_kind:     global_buffer
      - .offset:         48
        .size:           8
        .value_kind:     by_value
      - .offset:         56
        .size:           8
        .value_kind:     by_value
      - .address_space:  global
        .offset:         64
        .size:           8
        .value_kind:     global_buffer
      - .offset:         72
        .size:           8
        .value_kind:     by_value
      - .offset:         80
        .size:           8
        .value_kind:     by_value
      - .offset:         88
        .size:           16
        .value_kind:     by_value
      - .address_space:  global
        .offset:         104
        .size:           8
        .value_kind:     global_buffer
      - .offset:         112
        .size:           8
        .value_kind:     by_value
      - .offset:         120
        .size:           8
        .value_kind:     by_value
      - .address_space:  global
        .offset:         128
        .size:           8
        .value_kind:     global_buffer
      - .offset:         136
        .size:           8
        .value_kind:     by_value
      - .offset:         144
        .size:           8
        .value_kind:     by_value
      - .offset:         152
        .size:           4
        .value_kind:     by_value
    .group_segment_fixed_size: 8192
    .kernarg_segment_align: 8
    .kernarg_segment_size: 156
    .language:       OpenCL C
    .language_version:
      - 2
      - 0
    .max_flat_workgroup_size: 256
    .name:           _ZN12_GLOBAL__N_135rocblas_gemm_batched_general_kernelI19rocblas_complex_numIdELi16ELi16ELi32ELi32ELi8ELi32ELi8ELi8ELi32ELc78ELc78EKPKS2_S5_KPS2_EEvlllT_PT11_llSA_llS8_PT12_llPT13_lli
    .private_segment_fixed_size: 0
    .sgpr_count:     54
    .sgpr_spill_count: 0
    .symbol:         _ZN12_GLOBAL__N_135rocblas_gemm_batched_general_kernelI19rocblas_complex_numIdELi16ELi16ELi32ELi32ELi8ELi32ELi8ELi8ELi32ELc78ELc78EKPKS2_S5_KPS2_EEvlllT_PT11_llSA_llS8_PT12_llPT13_lli.kd
    .uniform_work_group_size: 1
    .uses_dynamic_stack: false
    .vgpr_count:     128
    .vgpr_spill_count: 0
    .wavefront_size: 32
    .workgroup_processor_mode: 1
  - .args:
      - .offset:         0
        .size:           8
        .value_kind:     by_value
      - .offset:         8
        .size:           8
        .value_kind:     by_value
      - .offset:         16
        .size:           8
        .value_kind:     by_value
      - .offset:         24
        .size:           16
        .value_kind:     by_value
      - .address_space:  global
        .offset:         40
        .size:           8
        .value_kind:     global_buffer
      - .offset:         48
        .size:           8
        .value_kind:     by_value
      - .offset:         56
        .size:           8
        .value_kind:     by_value
      - .address_space:  global
        .offset:         64
        .size:           8
        .value_kind:     global_buffer
      - .offset:         72
        .size:           8
        .value_kind:     by_value
      - .offset:         80
        .size:           8
        .value_kind:     by_value
      - .offset:         88
        .size:           16
        .value_kind:     by_value
      - .address_space:  global
        .offset:         104
        .size:           8
        .value_kind:     global_buffer
      - .offset:         112
        .size:           8
        .value_kind:     by_value
      - .offset:         120
        .size:           8
        .value_kind:     by_value
      - .address_space:  global
        .offset:         128
        .size:           8
        .value_kind:     global_buffer
      - .offset:         136
        .size:           8
        .value_kind:     by_value
      - .offset:         144
        .size:           8
        .value_kind:     by_value
      - .offset:         152
        .size:           4
        .value_kind:     by_value
    .group_segment_fixed_size: 8192
    .kernarg_segment_align: 8
    .kernarg_segment_size: 156
    .language:       OpenCL C
    .language_version:
      - 2
      - 0
    .max_flat_workgroup_size: 256
    .name:           _ZN12_GLOBAL__N_135rocblas_gemm_batched_general_kernelI19rocblas_complex_numIdELi16ELi16ELi32ELi32ELi8ELi32ELi8ELi8ELi32ELc84ELc78EKPKS2_S5_KPS2_EEvlllT_PT11_llSA_llS8_PT12_llPT13_lli
    .private_segment_fixed_size: 0
    .sgpr_count:     54
    .sgpr_spill_count: 0
    .symbol:         _ZN12_GLOBAL__N_135rocblas_gemm_batched_general_kernelI19rocblas_complex_numIdELi16ELi16ELi32ELi32ELi8ELi32ELi8ELi8ELi32ELc84ELc78EKPKS2_S5_KPS2_EEvlllT_PT11_llSA_llS8_PT12_llPT13_lli.kd
    .uniform_work_group_size: 1
    .uses_dynamic_stack: false
    .vgpr_count:     128
    .vgpr_spill_count: 0
    .wavefront_size: 32
    .workgroup_processor_mode: 1
  - .args:
      - .offset:         0
        .size:           8
        .value_kind:     by_value
      - .offset:         8
        .size:           8
        .value_kind:     by_value
      - .offset:         16
        .size:           8
        .value_kind:     by_value
      - .offset:         24
        .size:           16
        .value_kind:     by_value
      - .address_space:  global
        .offset:         40
        .size:           8
        .value_kind:     global_buffer
      - .offset:         48
        .size:           8
        .value_kind:     by_value
      - .offset:         56
        .size:           8
        .value_kind:     by_value
      - .address_space:  global
        .offset:         64
        .size:           8
        .value_kind:     global_buffer
      - .offset:         72
        .size:           8
        .value_kind:     by_value
      - .offset:         80
        .size:           8
        .value_kind:     by_value
      - .offset:         88
        .size:           16
        .value_kind:     by_value
      - .address_space:  global
        .offset:         104
        .size:           8
        .value_kind:     global_buffer
      - .offset:         112
        .size:           8
        .value_kind:     by_value
      - .offset:         120
        .size:           8
        .value_kind:     by_value
      - .address_space:  global
        .offset:         128
        .size:           8
        .value_kind:     global_buffer
      - .offset:         136
        .size:           8
        .value_kind:     by_value
      - .offset:         144
        .size:           8
        .value_kind:     by_value
      - .offset:         152
        .size:           4
        .value_kind:     by_value
    .group_segment_fixed_size: 8192
    .kernarg_segment_align: 8
    .kernarg_segment_size: 156
    .language:       OpenCL C
    .language_version:
      - 2
      - 0
    .max_flat_workgroup_size: 256
    .name:           _ZN12_GLOBAL__N_135rocblas_gemm_batched_general_kernelI19rocblas_complex_numIdELi16ELi16ELi32ELi32ELi8ELi32ELi8ELi8ELi32ELc78ELc84EKPKS2_S5_KPS2_EEvlllT_PT11_llSA_llS8_PT12_llPT13_lli
    .private_segment_fixed_size: 0
    .sgpr_count:     54
    .sgpr_spill_count: 0
    .symbol:         _ZN12_GLOBAL__N_135rocblas_gemm_batched_general_kernelI19rocblas_complex_numIdELi16ELi16ELi32ELi32ELi8ELi32ELi8ELi8ELi32ELc78ELc84EKPKS2_S5_KPS2_EEvlllT_PT11_llSA_llS8_PT12_llPT13_lli.kd
    .uniform_work_group_size: 1
    .uses_dynamic_stack: false
    .vgpr_count:     128
    .vgpr_spill_count: 0
    .wavefront_size: 32
    .workgroup_processor_mode: 1
  - .args:
      - .offset:         0
        .size:           8
        .value_kind:     by_value
      - .offset:         8
        .size:           8
        .value_kind:     by_value
      - .offset:         16
        .size:           8
        .value_kind:     by_value
      - .offset:         24
        .size:           16
        .value_kind:     by_value
      - .address_space:  global
        .offset:         40
        .size:           8
        .value_kind:     global_buffer
      - .offset:         48
        .size:           8
        .value_kind:     by_value
      - .offset:         56
        .size:           8
        .value_kind:     by_value
      - .address_space:  global
        .offset:         64
        .size:           8
        .value_kind:     global_buffer
      - .offset:         72
        .size:           8
        .value_kind:     by_value
      - .offset:         80
        .size:           8
        .value_kind:     by_value
      - .offset:         88
        .size:           16
        .value_kind:     by_value
      - .address_space:  global
        .offset:         104
        .size:           8
        .value_kind:     global_buffer
      - .offset:         112
        .size:           8
        .value_kind:     by_value
      - .offset:         120
        .size:           8
        .value_kind:     by_value
      - .address_space:  global
        .offset:         128
        .size:           8
        .value_kind:     global_buffer
      - .offset:         136
        .size:           8
        .value_kind:     by_value
      - .offset:         144
        .size:           8
        .value_kind:     by_value
      - .offset:         152
        .size:           4
        .value_kind:     by_value
    .group_segment_fixed_size: 8192
    .kernarg_segment_align: 8
    .kernarg_segment_size: 156
    .language:       OpenCL C
    .language_version:
      - 2
      - 0
    .max_flat_workgroup_size: 256
    .name:           _ZN12_GLOBAL__N_135rocblas_gemm_batched_general_kernelI19rocblas_complex_numIdELi16ELi16ELi32ELi32ELi8ELi32ELi8ELi8ELi32ELc84ELc84EKPKS2_S5_KPS2_EEvlllT_PT11_llSA_llS8_PT12_llPT13_lli
    .private_segment_fixed_size: 0
    .sgpr_count:     54
    .sgpr_spill_count: 0
    .symbol:         _ZN12_GLOBAL__N_135rocblas_gemm_batched_general_kernelI19rocblas_complex_numIdELi16ELi16ELi32ELi32ELi8ELi32ELi8ELi8ELi32ELc84ELc84EKPKS2_S5_KPS2_EEvlllT_PT11_llSA_llS8_PT12_llPT13_lli.kd
    .uniform_work_group_size: 1
    .uses_dynamic_stack: false
    .vgpr_count:     128
    .vgpr_spill_count: 0
    .wavefront_size: 32
    .workgroup_processor_mode: 1
  - .args:
      - .offset:         0
        .size:           8
        .value_kind:     by_value
      - .offset:         8
        .size:           8
        .value_kind:     by_value
      - .offset:         16
        .size:           8
        .value_kind:     by_value
      - .offset:         24
        .size:           16
        .value_kind:     by_value
      - .address_space:  global
        .offset:         40
        .size:           8
        .value_kind:     global_buffer
      - .offset:         48
        .size:           8
        .value_kind:     by_value
      - .offset:         56
        .size:           8
        .value_kind:     by_value
      - .address_space:  global
        .offset:         64
        .size:           8
        .value_kind:     global_buffer
      - .offset:         72
        .size:           8
        .value_kind:     by_value
      - .offset:         80
        .size:           8
        .value_kind:     by_value
      - .offset:         88
        .size:           16
        .value_kind:     by_value
      - .address_space:  global
        .offset:         104
        .size:           8
        .value_kind:     global_buffer
      - .offset:         112
        .size:           8
        .value_kind:     by_value
      - .offset:         120
        .size:           8
        .value_kind:     by_value
      - .address_space:  global
        .offset:         128
        .size:           8
        .value_kind:     global_buffer
      - .offset:         136
        .size:           8
        .value_kind:     by_value
      - .offset:         144
        .size:           8
        .value_kind:     by_value
      - .offset:         152
        .size:           4
        .value_kind:     by_value
    .group_segment_fixed_size: 8192
    .kernarg_segment_align: 8
    .kernarg_segment_size: 156
    .language:       OpenCL C
    .language_version:
      - 2
      - 0
    .max_flat_workgroup_size: 256
    .name:           _ZN12_GLOBAL__N_135rocblas_gemm_batched_general_kernelI19rocblas_complex_numIdELi16ELi16ELi32ELi32ELi8ELi32ELi8ELi8ELi32ELc67ELc67EKPKS2_S5_KPS2_EEvlllT_PT11_llSA_llS8_PT12_llPT13_lli
    .private_segment_fixed_size: 0
    .sgpr_count:     54
    .sgpr_spill_count: 0
    .symbol:         _ZN12_GLOBAL__N_135rocblas_gemm_batched_general_kernelI19rocblas_complex_numIdELi16ELi16ELi32ELi32ELi8ELi32ELi8ELi8ELi32ELc67ELc67EKPKS2_S5_KPS2_EEvlllT_PT11_llSA_llS8_PT12_llPT13_lli.kd
    .uniform_work_group_size: 1
    .uses_dynamic_stack: false
    .vgpr_count:     126
    .vgpr_spill_count: 0
    .wavefront_size: 32
    .workgroup_processor_mode: 1
  - .args:
      - .offset:         0
        .size:           8
        .value_kind:     by_value
      - .offset:         8
        .size:           8
        .value_kind:     by_value
      - .offset:         16
        .size:           8
        .value_kind:     by_value
      - .offset:         24
        .size:           16
        .value_kind:     by_value
      - .address_space:  global
        .offset:         40
        .size:           8
        .value_kind:     global_buffer
      - .offset:         48
        .size:           8
        .value_kind:     by_value
      - .offset:         56
        .size:           8
        .value_kind:     by_value
      - .address_space:  global
        .offset:         64
        .size:           8
        .value_kind:     global_buffer
      - .offset:         72
        .size:           8
        .value_kind:     by_value
      - .offset:         80
        .size:           8
        .value_kind:     by_value
      - .offset:         88
        .size:           16
        .value_kind:     by_value
      - .address_space:  global
        .offset:         104
        .size:           8
        .value_kind:     global_buffer
      - .offset:         112
        .size:           8
        .value_kind:     by_value
      - .offset:         120
        .size:           8
        .value_kind:     by_value
      - .address_space:  global
        .offset:         128
        .size:           8
        .value_kind:     global_buffer
      - .offset:         136
        .size:           8
        .value_kind:     by_value
      - .offset:         144
        .size:           8
        .value_kind:     by_value
      - .offset:         152
        .size:           4
        .value_kind:     by_value
    .group_segment_fixed_size: 8192
    .kernarg_segment_align: 8
    .kernarg_segment_size: 156
    .language:       OpenCL C
    .language_version:
      - 2
      - 0
    .max_flat_workgroup_size: 256
    .name:           _ZN12_GLOBAL__N_135rocblas_gemm_batched_general_kernelI19rocblas_complex_numIdELi16ELi16ELi32ELi32ELi8ELi32ELi8ELi8ELi32ELc67ELc78EKPKS2_S5_KPS2_EEvlllT_PT11_llSA_llS8_PT12_llPT13_lli
    .private_segment_fixed_size: 0
    .sgpr_count:     54
    .sgpr_spill_count: 0
    .symbol:         _ZN12_GLOBAL__N_135rocblas_gemm_batched_general_kernelI19rocblas_complex_numIdELi16ELi16ELi32ELi32ELi8ELi32ELi8ELi8ELi32ELc67ELc78EKPKS2_S5_KPS2_EEvlllT_PT11_llSA_llS8_PT12_llPT13_lli.kd
    .uniform_work_group_size: 1
    .uses_dynamic_stack: false
    .vgpr_count:     127
    .vgpr_spill_count: 0
    .wavefront_size: 32
    .workgroup_processor_mode: 1
  - .args:
      - .offset:         0
        .size:           8
        .value_kind:     by_value
      - .offset:         8
        .size:           8
        .value_kind:     by_value
      - .offset:         16
        .size:           8
        .value_kind:     by_value
      - .offset:         24
        .size:           16
        .value_kind:     by_value
      - .address_space:  global
        .offset:         40
        .size:           8
        .value_kind:     global_buffer
      - .offset:         48
        .size:           8
        .value_kind:     by_value
      - .offset:         56
        .size:           8
        .value_kind:     by_value
      - .address_space:  global
        .offset:         64
        .size:           8
        .value_kind:     global_buffer
      - .offset:         72
        .size:           8
        .value_kind:     by_value
      - .offset:         80
        .size:           8
        .value_kind:     by_value
      - .offset:         88
        .size:           16
        .value_kind:     by_value
      - .address_space:  global
        .offset:         104
        .size:           8
        .value_kind:     global_buffer
      - .offset:         112
        .size:           8
        .value_kind:     by_value
      - .offset:         120
        .size:           8
        .value_kind:     by_value
      - .address_space:  global
        .offset:         128
        .size:           8
        .value_kind:     global_buffer
      - .offset:         136
        .size:           8
        .value_kind:     by_value
      - .offset:         144
        .size:           8
        .value_kind:     by_value
      - .offset:         152
        .size:           4
        .value_kind:     by_value
    .group_segment_fixed_size: 8192
    .kernarg_segment_align: 8
    .kernarg_segment_size: 156
    .language:       OpenCL C
    .language_version:
      - 2
      - 0
    .max_flat_workgroup_size: 256
    .name:           _ZN12_GLOBAL__N_135rocblas_gemm_batched_general_kernelI19rocblas_complex_numIdELi16ELi16ELi32ELi32ELi8ELi32ELi8ELi8ELi32ELc67ELc84EKPKS2_S5_KPS2_EEvlllT_PT11_llSA_llS8_PT12_llPT13_lli
    .private_segment_fixed_size: 0
    .sgpr_count:     54
    .sgpr_spill_count: 0
    .symbol:         _ZN12_GLOBAL__N_135rocblas_gemm_batched_general_kernelI19rocblas_complex_numIdELi16ELi16ELi32ELi32ELi8ELi32ELi8ELi8ELi32ELc67ELc84EKPKS2_S5_KPS2_EEvlllT_PT11_llSA_llS8_PT12_llPT13_lli.kd
    .uniform_work_group_size: 1
    .uses_dynamic_stack: false
    .vgpr_count:     127
    .vgpr_spill_count: 0
    .wavefront_size: 32
    .workgroup_processor_mode: 1
  - .args:
      - .offset:         0
        .size:           8
        .value_kind:     by_value
      - .offset:         8
        .size:           8
        .value_kind:     by_value
      - .offset:         16
        .size:           8
        .value_kind:     by_value
      - .offset:         24
        .size:           16
        .value_kind:     by_value
      - .address_space:  global
        .offset:         40
        .size:           8
        .value_kind:     global_buffer
      - .offset:         48
        .size:           8
        .value_kind:     by_value
      - .offset:         56
        .size:           8
        .value_kind:     by_value
      - .address_space:  global
        .offset:         64
        .size:           8
        .value_kind:     global_buffer
      - .offset:         72
        .size:           8
        .value_kind:     by_value
      - .offset:         80
        .size:           8
        .value_kind:     by_value
      - .offset:         88
        .size:           16
        .value_kind:     by_value
      - .address_space:  global
        .offset:         104
        .size:           8
        .value_kind:     global_buffer
      - .offset:         112
        .size:           8
        .value_kind:     by_value
      - .offset:         120
        .size:           8
        .value_kind:     by_value
      - .address_space:  global
        .offset:         128
        .size:           8
        .value_kind:     global_buffer
      - .offset:         136
        .size:           8
        .value_kind:     by_value
      - .offset:         144
        .size:           8
        .value_kind:     by_value
      - .offset:         152
        .size:           4
        .value_kind:     by_value
    .group_segment_fixed_size: 8192
    .kernarg_segment_align: 8
    .kernarg_segment_size: 156
    .language:       OpenCL C
    .language_version:
      - 2
      - 0
    .max_flat_workgroup_size: 256
    .name:           _ZN12_GLOBAL__N_135rocblas_gemm_batched_general_kernelI19rocblas_complex_numIdELi16ELi16ELi32ELi32ELi8ELi32ELi8ELi8ELi32ELc78ELc67EKPKS2_S5_KPS2_EEvlllT_PT11_llSA_llS8_PT12_llPT13_lli
    .private_segment_fixed_size: 0
    .sgpr_count:     54
    .sgpr_spill_count: 0
    .symbol:         _ZN12_GLOBAL__N_135rocblas_gemm_batched_general_kernelI19rocblas_complex_numIdELi16ELi16ELi32ELi32ELi8ELi32ELi8ELi8ELi32ELc78ELc67EKPKS2_S5_KPS2_EEvlllT_PT11_llSA_llS8_PT12_llPT13_lli.kd
    .uniform_work_group_size: 1
    .uses_dynamic_stack: false
    .vgpr_count:     127
    .vgpr_spill_count: 0
    .wavefront_size: 32
    .workgroup_processor_mode: 1
  - .args:
      - .offset:         0
        .size:           8
        .value_kind:     by_value
      - .offset:         8
        .size:           8
        .value_kind:     by_value
      - .offset:         16
        .size:           8
        .value_kind:     by_value
      - .offset:         24
        .size:           16
        .value_kind:     by_value
      - .address_space:  global
        .offset:         40
        .size:           8
        .value_kind:     global_buffer
      - .offset:         48
        .size:           8
        .value_kind:     by_value
      - .offset:         56
        .size:           8
        .value_kind:     by_value
      - .address_space:  global
        .offset:         64
        .size:           8
        .value_kind:     global_buffer
      - .offset:         72
        .size:           8
        .value_kind:     by_value
      - .offset:         80
        .size:           8
        .value_kind:     by_value
      - .offset:         88
        .size:           16
        .value_kind:     by_value
      - .address_space:  global
        .offset:         104
        .size:           8
        .value_kind:     global_buffer
      - .offset:         112
        .size:           8
        .value_kind:     by_value
      - .offset:         120
        .size:           8
        .value_kind:     by_value
      - .address_space:  global
        .offset:         128
        .size:           8
        .value_kind:     global_buffer
      - .offset:         136
        .size:           8
        .value_kind:     by_value
      - .offset:         144
        .size:           8
        .value_kind:     by_value
      - .offset:         152
        .size:           4
        .value_kind:     by_value
    .group_segment_fixed_size: 8192
    .kernarg_segment_align: 8
    .kernarg_segment_size: 156
    .language:       OpenCL C
    .language_version:
      - 2
      - 0
    .max_flat_workgroup_size: 256
    .name:           _ZN12_GLOBAL__N_135rocblas_gemm_batched_general_kernelI19rocblas_complex_numIdELi16ELi16ELi32ELi32ELi8ELi32ELi8ELi8ELi32ELc84ELc67EKPKS2_S5_KPS2_EEvlllT_PT11_llSA_llS8_PT12_llPT13_lli
    .private_segment_fixed_size: 0
    .sgpr_count:     54
    .sgpr_spill_count: 0
    .symbol:         _ZN12_GLOBAL__N_135rocblas_gemm_batched_general_kernelI19rocblas_complex_numIdELi16ELi16ELi32ELi32ELi8ELi32ELi8ELi8ELi32ELc84ELc67EKPKS2_S5_KPS2_EEvlllT_PT11_llSA_llS8_PT12_llPT13_lli.kd
    .uniform_work_group_size: 1
    .uses_dynamic_stack: false
    .vgpr_count:     127
    .vgpr_spill_count: 0
    .wavefront_size: 32
    .workgroup_processor_mode: 1
amdhsa.target:   amdgcn-amd-amdhsa--gfx1030
amdhsa.version:
  - 1
  - 2
...

	.end_amdgpu_metadata
